;; amdgpu-corpus repo=ROCm/rocBLAS kind=compiled arch=gfx1250 opt=O3
	.amdgcn_target "amdgcn-amd-amdhsa--gfx1250"
	.amdhsa_code_object_version 6
	.section	.text._ZL28rocblas_dot_batched_4_kernelIiLi32ELi4ELb0EDF16_DF16_PKDF16_EviT5_lT_lS2_lS3_liPT4_,"axG",@progbits,_ZL28rocblas_dot_batched_4_kernelIiLi32ELi4ELb0EDF16_DF16_PKDF16_EviT5_lT_lS2_lS3_liPT4_,comdat
	.globl	_ZL28rocblas_dot_batched_4_kernelIiLi32ELi4ELb0EDF16_DF16_PKDF16_EviT5_lT_lS2_lS3_liPT4_ ; -- Begin function _ZL28rocblas_dot_batched_4_kernelIiLi32ELi4ELb0EDF16_DF16_PKDF16_EviT5_lT_lS2_lS3_liPT4_
	.p2align	8
	.type	_ZL28rocblas_dot_batched_4_kernelIiLi32ELi4ELb0EDF16_DF16_PKDF16_EviT5_lT_lS2_lS3_liPT4_,@function
_ZL28rocblas_dot_batched_4_kernelIiLi32ELi4ELb0EDF16_DF16_PKDF16_EviT5_lT_lS2_lS3_liPT4_: ; @_ZL28rocblas_dot_batched_4_kernelIiLi32ELi4ELb0EDF16_DF16_PKDF16_EviT5_lT_lS2_lS3_liPT4_
; %bb.0:
	s_load_b32 s2, s[0:1], 0x48
	s_bfe_u32 s3, ttmp6, 0x4000c
	s_and_b32 s4, ttmp6, 15
	s_add_co_i32 s3, s3, 1
	v_bfe_u32 v1, v0, 10, 10
	s_mul_i32 s3, ttmp9, s3
	s_delay_alu instid0(SALU_CYCLE_1) | instskip(SKIP_1) | instid1(SALU_CYCLE_1)
	s_add_co_i32 s4, s4, s3
	s_getreg_b32 s3, hwreg(HW_REG_IB_STS2, 6, 4)
	s_cmp_eq_u32 s3, 0
	s_cselect_b32 s3, ttmp9, s4
	s_delay_alu instid0(SALU_CYCLE_1) | instskip(SKIP_1) | instid1(VALU_DEP_1)
	v_lshl_add_u32 v2, s3, 2, v1
	s_wait_kmcnt 0x0
	v_cmp_gt_u32_e32 vcc_lo, s2, v2
	s_and_saveexec_b32 s2, vcc_lo
	s_cbranch_execz .LBB0_7
; %bb.1:
	s_load_b32 s6, s[0:1], 0x0
	v_mov_b32_e32 v3, 0
	v_and_b32_e32 v0, 0x3ff, v0
	s_mov_b32 s7, exec_lo
	s_delay_alu instid0(VALU_DEP_2) | instskip(SKIP_1) | instid1(VALU_DEP_2)
	v_mov_b32_e32 v1, v3
	s_wait_kmcnt 0x0
	v_cmpx_gt_i32_e64 s6, v0
	s_cbranch_execz .LBB0_5
; %bb.2:
	s_clause 0x3
	s_load_b128 s[8:11], s[0:1], 0x20
	s_load_b64 s[2:3], s[0:1], 0x40
	s_load_b32 s4, s[0:1], 0x18
	s_load_b96 s[16:18], s[0:1], 0x30
	v_mov_b32_e32 v1, 0
	s_load_b128 s[12:15], s[0:1], 0x8
	s_wait_kmcnt 0x0
	v_mul_u64_e32 v[4:5], s[8:9], v[2:3]
	v_mul_u64_e32 v[6:7], s[2:3], v[2:3]
	s_ashr_i32 s5, s4, 31
	s_ashr_i32 s9, s18, 31
	v_mul_u64_e32 v[8:9], s[4:5], v[0:1]
	s_mov_b32 s8, s18
	s_lshl_b64 s[2:3], s[14:15], 1
	s_lshl_b64 s[14:15], s[16:17], 1
	s_add_nc_u64 s[2:3], s[12:13], s[2:3]
	s_add_nc_u64 s[10:11], s[10:11], s[14:15]
	s_delay_alu instid0(VALU_DEP_3) | instskip(NEXT) | instid1(VALU_DEP_3)
	v_lshlrev_b64_e32 v[4:5], 1, v[4:5]
	v_lshlrev_b64_e32 v[6:7], 1, v[6:7]
	s_delay_alu instid0(VALU_DEP_2) | instskip(SKIP_2) | instid1(VALU_DEP_3)
	v_lshl_add_u64 v[4:5], v[8:9], 1, v[4:5]
	v_mov_b32_e32 v8, v0
	v_mul_u64_e32 v[10:11], s[8:9], v[0:1]
	v_add_nc_u64_e32 v[4:5], s[2:3], v[4:5]
	s_lshl_b64 s[2:3], s[4:5], 6
	s_lshl_b64 s[4:5], s[8:9], 6
	s_mov_b32 s8, 0
	s_delay_alu instid0(VALU_DEP_2) | instskip(NEXT) | instid1(VALU_DEP_1)
	v_lshl_add_u64 v[6:7], v[10:11], 1, v[6:7]
	v_add_nc_u64_e32 v[6:7], s[10:11], v[6:7]
.LBB0_3:                                ; =>This Inner Loop Header: Depth=1
	global_load_u16 v9, v[4:5], off
	global_load_u16 v10, v[6:7], off
	v_add_nc_u32_e32 v8, 32, v8
	s_wait_xcnt 0x1
	v_add_nc_u64_e32 v[4:5], s[2:3], v[4:5]
	s_wait_xcnt 0x0
	v_add_nc_u64_e32 v[6:7], s[4:5], v[6:7]
	v_cmp_le_i32_e32 vcc_lo, s6, v8
	s_or_b32 s8, vcc_lo, s8
	s_wait_loadcnt 0x0
	v_fmac_f16_e32 v1, v9, v10
	s_and_not1_b32 exec_lo, exec_lo, s8
	s_cbranch_execnz .LBB0_3
; %bb.4:
	s_or_b32 exec_lo, exec_lo, s8
.LBB0_5:
	s_delay_alu instid0(SALU_CYCLE_1) | instskip(SKIP_4) | instid1(VALU_DEP_2)
	s_or_b32 exec_lo, exec_lo, s7
	v_mbcnt_lo_u32_b32 v4, -1, 0
	v_and_b32_e32 v5, 0xffff, v1
	s_load_b64 s[0:1], s[0:1], 0x50
	s_barrier_signal -1
	v_lshl_or_b32 v6, v4, 2, 64
	v_cmp_gt_u32_e32 vcc_lo, 24, v4
	s_barrier_wait -1
	ds_bpermute_b32 v5, v6, v5
	v_cndmask_b32_e64 v6, 0, 8, vcc_lo
	v_cmp_gt_u32_e32 vcc_lo, 28, v4
	s_delay_alu instid0(VALU_DEP_2) | instskip(SKIP_2) | instid1(VALU_DEP_1)
	v_add_lshl_u32 v6, v6, v4, 2
	s_wait_dscnt 0x0
	v_add_f16_e32 v1, v1, v5
	v_and_b32_e32 v7, 0xffff, v1
	s_delay_alu instid0(VALU_DEP_1) | instskip(SKIP_3) | instid1(VALU_DEP_2)
	v_and_or_b32 v5, 0xffff0000, v5, v7
	ds_bpermute_b32 v5, v6, v5
	v_cndmask_b32_e64 v6, 0, 4, vcc_lo
	v_cmp_gt_u32_e32 vcc_lo, 30, v4
	v_add_lshl_u32 v6, v6, v4, 2
	s_wait_dscnt 0x0
	v_add_f16_e32 v1, v1, v5
	s_delay_alu instid0(VALU_DEP_1) | instskip(NEXT) | instid1(VALU_DEP_1)
	v_and_b32_e32 v7, 0xffff, v1
	v_and_or_b32 v5, 0xffff0000, v5, v7
	ds_bpermute_b32 v5, v6, v5
	v_cndmask_b32_e64 v6, 0, 2, vcc_lo
	v_cmp_ne_u32_e32 vcc_lo, 31, v4
	s_delay_alu instid0(VALU_DEP_2) | instskip(SKIP_2) | instid1(VALU_DEP_2)
	v_add_lshl_u32 v6, v6, v4, 2
	v_add_co_ci_u32_e64 v4, null, 0, v4, vcc_lo
	v_cmp_eq_u32_e32 vcc_lo, 0, v0
	v_lshlrev_b32_e32 v4, 2, v4
	s_wait_dscnt 0x0
	v_add_f16_e32 v1, v1, v5
	s_delay_alu instid0(VALU_DEP_1) | instskip(NEXT) | instid1(VALU_DEP_1)
	v_and_b32_e32 v7, 0xffff, v1
	v_and_or_b32 v5, 0xffff0000, v5, v7
	ds_bpermute_b32 v5, v6, v5
	s_wait_dscnt 0x0
	v_add_f16_e32 v1, v1, v5
	s_delay_alu instid0(VALU_DEP_1) | instskip(NEXT) | instid1(VALU_DEP_1)
	v_and_b32_e32 v6, 0xffff, v1
	v_and_or_b32 v5, 0xffff0000, v5, v6
	ds_bpermute_b32 v4, v4, v5
	s_and_b32 exec_lo, exec_lo, vcc_lo
	s_cbranch_execz .LBB0_7
; %bb.6:
	s_wait_kmcnt 0x0
	v_lshl_add_u64 v[2:3], v[2:3], 1, s[0:1]
	s_wait_dscnt 0x0
	v_add_f16_e32 v0, v1, v4
	global_store_b16 v[2:3], v0, off
.LBB0_7:
	s_endpgm
	.section	.rodata,"a",@progbits
	.p2align	6, 0x0
	.amdhsa_kernel _ZL28rocblas_dot_batched_4_kernelIiLi32ELi4ELb0EDF16_DF16_PKDF16_EviT5_lT_lS2_lS3_liPT4_
		.amdhsa_group_segment_fixed_size 0
		.amdhsa_private_segment_fixed_size 0
		.amdhsa_kernarg_size 88
		.amdhsa_user_sgpr_count 2
		.amdhsa_user_sgpr_dispatch_ptr 0
		.amdhsa_user_sgpr_queue_ptr 0
		.amdhsa_user_sgpr_kernarg_segment_ptr 1
		.amdhsa_user_sgpr_dispatch_id 0
		.amdhsa_user_sgpr_kernarg_preload_length 0
		.amdhsa_user_sgpr_kernarg_preload_offset 0
		.amdhsa_user_sgpr_private_segment_size 0
		.amdhsa_wavefront_size32 1
		.amdhsa_uses_dynamic_stack 0
		.amdhsa_enable_private_segment 0
		.amdhsa_system_sgpr_workgroup_id_x 1
		.amdhsa_system_sgpr_workgroup_id_y 0
		.amdhsa_system_sgpr_workgroup_id_z 0
		.amdhsa_system_sgpr_workgroup_info 0
		.amdhsa_system_vgpr_workitem_id 1
		.amdhsa_next_free_vgpr 12
		.amdhsa_next_free_sgpr 19
		.amdhsa_named_barrier_count 0
		.amdhsa_reserve_vcc 1
		.amdhsa_float_round_mode_32 0
		.amdhsa_float_round_mode_16_64 0
		.amdhsa_float_denorm_mode_32 3
		.amdhsa_float_denorm_mode_16_64 3
		.amdhsa_fp16_overflow 0
		.amdhsa_memory_ordered 1
		.amdhsa_forward_progress 1
		.amdhsa_inst_pref_size 6
		.amdhsa_round_robin_scheduling 0
		.amdhsa_exception_fp_ieee_invalid_op 0
		.amdhsa_exception_fp_denorm_src 0
		.amdhsa_exception_fp_ieee_div_zero 0
		.amdhsa_exception_fp_ieee_overflow 0
		.amdhsa_exception_fp_ieee_underflow 0
		.amdhsa_exception_fp_ieee_inexact 0
		.amdhsa_exception_int_div_zero 0
	.end_amdhsa_kernel
	.section	.text._ZL28rocblas_dot_batched_4_kernelIiLi32ELi4ELb0EDF16_DF16_PKDF16_EviT5_lT_lS2_lS3_liPT4_,"axG",@progbits,_ZL28rocblas_dot_batched_4_kernelIiLi32ELi4ELb0EDF16_DF16_PKDF16_EviT5_lT_lS2_lS3_liPT4_,comdat
.Lfunc_end0:
	.size	_ZL28rocblas_dot_batched_4_kernelIiLi32ELi4ELb0EDF16_DF16_PKDF16_EviT5_lT_lS2_lS3_liPT4_, .Lfunc_end0-_ZL28rocblas_dot_batched_4_kernelIiLi32ELi4ELb0EDF16_DF16_PKDF16_EviT5_lT_lS2_lS3_liPT4_
                                        ; -- End function
	.set _ZL28rocblas_dot_batched_4_kernelIiLi32ELi4ELb0EDF16_DF16_PKDF16_EviT5_lT_lS2_lS3_liPT4_.num_vgpr, 12
	.set _ZL28rocblas_dot_batched_4_kernelIiLi32ELi4ELb0EDF16_DF16_PKDF16_EviT5_lT_lS2_lS3_liPT4_.num_agpr, 0
	.set _ZL28rocblas_dot_batched_4_kernelIiLi32ELi4ELb0EDF16_DF16_PKDF16_EviT5_lT_lS2_lS3_liPT4_.numbered_sgpr, 19
	.set _ZL28rocblas_dot_batched_4_kernelIiLi32ELi4ELb0EDF16_DF16_PKDF16_EviT5_lT_lS2_lS3_liPT4_.num_named_barrier, 0
	.set _ZL28rocblas_dot_batched_4_kernelIiLi32ELi4ELb0EDF16_DF16_PKDF16_EviT5_lT_lS2_lS3_liPT4_.private_seg_size, 0
	.set _ZL28rocblas_dot_batched_4_kernelIiLi32ELi4ELb0EDF16_DF16_PKDF16_EviT5_lT_lS2_lS3_liPT4_.uses_vcc, 1
	.set _ZL28rocblas_dot_batched_4_kernelIiLi32ELi4ELb0EDF16_DF16_PKDF16_EviT5_lT_lS2_lS3_liPT4_.uses_flat_scratch, 0
	.set _ZL28rocblas_dot_batched_4_kernelIiLi32ELi4ELb0EDF16_DF16_PKDF16_EviT5_lT_lS2_lS3_liPT4_.has_dyn_sized_stack, 0
	.set _ZL28rocblas_dot_batched_4_kernelIiLi32ELi4ELb0EDF16_DF16_PKDF16_EviT5_lT_lS2_lS3_liPT4_.has_recursion, 0
	.set _ZL28rocblas_dot_batched_4_kernelIiLi32ELi4ELb0EDF16_DF16_PKDF16_EviT5_lT_lS2_lS3_liPT4_.has_indirect_call, 0
	.section	.AMDGPU.csdata,"",@progbits
; Kernel info:
; codeLenInByte = 708
; TotalNumSgprs: 21
; NumVgprs: 12
; ScratchSize: 0
; MemoryBound: 0
; FloatMode: 240
; IeeeMode: 1
; LDSByteSize: 0 bytes/workgroup (compile time only)
; SGPRBlocks: 0
; VGPRBlocks: 0
; NumSGPRsForWavesPerEU: 21
; NumVGPRsForWavesPerEU: 12
; NamedBarCnt: 0
; Occupancy: 16
; WaveLimiterHint : 0
; COMPUTE_PGM_RSRC2:SCRATCH_EN: 0
; COMPUTE_PGM_RSRC2:USER_SGPR: 2
; COMPUTE_PGM_RSRC2:TRAP_HANDLER: 0
; COMPUTE_PGM_RSRC2:TGID_X_EN: 1
; COMPUTE_PGM_RSRC2:TGID_Y_EN: 0
; COMPUTE_PGM_RSRC2:TGID_Z_EN: 0
; COMPUTE_PGM_RSRC2:TIDIG_COMP_CNT: 1
	.section	.text._ZL28rocblas_dot_batched_4_kernelIiLi64ELi4ELb0EDF16_DF16_PKDF16_EviT5_lT_lS2_lS3_liPT4_,"axG",@progbits,_ZL28rocblas_dot_batched_4_kernelIiLi64ELi4ELb0EDF16_DF16_PKDF16_EviT5_lT_lS2_lS3_liPT4_,comdat
	.globl	_ZL28rocblas_dot_batched_4_kernelIiLi64ELi4ELb0EDF16_DF16_PKDF16_EviT5_lT_lS2_lS3_liPT4_ ; -- Begin function _ZL28rocblas_dot_batched_4_kernelIiLi64ELi4ELb0EDF16_DF16_PKDF16_EviT5_lT_lS2_lS3_liPT4_
	.p2align	8
	.type	_ZL28rocblas_dot_batched_4_kernelIiLi64ELi4ELb0EDF16_DF16_PKDF16_EviT5_lT_lS2_lS3_liPT4_,@function
_ZL28rocblas_dot_batched_4_kernelIiLi64ELi4ELb0EDF16_DF16_PKDF16_EviT5_lT_lS2_lS3_liPT4_: ; @_ZL28rocblas_dot_batched_4_kernelIiLi64ELi4ELb0EDF16_DF16_PKDF16_EviT5_lT_lS2_lS3_liPT4_
; %bb.0:
	s_load_b32 s2, s[0:1], 0x48
	s_bfe_u32 s3, ttmp6, 0x4000c
	s_and_b32 s4, ttmp6, 15
	s_add_co_i32 s3, s3, 1
	v_bfe_u32 v1, v0, 10, 10
	s_mul_i32 s3, ttmp9, s3
	s_delay_alu instid0(SALU_CYCLE_1) | instskip(SKIP_1) | instid1(SALU_CYCLE_1)
	s_add_co_i32 s4, s4, s3
	s_getreg_b32 s3, hwreg(HW_REG_IB_STS2, 6, 4)
	s_cmp_eq_u32 s3, 0
	s_cselect_b32 s3, ttmp9, s4
	s_delay_alu instid0(SALU_CYCLE_1) | instskip(SKIP_1) | instid1(VALU_DEP_1)
	v_lshl_add_u32 v2, s3, 2, v1
	s_wait_kmcnt 0x0
	v_cmp_gt_u32_e32 vcc_lo, s2, v2
	s_and_saveexec_b32 s2, vcc_lo
	s_cbranch_execz .LBB1_7
; %bb.1:
	s_load_b32 s6, s[0:1], 0x0
	v_mov_b32_e32 v3, 0
	v_and_b32_e32 v0, 0x3ff, v0
	s_mov_b32 s7, exec_lo
	s_delay_alu instid0(VALU_DEP_2) | instskip(SKIP_1) | instid1(VALU_DEP_2)
	v_mov_b32_e32 v1, v3
	s_wait_kmcnt 0x0
	v_cmpx_gt_i32_e64 s6, v0
	s_cbranch_execz .LBB1_5
; %bb.2:
	s_clause 0x3
	s_load_b128 s[8:11], s[0:1], 0x20
	s_load_b64 s[2:3], s[0:1], 0x40
	s_load_b32 s4, s[0:1], 0x18
	s_load_b96 s[16:18], s[0:1], 0x30
	v_mov_b32_e32 v1, 0
	s_load_b128 s[12:15], s[0:1], 0x8
	s_wait_kmcnt 0x0
	v_mul_u64_e32 v[4:5], s[8:9], v[2:3]
	v_mul_u64_e32 v[6:7], s[2:3], v[2:3]
	s_ashr_i32 s5, s4, 31
	s_ashr_i32 s9, s18, 31
	v_mul_u64_e32 v[8:9], s[4:5], v[0:1]
	s_mov_b32 s8, s18
	s_lshl_b64 s[2:3], s[14:15], 1
	s_lshl_b64 s[14:15], s[16:17], 1
	s_add_nc_u64 s[2:3], s[12:13], s[2:3]
	s_add_nc_u64 s[10:11], s[10:11], s[14:15]
	s_delay_alu instid0(VALU_DEP_3) | instskip(NEXT) | instid1(VALU_DEP_3)
	v_lshlrev_b64_e32 v[4:5], 1, v[4:5]
	v_lshlrev_b64_e32 v[6:7], 1, v[6:7]
	s_delay_alu instid0(VALU_DEP_2) | instskip(SKIP_2) | instid1(VALU_DEP_3)
	v_lshl_add_u64 v[4:5], v[8:9], 1, v[4:5]
	v_mov_b32_e32 v8, v0
	v_mul_u64_e32 v[10:11], s[8:9], v[0:1]
	v_add_nc_u64_e32 v[4:5], s[2:3], v[4:5]
	s_lshl_b64 s[2:3], s[4:5], 7
	s_lshl_b64 s[4:5], s[8:9], 7
	s_mov_b32 s8, 0
	s_delay_alu instid0(VALU_DEP_2) | instskip(NEXT) | instid1(VALU_DEP_1)
	v_lshl_add_u64 v[6:7], v[10:11], 1, v[6:7]
	v_add_nc_u64_e32 v[6:7], s[10:11], v[6:7]
.LBB1_3:                                ; =>This Inner Loop Header: Depth=1
	global_load_u16 v9, v[4:5], off
	global_load_u16 v10, v[6:7], off
	v_add_nc_u32_e32 v8, 64, v8
	s_wait_xcnt 0x1
	v_add_nc_u64_e32 v[4:5], s[2:3], v[4:5]
	s_wait_xcnt 0x0
	v_add_nc_u64_e32 v[6:7], s[4:5], v[6:7]
	v_cmp_le_i32_e32 vcc_lo, s6, v8
	s_or_b32 s8, vcc_lo, s8
	s_wait_loadcnt 0x0
	v_fmac_f16_e32 v1, v9, v10
	s_and_not1_b32 exec_lo, exec_lo, s8
	s_cbranch_execnz .LBB1_3
; %bb.4:
	s_or_b32 exec_lo, exec_lo, s8
.LBB1_5:
	s_delay_alu instid0(SALU_CYCLE_1) | instskip(SKIP_4) | instid1(VALU_DEP_2)
	s_or_b32 exec_lo, exec_lo, s7
	v_mbcnt_lo_u32_b32 v4, -1, 0
	v_and_b32_e32 v5, 0xffff, v1
	s_load_b64 s[0:1], s[0:1], 0x50
	s_barrier_signal -1
	v_lshlrev_b32_e32 v6, 2, v4
	v_cmp_gt_u32_e32 vcc_lo, 24, v4
	s_barrier_wait -1
	ds_bpermute_b32 v5, v6, v5
	v_or_b32_e32 v6, 64, v6
	s_wait_dscnt 0x0
	v_add_f16_e32 v1, v1, v5
	s_delay_alu instid0(VALU_DEP_1) | instskip(NEXT) | instid1(VALU_DEP_1)
	v_and_b32_e32 v7, 0xffff, v1
	v_and_or_b32 v5, 0xffff0000, v5, v7
	ds_bpermute_b32 v5, v6, v5
	v_cndmask_b32_e64 v6, 0, 8, vcc_lo
	v_cmp_gt_u32_e32 vcc_lo, 28, v4
	s_delay_alu instid0(VALU_DEP_2) | instskip(SKIP_2) | instid1(VALU_DEP_1)
	v_add_lshl_u32 v6, v6, v4, 2
	s_wait_dscnt 0x0
	v_add_f16_e32 v1, v1, v5
	v_and_b32_e32 v7, 0xffff, v1
	s_delay_alu instid0(VALU_DEP_1) | instskip(SKIP_3) | instid1(VALU_DEP_2)
	v_and_or_b32 v5, 0xffff0000, v5, v7
	ds_bpermute_b32 v5, v6, v5
	v_cndmask_b32_e64 v6, 0, 4, vcc_lo
	v_cmp_gt_u32_e32 vcc_lo, 30, v4
	v_add_lshl_u32 v6, v6, v4, 2
	s_wait_dscnt 0x0
	v_add_f16_e32 v1, v1, v5
	s_delay_alu instid0(VALU_DEP_1) | instskip(NEXT) | instid1(VALU_DEP_1)
	v_and_b32_e32 v7, 0xffff, v1
	v_and_or_b32 v5, 0xffff0000, v5, v7
	ds_bpermute_b32 v5, v6, v5
	v_cndmask_b32_e64 v6, 0, 2, vcc_lo
	v_cmp_ne_u32_e32 vcc_lo, 31, v4
	s_delay_alu instid0(VALU_DEP_2) | instskip(SKIP_2) | instid1(VALU_DEP_2)
	v_add_lshl_u32 v6, v6, v4, 2
	v_add_co_ci_u32_e64 v4, null, 0, v4, vcc_lo
	v_cmp_eq_u32_e32 vcc_lo, 0, v0
	v_lshlrev_b32_e32 v4, 2, v4
	s_wait_dscnt 0x0
	v_add_f16_e32 v1, v1, v5
	s_delay_alu instid0(VALU_DEP_1) | instskip(NEXT) | instid1(VALU_DEP_1)
	v_and_b32_e32 v7, 0xffff, v1
	v_and_or_b32 v5, 0xffff0000, v5, v7
	ds_bpermute_b32 v5, v6, v5
	s_wait_dscnt 0x0
	v_add_f16_e32 v1, v1, v5
	s_delay_alu instid0(VALU_DEP_1) | instskip(NEXT) | instid1(VALU_DEP_1)
	v_and_b32_e32 v6, 0xffff, v1
	v_and_or_b32 v5, 0xffff0000, v5, v6
	ds_bpermute_b32 v4, v4, v5
	s_and_b32 exec_lo, exec_lo, vcc_lo
	s_cbranch_execz .LBB1_7
; %bb.6:
	s_wait_kmcnt 0x0
	v_lshl_add_u64 v[2:3], v[2:3], 1, s[0:1]
	s_wait_dscnt 0x0
	v_add_f16_e32 v0, v1, v4
	global_store_b16 v[2:3], v0, off
.LBB1_7:
	s_endpgm
	.section	.rodata,"a",@progbits
	.p2align	6, 0x0
	.amdhsa_kernel _ZL28rocblas_dot_batched_4_kernelIiLi64ELi4ELb0EDF16_DF16_PKDF16_EviT5_lT_lS2_lS3_liPT4_
		.amdhsa_group_segment_fixed_size 0
		.amdhsa_private_segment_fixed_size 0
		.amdhsa_kernarg_size 88
		.amdhsa_user_sgpr_count 2
		.amdhsa_user_sgpr_dispatch_ptr 0
		.amdhsa_user_sgpr_queue_ptr 0
		.amdhsa_user_sgpr_kernarg_segment_ptr 1
		.amdhsa_user_sgpr_dispatch_id 0
		.amdhsa_user_sgpr_kernarg_preload_length 0
		.amdhsa_user_sgpr_kernarg_preload_offset 0
		.amdhsa_user_sgpr_private_segment_size 0
		.amdhsa_wavefront_size32 1
		.amdhsa_uses_dynamic_stack 0
		.amdhsa_enable_private_segment 0
		.amdhsa_system_sgpr_workgroup_id_x 1
		.amdhsa_system_sgpr_workgroup_id_y 0
		.amdhsa_system_sgpr_workgroup_id_z 0
		.amdhsa_system_sgpr_workgroup_info 0
		.amdhsa_system_vgpr_workitem_id 1
		.amdhsa_next_free_vgpr 12
		.amdhsa_next_free_sgpr 19
		.amdhsa_named_barrier_count 0
		.amdhsa_reserve_vcc 1
		.amdhsa_float_round_mode_32 0
		.amdhsa_float_round_mode_16_64 0
		.amdhsa_float_denorm_mode_32 3
		.amdhsa_float_denorm_mode_16_64 3
		.amdhsa_fp16_overflow 0
		.amdhsa_memory_ordered 1
		.amdhsa_forward_progress 1
		.amdhsa_inst_pref_size 6
		.amdhsa_round_robin_scheduling 0
		.amdhsa_exception_fp_ieee_invalid_op 0
		.amdhsa_exception_fp_denorm_src 0
		.amdhsa_exception_fp_ieee_div_zero 0
		.amdhsa_exception_fp_ieee_overflow 0
		.amdhsa_exception_fp_ieee_underflow 0
		.amdhsa_exception_fp_ieee_inexact 0
		.amdhsa_exception_int_div_zero 0
	.end_amdhsa_kernel
	.section	.text._ZL28rocblas_dot_batched_4_kernelIiLi64ELi4ELb0EDF16_DF16_PKDF16_EviT5_lT_lS2_lS3_liPT4_,"axG",@progbits,_ZL28rocblas_dot_batched_4_kernelIiLi64ELi4ELb0EDF16_DF16_PKDF16_EviT5_lT_lS2_lS3_liPT4_,comdat
.Lfunc_end1:
	.size	_ZL28rocblas_dot_batched_4_kernelIiLi64ELi4ELb0EDF16_DF16_PKDF16_EviT5_lT_lS2_lS3_liPT4_, .Lfunc_end1-_ZL28rocblas_dot_batched_4_kernelIiLi64ELi4ELb0EDF16_DF16_PKDF16_EviT5_lT_lS2_lS3_liPT4_
                                        ; -- End function
	.set _ZL28rocblas_dot_batched_4_kernelIiLi64ELi4ELb0EDF16_DF16_PKDF16_EviT5_lT_lS2_lS3_liPT4_.num_vgpr, 12
	.set _ZL28rocblas_dot_batched_4_kernelIiLi64ELi4ELb0EDF16_DF16_PKDF16_EviT5_lT_lS2_lS3_liPT4_.num_agpr, 0
	.set _ZL28rocblas_dot_batched_4_kernelIiLi64ELi4ELb0EDF16_DF16_PKDF16_EviT5_lT_lS2_lS3_liPT4_.numbered_sgpr, 19
	.set _ZL28rocblas_dot_batched_4_kernelIiLi64ELi4ELb0EDF16_DF16_PKDF16_EviT5_lT_lS2_lS3_liPT4_.num_named_barrier, 0
	.set _ZL28rocblas_dot_batched_4_kernelIiLi64ELi4ELb0EDF16_DF16_PKDF16_EviT5_lT_lS2_lS3_liPT4_.private_seg_size, 0
	.set _ZL28rocblas_dot_batched_4_kernelIiLi64ELi4ELb0EDF16_DF16_PKDF16_EviT5_lT_lS2_lS3_liPT4_.uses_vcc, 1
	.set _ZL28rocblas_dot_batched_4_kernelIiLi64ELi4ELb0EDF16_DF16_PKDF16_EviT5_lT_lS2_lS3_liPT4_.uses_flat_scratch, 0
	.set _ZL28rocblas_dot_batched_4_kernelIiLi64ELi4ELb0EDF16_DF16_PKDF16_EviT5_lT_lS2_lS3_liPT4_.has_dyn_sized_stack, 0
	.set _ZL28rocblas_dot_batched_4_kernelIiLi64ELi4ELb0EDF16_DF16_PKDF16_EviT5_lT_lS2_lS3_liPT4_.has_recursion, 0
	.set _ZL28rocblas_dot_batched_4_kernelIiLi64ELi4ELb0EDF16_DF16_PKDF16_EviT5_lT_lS2_lS3_liPT4_.has_indirect_call, 0
	.section	.AMDGPU.csdata,"",@progbits
; Kernel info:
; codeLenInByte = 748
; TotalNumSgprs: 21
; NumVgprs: 12
; ScratchSize: 0
; MemoryBound: 0
; FloatMode: 240
; IeeeMode: 1
; LDSByteSize: 0 bytes/workgroup (compile time only)
; SGPRBlocks: 0
; VGPRBlocks: 0
; NumSGPRsForWavesPerEU: 21
; NumVGPRsForWavesPerEU: 12
; NamedBarCnt: 0
; Occupancy: 16
; WaveLimiterHint : 0
; COMPUTE_PGM_RSRC2:SCRATCH_EN: 0
; COMPUTE_PGM_RSRC2:USER_SGPR: 2
; COMPUTE_PGM_RSRC2:TRAP_HANDLER: 0
; COMPUTE_PGM_RSRC2:TGID_X_EN: 1
; COMPUTE_PGM_RSRC2:TGID_Y_EN: 0
; COMPUTE_PGM_RSRC2:TGID_Z_EN: 0
; COMPUTE_PGM_RSRC2:TIDIG_COMP_CNT: 1
	.section	.text._ZL26rocblas_dot_kernel_inc1by2ILb1ELi1024ELi32ELb0EDF16_PKDF16_DF16_EviT4_llS2_lliPT5_PT3_,"axG",@progbits,_ZL26rocblas_dot_kernel_inc1by2ILb1ELi1024ELi32ELb0EDF16_PKDF16_DF16_EviT4_llS2_lliPT5_PT3_,comdat
	.globl	_ZL26rocblas_dot_kernel_inc1by2ILb1ELi1024ELi32ELb0EDF16_PKDF16_DF16_EviT4_llS2_lliPT5_PT3_ ; -- Begin function _ZL26rocblas_dot_kernel_inc1by2ILb1ELi1024ELi32ELb0EDF16_PKDF16_DF16_EviT4_llS2_lliPT5_PT3_
	.p2align	8
	.type	_ZL26rocblas_dot_kernel_inc1by2ILb1ELi1024ELi32ELb0EDF16_PKDF16_DF16_EviT4_llS2_lliPT5_PT3_,@function
_ZL26rocblas_dot_kernel_inc1by2ILb1ELi1024ELi32ELb0EDF16_PKDF16_DF16_EviT4_llS2_lliPT5_PT3_: ; @_ZL26rocblas_dot_kernel_inc1by2ILb1ELi1024ELi32ELb0EDF16_PKDF16_DF16_EviT4_llS2_lliPT5_PT3_
; %bb.0:
	s_load_b32 s3, s[0:1], 0x38
	s_bfe_u32 s2, ttmp6, 0x40014
	s_lshr_b32 s4, ttmp7, 16
	s_add_co_i32 s2, s2, 1
	s_bfe_u32 s5, ttmp6, 0x40008
	s_mul_i32 s2, s4, s2
	s_getreg_b32 s6, hwreg(HW_REG_IB_STS2, 6, 4)
	s_add_co_i32 s5, s5, s2
	s_cmp_eq_u32 s6, 0
	s_mov_b32 s13, 0
	s_cselect_b32 s12, s4, s5
	s_wait_kmcnt 0x0
	s_cmp_ge_u32 s12, s3
	s_cbranch_scc1 .LBB2_19
; %bb.1:
	s_clause 0x4
	s_load_b32 s20, s[0:1], 0x0
	s_load_b128 s[4:7], s[0:1], 0x10
	s_load_b128 s[8:11], s[0:1], 0x28
	s_load_b64 s[16:17], s[0:1], 0x8
	s_load_b64 s[18:19], s[0:1], 0x20
	v_mbcnt_lo_u32_b32 v2, -1, 0
	s_load_b64 s[14:15], s[0:1], 0x48
	v_and_b32_e32 v1, 31, v0
	v_cmp_gt_u32_e32 vcc_lo, 32, v0
	v_mov_b32_e32 v13, 0
	s_wait_xcnt 0x0
	v_cmp_gt_u32_e64 s0, 24, v2
	v_lshl_or_b32 v7, v2, 2, 64
	s_delay_alu instid0(VALU_DEP_2) | instskip(SKIP_1) | instid1(VALU_DEP_2)
	v_cndmask_b32_e64 v3, 0, 8, s0
	v_cmp_gt_u32_e64 s0, 28, v2
	v_add_lshl_u32 v8, v3, v2, 2
	s_delay_alu instid0(VALU_DEP_2)
	v_cndmask_b32_e64 v4, 0, 4, s0
	s_wait_kmcnt 0x0
	s_lshl_b64 s[0:1], s[4:5], 1
	v_lshrrev_b32_e32 v3, 4, v0
	s_add_nc_u64 s[4:5], s[16:17], s[0:1]
	v_cmp_gt_u32_e64 s0, 30, v2
	s_ashr_i32 s21, s20, 31
	s_lshl_b64 s[8:9], s[8:9], 1
	s_add_co_i32 s22, s20, -1
	v_add_lshl_u32 v9, v4, v2, 2
	v_cndmask_b32_e64 v5, 0, 2, s0
	v_cmp_ne_u32_e64 s0, 31, v2
	v_and_b32_e32 v12, 62, v3
	v_cmp_eq_u32_e64 s1, 0, v0
	s_bitcmp1_b32 s20, 0
	v_add_lshl_u32 v10, v5, v2, 2
	v_add_co_ci_u32_e64 v11, null, 0, v2, s0
	v_lshlrev_b32_e32 v6, 1, v1
	v_cmp_eq_u32_e64 s0, 0, v1
	s_add_nc_u64 s[8:9], s[18:19], s[8:9]
	v_lshlrev_b32_e32 v11, 2, v11
	s_cselect_b32 s23, -1, 0
	s_lshl_b64 s[16:17], s[10:11], 1
	s_lshl_b64 s[18:19], s[6:7], 1
	;; [unrolled: 1-line block ×3, first 2 shown]
	s_branch .LBB2_3
.LBB2_2:                                ;   in Loop: Header=BB2_3 Depth=1
	s_wait_xcnt 0x0
	s_or_b32 exec_lo, exec_lo, s2
	s_add_co_i32 s12, s12, 0x10000
	s_delay_alu instid0(SALU_CYCLE_1)
	s_cmp_lt_u32 s12, s3
	s_cbranch_scc0 .LBB2_19
.LBB2_3:                                ; =>This Loop Header: Depth=1
                                        ;     Child Loop BB2_5 Depth 2
	s_wait_dscnt 0x0
	v_dual_mov_b32 v1, 0 :: v_dual_lshlrev_b32 v0, 1, v0
	s_mov_b32 s24, exec_lo
	s_delay_alu instid0(VALU_DEP_1)
	v_cmpx_gt_i32_e64 s22, v0
	s_cbranch_execz .LBB2_7
; %bb.4:                                ;   in Loop: Header=BB2_3 Depth=1
	v_ashrrev_i32_e32 v1, 31, v0
	s_mul_u64 s[26:27], s[16:17], s[12:13]
	s_mul_u64 s[28:29], s[18:19], s[12:13]
	s_add_nc_u64 s[26:27], s[8:9], s[26:27]
	s_add_nc_u64 s[28:29], s[4:5], s[28:29]
	v_lshlrev_b64_e32 v[4:5], 1, v[0:1]
	v_mov_b32_e32 v1, 0
	s_mov_b32 s25, 0
	s_mov_b32 s2, 0
	s_delay_alu instid0(VALU_DEP_2)
	v_add_nc_u64_e32 v[2:3], s[26:27], v[4:5]
	v_add_nc_u64_e32 v[4:5], s[28:29], v[4:5]
.LBB2_5:                                ;   Parent Loop BB2_3 Depth=1
                                        ; =>  This Inner Loop Header: Depth=2
	global_load_b32 v14, v[2:3], off
	global_load_b32 v15, v[4:5], off
	v_add_nc_u32_e32 v0, 0x800, v0
	s_add_co_i32 s26, s2, 1
	s_cmp_gt_u32 s2, 30
	s_wait_xcnt 0x1
	v_add_nc_u64_e32 v[2:3], 0x1000, v[2:3]
	s_cselect_b32 s27, -1, 0
	v_cmp_le_i32_e64 s2, s22, v0
	s_wait_xcnt 0x0
	v_add_nc_u64_e32 v[4:5], 0x1000, v[4:5]
	s_or_b32 s2, s27, s2
	s_delay_alu instid0(SALU_CYCLE_1) | instskip(NEXT) | instid1(SALU_CYCLE_1)
	s_and_b32 s2, exec_lo, s2
	s_or_b32 s25, s2, s25
	s_mov_b32 s2, s26
	s_wait_loadcnt 0x0
	v_pk_mul_f16 v14, v14, v15
	s_delay_alu instid0(VALU_DEP_1) | instskip(SKIP_1) | instid1(VALU_DEP_1)
	v_add_f16_e32 v1, v1, v14
	v_lshrrev_b32_e32 v14, 16, v14
	v_add_f16_e32 v1, v1, v14
	s_and_not1_b32 exec_lo, exec_lo, s25
	s_cbranch_execnz .LBB2_5
; %bb.6:                                ;   in Loop: Header=BB2_3 Depth=1
	s_or_b32 exec_lo, exec_lo, s25
.LBB2_7:                                ;   in Loop: Header=BB2_3 Depth=1
	s_delay_alu instid0(SALU_CYCLE_1) | instskip(SKIP_2) | instid1(SALU_CYCLE_1)
	s_or_b32 exec_lo, exec_lo, s24
	v_cmp_eq_u32_e64 s2, s22, v0
	s_and_b32 s24, s23, s2
	s_and_saveexec_b32 s2, s24
	s_cbranch_execz .LBB2_9
; %bb.8:                                ;   in Loop: Header=BB2_3 Depth=1
	s_mul_u64 s[24:25], s[10:11], s[12:13]
	s_mul_u64 s[26:27], s[6:7], s[12:13]
	s_lshl_b64 s[24:25], s[24:25], 1
	s_lshl_b64 s[26:27], s[26:27], 1
	s_add_nc_u64 s[24:25], s[8:9], s[24:25]
	s_add_nc_u64 s[26:27], s[4:5], s[26:27]
	;; [unrolled: 1-line block ×4, first 2 shown]
	s_clause 0x1
	global_load_u16 v2, v13, s[24:25] offset:-2
	global_load_u16 v3, v13, s[26:27] offset:-2
	s_wait_loadcnt 0x0
	v_fmac_f16_e32 v1, v2, v3
.LBB2_9:                                ;   in Loop: Header=BB2_3 Depth=1
	s_wait_xcnt 0x0
	s_or_b32 exec_lo, exec_lo, s2
	s_and_saveexec_b32 s2, vcc_lo
; %bb.10:                               ;   in Loop: Header=BB2_3 Depth=1
	ds_store_b16 v6, v13
; %bb.11:                               ;   in Loop: Header=BB2_3 Depth=1
	s_or_b32 exec_lo, exec_lo, s2
	v_and_b32_e32 v2, 0xffff, v1
	s_wait_dscnt 0x0
	s_barrier_signal -1
	s_barrier_wait -1
	ds_bpermute_b32 v2, v7, v2
	s_wait_dscnt 0x0
	v_add_f16_e32 v1, v1, v2
	s_delay_alu instid0(VALU_DEP_1) | instskip(NEXT) | instid1(VALU_DEP_1)
	v_and_b32_e32 v3, 0xffff, v1
	v_and_or_b32 v2, 0xffff0000, v2, v3
	ds_bpermute_b32 v2, v8, v2
	s_wait_dscnt 0x0
	v_add_f16_e32 v1, v1, v2
	s_delay_alu instid0(VALU_DEP_1) | instskip(NEXT) | instid1(VALU_DEP_1)
	v_and_b32_e32 v3, 0xffff, v1
	v_and_or_b32 v2, 0xffff0000, v2, v3
	;; [unrolled: 6-line block ×4, first 2 shown]
	ds_bpermute_b32 v2, v11, v2
	s_and_saveexec_b32 s2, s0
	s_cbranch_execz .LBB2_13
; %bb.12:                               ;   in Loop: Header=BB2_3 Depth=1
	s_wait_dscnt 0x0
	v_add_f16_e32 v1, v1, v2
	ds_store_b16 v12, v1
.LBB2_13:                               ;   in Loop: Header=BB2_3 Depth=1
	s_or_b32 exec_lo, exec_lo, s2
	v_mov_b32_e32 v1, 0
	s_wait_dscnt 0x0
	s_barrier_signal -1
	s_barrier_wait -1
	s_and_saveexec_b32 s2, vcc_lo
	s_cbranch_execnz .LBB2_16
; %bb.14:                               ;   in Loop: Header=BB2_3 Depth=1
	s_or_b32 exec_lo, exec_lo, s2
	s_and_saveexec_b32 s2, vcc_lo
	s_cbranch_execnz .LBB2_17
.LBB2_15:                               ;   in Loop: Header=BB2_3 Depth=1
	s_or_b32 exec_lo, exec_lo, s2
	s_and_saveexec_b32 s2, s1
	s_cbranch_execz .LBB2_2
	s_branch .LBB2_18
.LBB2_16:                               ;   in Loop: Header=BB2_3 Depth=1
	ds_load_u16 v1, v6
	s_or_b32 exec_lo, exec_lo, s2
	s_and_saveexec_b32 s2, vcc_lo
	s_cbranch_execz .LBB2_15
.LBB2_17:                               ;   in Loop: Header=BB2_3 Depth=1
	s_wait_dscnt 0x0
	v_and_b32_e32 v2, 0xffff, v1
	ds_bpermute_b32 v2, v7, v2
	s_wait_dscnt 0x0
	v_add_f16_e32 v1, v1, v2
	s_delay_alu instid0(VALU_DEP_1) | instskip(NEXT) | instid1(VALU_DEP_1)
	v_and_b32_e32 v3, 0xffff, v1
	v_and_or_b32 v2, 0xffff0000, v2, v3
	ds_bpermute_b32 v2, v8, v2
	s_wait_dscnt 0x0
	v_add_f16_e32 v1, v1, v2
	s_delay_alu instid0(VALU_DEP_1) | instskip(NEXT) | instid1(VALU_DEP_1)
	v_and_b32_e32 v3, 0xffff, v1
	v_and_or_b32 v2, 0xffff0000, v2, v3
	;; [unrolled: 6-line block ×4, first 2 shown]
	ds_bpermute_b32 v2, v11, v2
	s_wait_dscnt 0x0
	v_add_f16_e32 v1, v1, v2
	s_or_b32 exec_lo, exec_lo, s2
	s_and_saveexec_b32 s2, s1
	s_cbranch_execz .LBB2_2
.LBB2_18:                               ;   in Loop: Header=BB2_3 Depth=1
	s_lshl_b64 s[24:25], s[12:13], 1
	s_delay_alu instid0(SALU_CYCLE_1)
	s_add_nc_u64 s[24:25], s[14:15], s[24:25]
	s_wait_dscnt 0x0
	global_store_b16 v13, v1, s[24:25]
	s_branch .LBB2_2
.LBB2_19:
	s_endpgm
	.section	.rodata,"a",@progbits
	.p2align	6, 0x0
	.amdhsa_kernel _ZL26rocblas_dot_kernel_inc1by2ILb1ELi1024ELi32ELb0EDF16_PKDF16_DF16_EviT4_llS2_lliPT5_PT3_
		.amdhsa_group_segment_fixed_size 64
		.amdhsa_private_segment_fixed_size 0
		.amdhsa_kernarg_size 80
		.amdhsa_user_sgpr_count 2
		.amdhsa_user_sgpr_dispatch_ptr 0
		.amdhsa_user_sgpr_queue_ptr 0
		.amdhsa_user_sgpr_kernarg_segment_ptr 1
		.amdhsa_user_sgpr_dispatch_id 0
		.amdhsa_user_sgpr_kernarg_preload_length 0
		.amdhsa_user_sgpr_kernarg_preload_offset 0
		.amdhsa_user_sgpr_private_segment_size 0
		.amdhsa_wavefront_size32 1
		.amdhsa_uses_dynamic_stack 0
		.amdhsa_enable_private_segment 0
		.amdhsa_system_sgpr_workgroup_id_x 1
		.amdhsa_system_sgpr_workgroup_id_y 0
		.amdhsa_system_sgpr_workgroup_id_z 1
		.amdhsa_system_sgpr_workgroup_info 0
		.amdhsa_system_vgpr_workitem_id 0
		.amdhsa_next_free_vgpr 16
		.amdhsa_next_free_sgpr 30
		.amdhsa_named_barrier_count 0
		.amdhsa_reserve_vcc 1
		.amdhsa_float_round_mode_32 0
		.amdhsa_float_round_mode_16_64 0
		.amdhsa_float_denorm_mode_32 3
		.amdhsa_float_denorm_mode_16_64 3
		.amdhsa_fp16_overflow 0
		.amdhsa_memory_ordered 1
		.amdhsa_forward_progress 1
		.amdhsa_inst_pref_size 10
		.amdhsa_round_robin_scheduling 0
		.amdhsa_exception_fp_ieee_invalid_op 0
		.amdhsa_exception_fp_denorm_src 0
		.amdhsa_exception_fp_ieee_div_zero 0
		.amdhsa_exception_fp_ieee_overflow 0
		.amdhsa_exception_fp_ieee_underflow 0
		.amdhsa_exception_fp_ieee_inexact 0
		.amdhsa_exception_int_div_zero 0
	.end_amdhsa_kernel
	.section	.text._ZL26rocblas_dot_kernel_inc1by2ILb1ELi1024ELi32ELb0EDF16_PKDF16_DF16_EviT4_llS2_lliPT5_PT3_,"axG",@progbits,_ZL26rocblas_dot_kernel_inc1by2ILb1ELi1024ELi32ELb0EDF16_PKDF16_DF16_EviT4_llS2_lliPT5_PT3_,comdat
.Lfunc_end2:
	.size	_ZL26rocblas_dot_kernel_inc1by2ILb1ELi1024ELi32ELb0EDF16_PKDF16_DF16_EviT4_llS2_lliPT5_PT3_, .Lfunc_end2-_ZL26rocblas_dot_kernel_inc1by2ILb1ELi1024ELi32ELb0EDF16_PKDF16_DF16_EviT4_llS2_lliPT5_PT3_
                                        ; -- End function
	.set _ZL26rocblas_dot_kernel_inc1by2ILb1ELi1024ELi32ELb0EDF16_PKDF16_DF16_EviT4_llS2_lliPT5_PT3_.num_vgpr, 16
	.set _ZL26rocblas_dot_kernel_inc1by2ILb1ELi1024ELi32ELb0EDF16_PKDF16_DF16_EviT4_llS2_lliPT5_PT3_.num_agpr, 0
	.set _ZL26rocblas_dot_kernel_inc1by2ILb1ELi1024ELi32ELb0EDF16_PKDF16_DF16_EviT4_llS2_lliPT5_PT3_.numbered_sgpr, 30
	.set _ZL26rocblas_dot_kernel_inc1by2ILb1ELi1024ELi32ELb0EDF16_PKDF16_DF16_EviT4_llS2_lliPT5_PT3_.num_named_barrier, 0
	.set _ZL26rocblas_dot_kernel_inc1by2ILb1ELi1024ELi32ELb0EDF16_PKDF16_DF16_EviT4_llS2_lliPT5_PT3_.private_seg_size, 0
	.set _ZL26rocblas_dot_kernel_inc1by2ILb1ELi1024ELi32ELb0EDF16_PKDF16_DF16_EviT4_llS2_lliPT5_PT3_.uses_vcc, 1
	.set _ZL26rocblas_dot_kernel_inc1by2ILb1ELi1024ELi32ELb0EDF16_PKDF16_DF16_EviT4_llS2_lliPT5_PT3_.uses_flat_scratch, 0
	.set _ZL26rocblas_dot_kernel_inc1by2ILb1ELi1024ELi32ELb0EDF16_PKDF16_DF16_EviT4_llS2_lliPT5_PT3_.has_dyn_sized_stack, 0
	.set _ZL26rocblas_dot_kernel_inc1by2ILb1ELi1024ELi32ELb0EDF16_PKDF16_DF16_EviT4_llS2_lliPT5_PT3_.has_recursion, 0
	.set _ZL26rocblas_dot_kernel_inc1by2ILb1ELi1024ELi32ELb0EDF16_PKDF16_DF16_EviT4_llS2_lliPT5_PT3_.has_indirect_call, 0
	.section	.AMDGPU.csdata,"",@progbits
; Kernel info:
; codeLenInByte = 1220
; TotalNumSgprs: 32
; NumVgprs: 16
; ScratchSize: 0
; MemoryBound: 0
; FloatMode: 240
; IeeeMode: 1
; LDSByteSize: 64 bytes/workgroup (compile time only)
; SGPRBlocks: 0
; VGPRBlocks: 0
; NumSGPRsForWavesPerEU: 32
; NumVGPRsForWavesPerEU: 16
; NamedBarCnt: 0
; Occupancy: 16
; WaveLimiterHint : 0
; COMPUTE_PGM_RSRC2:SCRATCH_EN: 0
; COMPUTE_PGM_RSRC2:USER_SGPR: 2
; COMPUTE_PGM_RSRC2:TRAP_HANDLER: 0
; COMPUTE_PGM_RSRC2:TGID_X_EN: 1
; COMPUTE_PGM_RSRC2:TGID_Y_EN: 0
; COMPUTE_PGM_RSRC2:TGID_Z_EN: 1
; COMPUTE_PGM_RSRC2:TIDIG_COMP_CNT: 0
	.section	.text._ZL18rocblas_dot_kernelIiLb1ELi1024ELi32ELb0EDF16_PKDF16_DF16_EviT5_lT_lS2_lS3_liPT6_PT4_,"axG",@progbits,_ZL18rocblas_dot_kernelIiLb1ELi1024ELi32ELb0EDF16_PKDF16_DF16_EviT5_lT_lS2_lS3_liPT6_PT4_,comdat
	.globl	_ZL18rocblas_dot_kernelIiLb1ELi1024ELi32ELb0EDF16_PKDF16_DF16_EviT5_lT_lS2_lS3_liPT6_PT4_ ; -- Begin function _ZL18rocblas_dot_kernelIiLb1ELi1024ELi32ELb0EDF16_PKDF16_DF16_EviT5_lT_lS2_lS3_liPT6_PT4_
	.p2align	8
	.type	_ZL18rocblas_dot_kernelIiLb1ELi1024ELi32ELb0EDF16_PKDF16_DF16_EviT5_lT_lS2_lS3_liPT6_PT4_,@function
_ZL18rocblas_dot_kernelIiLb1ELi1024ELi32ELb0EDF16_PKDF16_DF16_EviT5_lT_lS2_lS3_liPT6_PT4_: ; @_ZL18rocblas_dot_kernelIiLb1ELi1024ELi32ELb0EDF16_PKDF16_DF16_EviT5_lT_lS2_lS3_liPT6_PT4_
; %bb.0:
	s_load_b32 s3, s[0:1], 0x48
	s_bfe_u32 s2, ttmp6, 0x40014
	s_lshr_b32 s4, ttmp7, 16
	s_add_co_i32 s2, s2, 1
	s_bfe_u32 s5, ttmp6, 0x40008
	s_mul_i32 s2, s4, s2
	s_getreg_b32 s6, hwreg(HW_REG_IB_STS2, 6, 4)
	s_add_co_i32 s5, s5, s2
	s_cmp_eq_u32 s6, 0
	s_mov_b32 s17, 0
	s_cselect_b32 s16, s4, s5
	s_wait_kmcnt 0x0
	s_cmp_ge_u32 s16, s3
	s_cbranch_scc1 .LBB3_17
; %bb.1:
	v_mbcnt_lo_u32_b32 v3, -1, 0
	s_clause 0x6
	s_load_b32 s24, s[0:1], 0x18
	s_load_b96 s[12:14], s[0:1], 0x30
	s_load_b96 s[8:10], s[0:1], 0x58
	s_load_b128 s[4:7], s[0:1], 0x20
	s_load_b128 s[20:23], s[0:1], 0x8
	s_load_b32 s26, s[0:1], 0x0
	s_load_b64 s[28:29], s[0:1], 0x40
	v_and_b32_e32 v2, 31, v0
	s_wait_xcnt 0x0
	v_cmp_eq_u32_e64 s1, 0, v0
	v_cmp_gt_u32_e64 s0, 24, v3
	v_lshl_or_b32 v6, v3, 2, 64
	v_cmp_gt_u32_e32 vcc_lo, 32, v0
	v_mov_b32_e32 v12, 0
	s_delay_alu instid0(VALU_DEP_4) | instskip(SKIP_1) | instid1(VALU_DEP_2)
	v_cndmask_b32_e64 v4, 0, 8, s0
	v_cmp_gt_u32_e64 s0, 28, v3
	v_add_lshl_u32 v7, v4, v3, 2
	s_delay_alu instid0(VALU_DEP_2)
	v_cndmask_b32_e64 v5, 0, 4, s0
	v_cmp_gt_u32_e64 s0, 30, v3
	v_lshrrev_b32_e32 v4, 4, v0
	s_wait_kmcnt 0x0
	s_ashr_i32 s25, s24, 31
	s_lshl_b32 s10, s10, 10
	s_ashr_i32 s31, s14, 31
	v_cndmask_b32_e64 v9, 0, 2, s0
	v_cmp_ne_u32_e64 s0, 31, v3
	s_mov_b32 s30, s14
	s_lshl_b64 s[14:15], s[22:23], 1
	s_ashr_i32 s11, s10, 31
	v_dual_lshlrev_b32 v1, 1, v2 :: v_dual_bitop2_b32 v11, 62, v4 bitop3:0x40
	v_add_co_ci_u32_e64 v10, null, 0, v3, s0
	v_add_lshl_u32 v8, v5, v3, 2
	v_add_lshl_u32 v9, v9, v3, 2
	v_cmp_eq_u32_e64 s0, 0, v2
	s_delay_alu instid0(VALU_DEP_4)
	v_lshlrev_b32_e32 v10, 2, v10
	s_add_nc_u64 s[14:15], s[20:21], s[14:15]
	s_lshl_b64 s[18:19], s[24:25], 1
	s_mul_u64 s[20:21], s[24:25], s[10:11]
	s_lshl_b64 s[22:23], s[12:13], 1
	s_mul_u64 s[24:25], s[30:31], s[10:11]
	s_lshl_b64 s[4:5], s[4:5], 1
	s_lshl_b64 s[12:13], s[20:21], 1
	s_add_nc_u64 s[6:7], s[6:7], s[22:23]
	s_lshl_b64 s[20:21], s[30:31], 1
	s_lshl_b64 s[22:23], s[28:29], 1
	;; [unrolled: 1-line block ×3, first 2 shown]
	s_branch .LBB3_3
.LBB3_2:                                ;   in Loop: Header=BB3_3 Depth=1
	s_wait_xcnt 0x0
	s_or_b32 exec_lo, exec_lo, s2
	s_add_co_i32 s16, s16, 0x10000
	s_delay_alu instid0(SALU_CYCLE_1)
	s_cmp_lt_u32 s16, s3
	s_cbranch_scc0 .LBB3_17
.LBB3_3:                                ; =>This Loop Header: Depth=1
                                        ;     Child Loop BB3_5 Depth 2
	v_mov_b32_e32 v13, 0
	s_mov_b32 s11, exec_lo
	v_cmpx_gt_i32_e64 s26, v0
	s_cbranch_execz .LBB3_7
; %bb.4:                                ;   in Loop: Header=BB3_3 Depth=1
	s_mul_u64 s[28:29], s[4:5], s[16:17]
	s_mul_u64 s[30:31], s[22:23], s[16:17]
	s_add_nc_u64 s[28:29], s[14:15], s[28:29]
	s_add_nc_u64 s[30:31], s[6:7], s[30:31]
	s_wait_dscnt 0x0
	v_mad_nc_u64_u32 v[2:3], s18, v0, s[28:29]
	v_mad_nc_u64_u32 v[4:5], s20, v0, s[30:31]
	v_ashrrev_i32_e32 v13, 31, v0
	s_mov_b32 s27, 0
	s_mov_b32 s28, 0
	s_delay_alu instid0(VALU_DEP_3) | instskip(NEXT) | instid1(VALU_DEP_3)
	v_mad_u32 v3, s19, v0, v3
	v_mad_u32 v5, s21, v0, v5
	s_delay_alu instid0(VALU_DEP_2) | instskip(NEXT) | instid1(VALU_DEP_2)
	v_mad_u32 v3, s18, v13, v3
	v_mad_u32 v5, s20, v13, v5
	v_mov_b32_e32 v13, 0
.LBB3_5:                                ;   Parent Loop BB3_3 Depth=1
                                        ; =>  This Inner Loop Header: Depth=2
	global_load_u16 v14, v[4:5], off
	global_load_u16 v15, v[2:3], off
	v_add_nc_u32_e32 v0, s10, v0
	s_add_co_i32 s29, s28, 1
	s_cmp_gt_u32 s28, 30
	s_wait_xcnt 0x0
	v_add_nc_u64_e32 v[2:3], s[12:13], v[2:3]
	s_cselect_b32 s28, -1, 0
	v_cmp_le_i32_e64 s2, s26, v0
	v_add_nc_u64_e32 v[4:5], s[24:25], v[4:5]
	s_or_b32 s2, s28, s2
	s_mov_b32 s28, s29
	s_and_b32 s2, exec_lo, s2
	s_delay_alu instid0(SALU_CYCLE_1)
	s_or_b32 s27, s2, s27
	s_wait_loadcnt 0x0
	v_fmac_f16_e32 v13, v14, v15
	s_and_not1_b32 exec_lo, exec_lo, s27
	s_cbranch_execnz .LBB3_5
; %bb.6:                                ;   in Loop: Header=BB3_3 Depth=1
	s_or_b32 exec_lo, exec_lo, s27
.LBB3_7:                                ;   in Loop: Header=BB3_3 Depth=1
	s_delay_alu instid0(SALU_CYCLE_1)
	s_or_b32 exec_lo, exec_lo, s11
	s_and_saveexec_b32 s2, vcc_lo
; %bb.8:                                ;   in Loop: Header=BB3_3 Depth=1
	ds_store_b16 v1, v12
; %bb.9:                                ;   in Loop: Header=BB3_3 Depth=1
	s_or_b32 exec_lo, exec_lo, s2
	s_wait_dscnt 0x0
	v_and_b32_e32 v2, 0xffff, v13
	s_wait_dscnt 0x0
	s_barrier_signal -1
	s_barrier_wait -1
	ds_bpermute_b32 v2, v6, v2
	s_wait_dscnt 0x0
	v_add_f16_e32 v3, v13, v2
	s_delay_alu instid0(VALU_DEP_1) | instskip(NEXT) | instid1(VALU_DEP_1)
	v_and_b32_e32 v4, 0xffff, v3
	v_and_or_b32 v2, 0xffff0000, v2, v4
	ds_bpermute_b32 v2, v7, v2
	s_wait_dscnt 0x0
	v_add_f16_e32 v3, v3, v2
	s_delay_alu instid0(VALU_DEP_1) | instskip(NEXT) | instid1(VALU_DEP_1)
	v_and_b32_e32 v4, 0xffff, v3
	v_and_or_b32 v2, 0xffff0000, v2, v4
	;; [unrolled: 6-line block ×4, first 2 shown]
	ds_bpermute_b32 v3, v10, v3
	s_and_saveexec_b32 s2, s0
	s_cbranch_execz .LBB3_11
; %bb.10:                               ;   in Loop: Header=BB3_3 Depth=1
	s_wait_dscnt 0x0
	v_add_f16_e32 v2, v2, v3
	ds_store_b16 v11, v2
.LBB3_11:                               ;   in Loop: Header=BB3_3 Depth=1
	s_or_b32 exec_lo, exec_lo, s2
	v_mov_b32_e32 v2, 0
	s_wait_dscnt 0x0
	s_barrier_signal -1
	s_barrier_wait -1
	s_and_saveexec_b32 s2, vcc_lo
	s_cbranch_execnz .LBB3_14
; %bb.12:                               ;   in Loop: Header=BB3_3 Depth=1
	s_or_b32 exec_lo, exec_lo, s2
	s_and_saveexec_b32 s2, vcc_lo
	s_cbranch_execnz .LBB3_15
.LBB3_13:                               ;   in Loop: Header=BB3_3 Depth=1
	s_or_b32 exec_lo, exec_lo, s2
	s_and_saveexec_b32 s2, s1
	s_cbranch_execz .LBB3_2
	s_branch .LBB3_16
.LBB3_14:                               ;   in Loop: Header=BB3_3 Depth=1
	ds_load_u16 v2, v1
	s_or_b32 exec_lo, exec_lo, s2
	s_and_saveexec_b32 s2, vcc_lo
	s_cbranch_execz .LBB3_13
.LBB3_15:                               ;   in Loop: Header=BB3_3 Depth=1
	s_wait_dscnt 0x0
	v_and_b32_e32 v3, 0xffff, v2
	ds_bpermute_b32 v3, v6, v3
	s_wait_dscnt 0x0
	v_add_f16_e32 v2, v2, v3
	s_delay_alu instid0(VALU_DEP_1) | instskip(NEXT) | instid1(VALU_DEP_1)
	v_and_b32_e32 v4, 0xffff, v2
	v_and_or_b32 v3, 0xffff0000, v3, v4
	ds_bpermute_b32 v3, v7, v3
	s_wait_dscnt 0x0
	v_add_f16_e32 v2, v2, v3
	s_delay_alu instid0(VALU_DEP_1) | instskip(NEXT) | instid1(VALU_DEP_1)
	v_and_b32_e32 v4, 0xffff, v2
	v_and_or_b32 v3, 0xffff0000, v3, v4
	;; [unrolled: 6-line block ×4, first 2 shown]
	ds_bpermute_b32 v3, v10, v3
	s_wait_dscnt 0x0
	v_add_f16_e32 v2, v2, v3
	s_or_b32 exec_lo, exec_lo, s2
	s_and_saveexec_b32 s2, s1
	s_cbranch_execz .LBB3_2
.LBB3_16:                               ;   in Loop: Header=BB3_3 Depth=1
	s_lshl_b64 s[28:29], s[16:17], 1
	s_delay_alu instid0(SALU_CYCLE_1)
	s_add_nc_u64 s[28:29], s[8:9], s[28:29]
	s_wait_dscnt 0x0
	global_store_b16 v12, v2, s[28:29]
	s_branch .LBB3_2
.LBB3_17:
	s_endpgm
	.section	.rodata,"a",@progbits
	.p2align	6, 0x0
	.amdhsa_kernel _ZL18rocblas_dot_kernelIiLb1ELi1024ELi32ELb0EDF16_PKDF16_DF16_EviT5_lT_lS2_lS3_liPT6_PT4_
		.amdhsa_group_segment_fixed_size 64
		.amdhsa_private_segment_fixed_size 0
		.amdhsa_kernarg_size 352
		.amdhsa_user_sgpr_count 2
		.amdhsa_user_sgpr_dispatch_ptr 0
		.amdhsa_user_sgpr_queue_ptr 0
		.amdhsa_user_sgpr_kernarg_segment_ptr 1
		.amdhsa_user_sgpr_dispatch_id 0
		.amdhsa_user_sgpr_kernarg_preload_length 0
		.amdhsa_user_sgpr_kernarg_preload_offset 0
		.amdhsa_user_sgpr_private_segment_size 0
		.amdhsa_wavefront_size32 1
		.amdhsa_uses_dynamic_stack 0
		.amdhsa_enable_private_segment 0
		.amdhsa_system_sgpr_workgroup_id_x 1
		.amdhsa_system_sgpr_workgroup_id_y 0
		.amdhsa_system_sgpr_workgroup_id_z 1
		.amdhsa_system_sgpr_workgroup_info 0
		.amdhsa_system_vgpr_workitem_id 0
		.amdhsa_next_free_vgpr 16
		.amdhsa_next_free_sgpr 32
		.amdhsa_named_barrier_count 0
		.amdhsa_reserve_vcc 1
		.amdhsa_float_round_mode_32 0
		.amdhsa_float_round_mode_16_64 0
		.amdhsa_float_denorm_mode_32 3
		.amdhsa_float_denorm_mode_16_64 3
		.amdhsa_fp16_overflow 0
		.amdhsa_memory_ordered 1
		.amdhsa_forward_progress 1
		.amdhsa_inst_pref_size 10
		.amdhsa_round_robin_scheduling 0
		.amdhsa_exception_fp_ieee_invalid_op 0
		.amdhsa_exception_fp_denorm_src 0
		.amdhsa_exception_fp_ieee_div_zero 0
		.amdhsa_exception_fp_ieee_overflow 0
		.amdhsa_exception_fp_ieee_underflow 0
		.amdhsa_exception_fp_ieee_inexact 0
		.amdhsa_exception_int_div_zero 0
	.end_amdhsa_kernel
	.section	.text._ZL18rocblas_dot_kernelIiLb1ELi1024ELi32ELb0EDF16_PKDF16_DF16_EviT5_lT_lS2_lS3_liPT6_PT4_,"axG",@progbits,_ZL18rocblas_dot_kernelIiLb1ELi1024ELi32ELb0EDF16_PKDF16_DF16_EviT5_lT_lS2_lS3_liPT6_PT4_,comdat
.Lfunc_end3:
	.size	_ZL18rocblas_dot_kernelIiLb1ELi1024ELi32ELb0EDF16_PKDF16_DF16_EviT5_lT_lS2_lS3_liPT6_PT4_, .Lfunc_end3-_ZL18rocblas_dot_kernelIiLb1ELi1024ELi32ELb0EDF16_PKDF16_DF16_EviT5_lT_lS2_lS3_liPT6_PT4_
                                        ; -- End function
	.set _ZL18rocblas_dot_kernelIiLb1ELi1024ELi32ELb0EDF16_PKDF16_DF16_EviT5_lT_lS2_lS3_liPT6_PT4_.num_vgpr, 16
	.set _ZL18rocblas_dot_kernelIiLb1ELi1024ELi32ELb0EDF16_PKDF16_DF16_EviT5_lT_lS2_lS3_liPT6_PT4_.num_agpr, 0
	.set _ZL18rocblas_dot_kernelIiLb1ELi1024ELi32ELb0EDF16_PKDF16_DF16_EviT5_lT_lS2_lS3_liPT6_PT4_.numbered_sgpr, 32
	.set _ZL18rocblas_dot_kernelIiLb1ELi1024ELi32ELb0EDF16_PKDF16_DF16_EviT5_lT_lS2_lS3_liPT6_PT4_.num_named_barrier, 0
	.set _ZL18rocblas_dot_kernelIiLb1ELi1024ELi32ELb0EDF16_PKDF16_DF16_EviT5_lT_lS2_lS3_liPT6_PT4_.private_seg_size, 0
	.set _ZL18rocblas_dot_kernelIiLb1ELi1024ELi32ELb0EDF16_PKDF16_DF16_EviT5_lT_lS2_lS3_liPT6_PT4_.uses_vcc, 1
	.set _ZL18rocblas_dot_kernelIiLb1ELi1024ELi32ELb0EDF16_PKDF16_DF16_EviT5_lT_lS2_lS3_liPT6_PT4_.uses_flat_scratch, 0
	.set _ZL18rocblas_dot_kernelIiLb1ELi1024ELi32ELb0EDF16_PKDF16_DF16_EviT5_lT_lS2_lS3_liPT6_PT4_.has_dyn_sized_stack, 0
	.set _ZL18rocblas_dot_kernelIiLb1ELi1024ELi32ELb0EDF16_PKDF16_DF16_EviT5_lT_lS2_lS3_liPT6_PT4_.has_recursion, 0
	.set _ZL18rocblas_dot_kernelIiLb1ELi1024ELi32ELb0EDF16_PKDF16_DF16_EviT5_lT_lS2_lS3_liPT6_PT4_.has_indirect_call, 0
	.section	.AMDGPU.csdata,"",@progbits
; Kernel info:
; codeLenInByte = 1164
; TotalNumSgprs: 34
; NumVgprs: 16
; ScratchSize: 0
; MemoryBound: 0
; FloatMode: 240
; IeeeMode: 1
; LDSByteSize: 64 bytes/workgroup (compile time only)
; SGPRBlocks: 0
; VGPRBlocks: 0
; NumSGPRsForWavesPerEU: 34
; NumVGPRsForWavesPerEU: 16
; NamedBarCnt: 0
; Occupancy: 16
; WaveLimiterHint : 0
; COMPUTE_PGM_RSRC2:SCRATCH_EN: 0
; COMPUTE_PGM_RSRC2:USER_SGPR: 2
; COMPUTE_PGM_RSRC2:TRAP_HANDLER: 0
; COMPUTE_PGM_RSRC2:TGID_X_EN: 1
; COMPUTE_PGM_RSRC2:TGID_Y_EN: 0
; COMPUTE_PGM_RSRC2:TGID_Z_EN: 1
; COMPUTE_PGM_RSRC2:TIDIG_COMP_CNT: 0
	.section	.text._ZL24rocblas_dot_kernel_magsqIiLb1ELi1024ELi32ELb0EDF16_PKDF16_DF16_EviT5_lT_liPT6_PT4_,"axG",@progbits,_ZL24rocblas_dot_kernel_magsqIiLb1ELi1024ELi32ELb0EDF16_PKDF16_DF16_EviT5_lT_liPT6_PT4_,comdat
	.globl	_ZL24rocblas_dot_kernel_magsqIiLb1ELi1024ELi32ELb0EDF16_PKDF16_DF16_EviT5_lT_liPT6_PT4_ ; -- Begin function _ZL24rocblas_dot_kernel_magsqIiLb1ELi1024ELi32ELb0EDF16_PKDF16_DF16_EviT5_lT_liPT6_PT4_
	.p2align	8
	.type	_ZL24rocblas_dot_kernel_magsqIiLb1ELi1024ELi32ELb0EDF16_PKDF16_DF16_EviT5_lT_liPT6_PT4_,@function
_ZL24rocblas_dot_kernel_magsqIiLb1ELi1024ELi32ELb0EDF16_PKDF16_DF16_EviT5_lT_liPT6_PT4_: ; @_ZL24rocblas_dot_kernel_magsqIiLb1ELi1024ELi32ELb0EDF16_PKDF16_DF16_EviT5_lT_liPT6_PT4_
; %bb.0:
	s_load_b32 s3, s[0:1], 0x28
	s_bfe_u32 s2, ttmp6, 0x40014
	s_lshr_b32 s4, ttmp7, 16
	s_add_co_i32 s2, s2, 1
	s_bfe_u32 s5, ttmp6, 0x40008
	s_mul_i32 s2, s4, s2
	s_getreg_b32 s6, hwreg(HW_REG_IB_STS2, 6, 4)
	s_add_co_i32 s5, s5, s2
	s_cmp_eq_u32 s6, 0
	s_mov_b32 s9, 0
	s_cselect_b32 s8, s4, s5
	s_wait_kmcnt 0x0
	s_cmp_ge_u32 s8, s3
	s_cbranch_scc1 .LBB4_17
; %bb.1:
	v_mbcnt_lo_u32_b32 v3, -1, 0
	s_clause 0x4
	s_load_b32 s16, s[0:1], 0x18
	s_load_b96 s[4:6], s[0:1], 0x38
	s_load_b128 s[12:15], s[0:1], 0x8
	s_load_b64 s[20:21], s[0:1], 0x20
	s_load_b32 s18, s[0:1], 0x0
	v_dual_lshrrev_b32 v9, 4, v0 :: v_dual_bitop2_b32 v2, 31, v0 bitop3:0x40
	s_wait_xcnt 0x0
	v_cmp_gt_u32_e64 s0, 24, v3
	v_lshl_or_b32 v4, v3, 2, 64
	v_cmp_eq_u32_e64 s1, 0, v0
	v_dual_mov_b32 v10, 0 :: v_dual_bitop2_b32 v9, 62, v9 bitop3:0x40
	s_delay_alu instid0(VALU_DEP_4) | instskip(SKIP_2) | instid1(VALU_DEP_3)
	v_cndmask_b32_e64 v5, 0, 8, s0
	v_cmp_gt_u32_e64 s0, 28, v3
	v_cmp_gt_u32_e32 vcc_lo, 32, v0
	v_add_lshl_u32 v5, v5, v3, 2
	s_delay_alu instid0(VALU_DEP_3)
	v_cndmask_b32_e64 v6, 0, 4, s0
	v_cmp_gt_u32_e64 s0, 30, v3
	s_wait_kmcnt 0x0
	s_lshl_b64 s[10:11], s[14:15], 1
	s_lshl_b32 s6, s6, 10
	v_cndmask_b32_e64 v7, 0, 2, s0
	v_cmp_ne_u32_e64 s0, 31, v3
	s_ashr_i32 s17, s16, 31
	s_ashr_i32 s7, s6, 31
	v_add_lshl_u32 v6, v6, v3, 2
	v_add_lshl_u32 v7, v7, v3, 2
	v_add_co_ci_u32_e64 v8, null, 0, v3, s0
	v_lshlrev_b32_e32 v1, 1, v2
	v_cmp_eq_u32_e64 s0, 0, v2
	s_add_nc_u64 s[10:11], s[12:13], s[10:11]
	v_lshlrev_b32_e32 v8, 2, v8
	s_lshl_b64 s[12:13], s[16:17], 1
	s_mul_u64 s[16:17], s[16:17], s[6:7]
	s_lshl_b64 s[14:15], s[20:21], 1
	s_lshl_b64 s[16:17], s[16:17], 1
	s_branch .LBB4_3
.LBB4_2:                                ;   in Loop: Header=BB4_3 Depth=1
	s_wait_xcnt 0x0
	s_or_b32 exec_lo, exec_lo, s2
	s_add_co_i32 s8, s8, 0x10000
	s_delay_alu instid0(SALU_CYCLE_1)
	s_cmp_lt_u32 s8, s3
	s_cbranch_scc0 .LBB4_17
.LBB4_3:                                ; =>This Loop Header: Depth=1
                                        ;     Child Loop BB4_5 Depth 2
	v_mov_b32_e32 v11, 0
	s_mov_b32 s7, exec_lo
	v_cmpx_gt_i32_e64 s18, v0
	s_cbranch_execz .LBB4_7
; %bb.4:                                ;   in Loop: Header=BB4_3 Depth=1
	s_mul_u64 s[20:21], s[14:15], s[8:9]
	v_ashrrev_i32_e32 v11, 31, v0
	s_add_nc_u64 s[20:21], s[10:11], s[20:21]
	s_mov_b32 s19, 0
	s_wait_dscnt 0x0
	v_mad_nc_u64_u32 v[2:3], s12, v0, s[20:21]
	s_mov_b32 s20, 0
	s_delay_alu instid0(VALU_DEP_1) | instskip(NEXT) | instid1(VALU_DEP_1)
	v_mad_u32 v3, s13, v0, v3
	v_mad_u32 v3, s12, v11, v3
	v_mov_b32_e32 v11, 0
.LBB4_5:                                ;   Parent Loop BB4_3 Depth=1
                                        ; =>  This Inner Loop Header: Depth=2
	global_load_u16 v12, v[2:3], off
	v_add_nc_u32_e32 v0, s6, v0
	s_add_co_i32 s21, s20, 1
	s_cmp_gt_u32 s20, 30
	s_wait_xcnt 0x0
	v_add_nc_u64_e32 v[2:3], s[16:17], v[2:3]
	s_cselect_b32 s20, -1, 0
	v_cmp_le_i32_e64 s2, s18, v0
	s_or_b32 s2, s20, s2
	s_mov_b32 s20, s21
	s_and_b32 s2, exec_lo, s2
	s_delay_alu instid0(SALU_CYCLE_1)
	s_or_b32 s19, s2, s19
	s_wait_loadcnt 0x0
	v_fmac_f16_e32 v11, v12, v12
	s_and_not1_b32 exec_lo, exec_lo, s19
	s_cbranch_execnz .LBB4_5
; %bb.6:                                ;   in Loop: Header=BB4_3 Depth=1
	s_or_b32 exec_lo, exec_lo, s19
.LBB4_7:                                ;   in Loop: Header=BB4_3 Depth=1
	s_delay_alu instid0(SALU_CYCLE_1)
	s_or_b32 exec_lo, exec_lo, s7
	s_and_saveexec_b32 s2, vcc_lo
; %bb.8:                                ;   in Loop: Header=BB4_3 Depth=1
	ds_store_b16 v1, v10
; %bb.9:                                ;   in Loop: Header=BB4_3 Depth=1
	s_or_b32 exec_lo, exec_lo, s2
	s_wait_dscnt 0x0
	v_and_b32_e32 v2, 0xffff, v11
	s_wait_dscnt 0x0
	s_barrier_signal -1
	s_barrier_wait -1
	ds_bpermute_b32 v2, v4, v2
	s_wait_dscnt 0x0
	v_add_f16_e32 v3, v11, v2
	s_delay_alu instid0(VALU_DEP_1) | instskip(NEXT) | instid1(VALU_DEP_1)
	v_and_b32_e32 v11, 0xffff, v3
	v_and_or_b32 v2, 0xffff0000, v2, v11
	ds_bpermute_b32 v2, v5, v2
	s_wait_dscnt 0x0
	v_add_f16_e32 v3, v3, v2
	s_delay_alu instid0(VALU_DEP_1) | instskip(NEXT) | instid1(VALU_DEP_1)
	v_and_b32_e32 v11, 0xffff, v3
	v_and_or_b32 v2, 0xffff0000, v2, v11
	;; [unrolled: 6-line block ×4, first 2 shown]
	ds_bpermute_b32 v3, v8, v3
	s_and_saveexec_b32 s2, s0
	s_cbranch_execz .LBB4_11
; %bb.10:                               ;   in Loop: Header=BB4_3 Depth=1
	s_wait_dscnt 0x0
	v_add_f16_e32 v2, v2, v3
	ds_store_b16 v9, v2
.LBB4_11:                               ;   in Loop: Header=BB4_3 Depth=1
	s_or_b32 exec_lo, exec_lo, s2
	v_mov_b32_e32 v2, 0
	s_wait_dscnt 0x0
	s_barrier_signal -1
	s_barrier_wait -1
	s_and_saveexec_b32 s2, vcc_lo
	s_cbranch_execnz .LBB4_14
; %bb.12:                               ;   in Loop: Header=BB4_3 Depth=1
	s_or_b32 exec_lo, exec_lo, s2
	s_and_saveexec_b32 s2, vcc_lo
	s_cbranch_execnz .LBB4_15
.LBB4_13:                               ;   in Loop: Header=BB4_3 Depth=1
	s_or_b32 exec_lo, exec_lo, s2
	s_and_saveexec_b32 s2, s1
	s_cbranch_execz .LBB4_2
	s_branch .LBB4_16
.LBB4_14:                               ;   in Loop: Header=BB4_3 Depth=1
	ds_load_u16 v2, v1
	s_or_b32 exec_lo, exec_lo, s2
	s_and_saveexec_b32 s2, vcc_lo
	s_cbranch_execz .LBB4_13
.LBB4_15:                               ;   in Loop: Header=BB4_3 Depth=1
	s_wait_dscnt 0x0
	v_and_b32_e32 v3, 0xffff, v2
	ds_bpermute_b32 v3, v4, v3
	s_wait_dscnt 0x0
	v_add_f16_e32 v2, v2, v3
	s_delay_alu instid0(VALU_DEP_1) | instskip(NEXT) | instid1(VALU_DEP_1)
	v_and_b32_e32 v11, 0xffff, v2
	v_and_or_b32 v3, 0xffff0000, v3, v11
	ds_bpermute_b32 v3, v5, v3
	s_wait_dscnt 0x0
	v_add_f16_e32 v2, v2, v3
	s_delay_alu instid0(VALU_DEP_1) | instskip(NEXT) | instid1(VALU_DEP_1)
	v_and_b32_e32 v11, 0xffff, v2
	v_and_or_b32 v3, 0xffff0000, v3, v11
	;; [unrolled: 6-line block ×4, first 2 shown]
	ds_bpermute_b32 v3, v8, v3
	s_wait_dscnt 0x0
	v_add_f16_e32 v2, v2, v3
	s_or_b32 exec_lo, exec_lo, s2
	s_and_saveexec_b32 s2, s1
	s_cbranch_execz .LBB4_2
.LBB4_16:                               ;   in Loop: Header=BB4_3 Depth=1
	s_lshl_b64 s[20:21], s[8:9], 1
	s_delay_alu instid0(SALU_CYCLE_1)
	s_add_nc_u64 s[20:21], s[4:5], s[20:21]
	s_wait_dscnt 0x0
	global_store_b16 v10, v2, s[20:21]
	s_branch .LBB4_2
.LBB4_17:
	s_endpgm
	.section	.rodata,"a",@progbits
	.p2align	6, 0x0
	.amdhsa_kernel _ZL24rocblas_dot_kernel_magsqIiLb1ELi1024ELi32ELb0EDF16_PKDF16_DF16_EviT5_lT_liPT6_PT4_
		.amdhsa_group_segment_fixed_size 64
		.amdhsa_private_segment_fixed_size 0
		.amdhsa_kernarg_size 320
		.amdhsa_user_sgpr_count 2
		.amdhsa_user_sgpr_dispatch_ptr 0
		.amdhsa_user_sgpr_queue_ptr 0
		.amdhsa_user_sgpr_kernarg_segment_ptr 1
		.amdhsa_user_sgpr_dispatch_id 0
		.amdhsa_user_sgpr_kernarg_preload_length 0
		.amdhsa_user_sgpr_kernarg_preload_offset 0
		.amdhsa_user_sgpr_private_segment_size 0
		.amdhsa_wavefront_size32 1
		.amdhsa_uses_dynamic_stack 0
		.amdhsa_enable_private_segment 0
		.amdhsa_system_sgpr_workgroup_id_x 1
		.amdhsa_system_sgpr_workgroup_id_y 0
		.amdhsa_system_sgpr_workgroup_id_z 1
		.amdhsa_system_sgpr_workgroup_info 0
		.amdhsa_system_vgpr_workitem_id 0
		.amdhsa_next_free_vgpr 13
		.amdhsa_next_free_sgpr 22
		.amdhsa_named_barrier_count 0
		.amdhsa_reserve_vcc 1
		.amdhsa_float_round_mode_32 0
		.amdhsa_float_round_mode_16_64 0
		.amdhsa_float_denorm_mode_32 3
		.amdhsa_float_denorm_mode_16_64 3
		.amdhsa_fp16_overflow 0
		.amdhsa_memory_ordered 1
		.amdhsa_forward_progress 1
		.amdhsa_inst_pref_size 9
		.amdhsa_round_robin_scheduling 0
		.amdhsa_exception_fp_ieee_invalid_op 0
		.amdhsa_exception_fp_denorm_src 0
		.amdhsa_exception_fp_ieee_div_zero 0
		.amdhsa_exception_fp_ieee_overflow 0
		.amdhsa_exception_fp_ieee_underflow 0
		.amdhsa_exception_fp_ieee_inexact 0
		.amdhsa_exception_int_div_zero 0
	.end_amdhsa_kernel
	.section	.text._ZL24rocblas_dot_kernel_magsqIiLb1ELi1024ELi32ELb0EDF16_PKDF16_DF16_EviT5_lT_liPT6_PT4_,"axG",@progbits,_ZL24rocblas_dot_kernel_magsqIiLb1ELi1024ELi32ELb0EDF16_PKDF16_DF16_EviT5_lT_liPT6_PT4_,comdat
.Lfunc_end4:
	.size	_ZL24rocblas_dot_kernel_magsqIiLb1ELi1024ELi32ELb0EDF16_PKDF16_DF16_EviT5_lT_liPT6_PT4_, .Lfunc_end4-_ZL24rocblas_dot_kernel_magsqIiLb1ELi1024ELi32ELb0EDF16_PKDF16_DF16_EviT5_lT_liPT6_PT4_
                                        ; -- End function
	.set _ZL24rocblas_dot_kernel_magsqIiLb1ELi1024ELi32ELb0EDF16_PKDF16_DF16_EviT5_lT_liPT6_PT4_.num_vgpr, 13
	.set _ZL24rocblas_dot_kernel_magsqIiLb1ELi1024ELi32ELb0EDF16_PKDF16_DF16_EviT5_lT_liPT6_PT4_.num_agpr, 0
	.set _ZL24rocblas_dot_kernel_magsqIiLb1ELi1024ELi32ELb0EDF16_PKDF16_DF16_EviT5_lT_liPT6_PT4_.numbered_sgpr, 22
	.set _ZL24rocblas_dot_kernel_magsqIiLb1ELi1024ELi32ELb0EDF16_PKDF16_DF16_EviT5_lT_liPT6_PT4_.num_named_barrier, 0
	.set _ZL24rocblas_dot_kernel_magsqIiLb1ELi1024ELi32ELb0EDF16_PKDF16_DF16_EviT5_lT_liPT6_PT4_.private_seg_size, 0
	.set _ZL24rocblas_dot_kernel_magsqIiLb1ELi1024ELi32ELb0EDF16_PKDF16_DF16_EviT5_lT_liPT6_PT4_.uses_vcc, 1
	.set _ZL24rocblas_dot_kernel_magsqIiLb1ELi1024ELi32ELb0EDF16_PKDF16_DF16_EviT5_lT_liPT6_PT4_.uses_flat_scratch, 0
	.set _ZL24rocblas_dot_kernel_magsqIiLb1ELi1024ELi32ELb0EDF16_PKDF16_DF16_EviT5_lT_liPT6_PT4_.has_dyn_sized_stack, 0
	.set _ZL24rocblas_dot_kernel_magsqIiLb1ELi1024ELi32ELb0EDF16_PKDF16_DF16_EviT5_lT_liPT6_PT4_.has_recursion, 0
	.set _ZL24rocblas_dot_kernel_magsqIiLb1ELi1024ELi32ELb0EDF16_PKDF16_DF16_EviT5_lT_liPT6_PT4_.has_indirect_call, 0
	.section	.AMDGPU.csdata,"",@progbits
; Kernel info:
; codeLenInByte = 1064
; TotalNumSgprs: 24
; NumVgprs: 13
; ScratchSize: 0
; MemoryBound: 0
; FloatMode: 240
; IeeeMode: 1
; LDSByteSize: 64 bytes/workgroup (compile time only)
; SGPRBlocks: 0
; VGPRBlocks: 0
; NumSGPRsForWavesPerEU: 24
; NumVGPRsForWavesPerEU: 13
; NamedBarCnt: 0
; Occupancy: 16
; WaveLimiterHint : 0
; COMPUTE_PGM_RSRC2:SCRATCH_EN: 0
; COMPUTE_PGM_RSRC2:USER_SGPR: 2
; COMPUTE_PGM_RSRC2:TRAP_HANDLER: 0
; COMPUTE_PGM_RSRC2:TGID_X_EN: 1
; COMPUTE_PGM_RSRC2:TGID_Y_EN: 0
; COMPUTE_PGM_RSRC2:TGID_Z_EN: 1
; COMPUTE_PGM_RSRC2:TIDIG_COMP_CNT: 0
	.section	.text._ZL23rocblas_dot_kernel_inc1ILb0ELi512ELi8ELb0EDF16_PKDF16_DF16_EviT4_llS2_lliPT5_PT3_,"axG",@progbits,_ZL23rocblas_dot_kernel_inc1ILb0ELi512ELi8ELb0EDF16_PKDF16_DF16_EviT4_llS2_lliPT5_PT3_,comdat
	.globl	_ZL23rocblas_dot_kernel_inc1ILb0ELi512ELi8ELb0EDF16_PKDF16_DF16_EviT4_llS2_lliPT5_PT3_ ; -- Begin function _ZL23rocblas_dot_kernel_inc1ILb0ELi512ELi8ELb0EDF16_PKDF16_DF16_EviT4_llS2_lliPT5_PT3_
	.p2align	8
	.type	_ZL23rocblas_dot_kernel_inc1ILb0ELi512ELi8ELb0EDF16_PKDF16_DF16_EviT4_llS2_lliPT5_PT3_,@function
_ZL23rocblas_dot_kernel_inc1ILb0ELi512ELi8ELb0EDF16_PKDF16_DF16_EviT4_llS2_lliPT5_PT3_: ; @_ZL23rocblas_dot_kernel_inc1ILb0ELi512ELi8ELb0EDF16_PKDF16_DF16_EviT4_llS2_lliPT5_PT3_
; %bb.0:
	s_load_b32 s28, s[0:1], 0x38
	s_bfe_u32 s2, ttmp6, 0x40014
	s_lshr_b32 s3, ttmp7, 16
	s_add_co_i32 s2, s2, 1
	s_bfe_u32 s5, ttmp6, 0x40008
	s_mul_i32 s4, s3, s2
	s_getreg_b32 s2, hwreg(HW_REG_IB_STS2, 6, 4)
	s_add_co_i32 s5, s5, s4
	s_cmp_eq_u32 s2, 0
	s_mov_b32 s17, 0
	s_cselect_b32 s16, s3, s5
	s_wait_kmcnt 0x0
	s_cmp_ge_u32 s16, s28
	s_cbranch_scc1 .LBB5_20
; %bb.1:
	v_mbcnt_lo_u32_b32 v3, -1, 0
	s_clause 0x6
	s_load_b32 s18, s[0:1], 0x50
	s_load_b64 s[22:23], s[0:1], 0x8
	s_load_b32 s29, s[0:1], 0x0
	s_load_b64 s[24:25], s[0:1], 0x20
	s_load_b128 s[8:11], s[0:1], 0x10
	s_load_b128 s[4:7], s[0:1], 0x40
	;; [unrolled: 1-line block ×3, first 2 shown]
	s_wait_xcnt 0x0
	s_bfe_u32 s0, ttmp6, 0x4000c
	s_and_b32 s1, ttmp6, 15
	s_add_co_i32 s3, s0, 1
	v_cmp_gt_u32_e32 vcc_lo, 24, v3
	s_mul_i32 s3, ttmp9, s3
	v_dual_lshrrev_b32 v10, 4, v0 :: v_dual_bitop2_b32 v1, 31, v0 bitop3:0x40
	s_add_co_i32 s1, s1, s3
	v_cndmask_b32_e64 v6, 0, 8, vcc_lo
	v_cmp_gt_u32_e32 vcc_lo, 28, v3
	s_cmp_eq_u32 s2, 0
	s_mov_b32 s27, s17
	s_cselect_b32 s26, ttmp9, s1
	s_wait_kmcnt 0x0
	s_cmp_lg_u32 s18, 1
	v_cndmask_b32_e64 v7, 0, 4, vcc_lo
	v_cmp_gt_u32_e32 vcc_lo, 30, v3
	s_cselect_b32 s30, -1, 0
	s_lshl_b32 s20, s18, 9
	v_cmp_gt_u32_e64 s0, 32, v0
	s_lshl_b64 s[12:13], s[12:13], 1
	v_cndmask_b32_e64 v8, 0, 2, vcc_lo
	v_cmp_ne_u32_e32 vcc_lo, 31, v3
	v_dual_lshlrev_b32 v4, 1, v1 :: v_dual_bitop2_b32 v10, 30, v10 bitop3:0x40
	v_lshl_or_b32 v2, s26, 9, v0
	v_lshl_or_b32 v5, v3, 2, 64
	v_add_co_ci_u32_e64 v9, null, 0, v3, vcc_lo
	v_add_lshl_u32 v6, v6, v3, 2
	v_add_lshl_u32 v7, v7, v3, 2
	;; [unrolled: 1-line block ×3, first 2 shown]
	s_delay_alu instid0(VALU_DEP_4)
	v_dual_lshlrev_b32 v9, 2, v9 :: v_dual_mov_b32 v11, 0
	v_cmp_eq_u32_e64 s1, 0, v1
	v_cmp_gt_u32_e64 s2, 16, v0
	v_cmp_eq_u32_e64 s3, 0, v0
	s_lshl_b64 s[26:27], s[26:27], 1
	s_add_nc_u64 s[12:13], s[24:25], s[12:13]
	s_ashr_i32 s21, s20, 31
	s_lshl_b64 s[24:25], s[8:9], 1
	s_mov_b32 s19, s17
	s_add_nc_u64 s[4:5], s[4:5], s[26:27]
	s_lshl_b64 s[14:15], s[14:15], 1
	s_lshl_b64 s[8:9], s[20:21], 1
	s_add_nc_u64 s[22:23], s[22:23], s[24:25]
	s_lshl_b64 s[10:11], s[10:11], 1
	s_branch .LBB5_3
.LBB5_2:                                ;   in Loop: Header=BB5_3 Depth=1
	s_wait_xcnt 0x0
	s_or_b32 exec_lo, exec_lo, s21
	s_add_co_i32 s16, s16, 0x10000
	s_delay_alu instid0(SALU_CYCLE_1)
	s_cmp_lt_u32 s16, s28
	s_cbranch_scc0 .LBB5_20
.LBB5_3:                                ; =>This Loop Header: Depth=1
                                        ;     Child Loop BB5_5 Depth 2
	v_mov_b32_e32 v3, 0
	s_mov_b32 s21, exec_lo
	v_cmpx_gt_i32_e64 s29, v2
	s_cbranch_execz .LBB5_7
; %bb.4:                                ;   in Loop: Header=BB5_3 Depth=1
	v_ashrrev_i32_e32 v3, 31, v2
	s_mul_u64 s[24:25], s[14:15], s[16:17]
	s_mul_u64 s[26:27], s[10:11], s[16:17]
	s_add_nc_u64 s[24:25], s[12:13], s[24:25]
	s_add_nc_u64 s[26:27], s[22:23], s[26:27]
	s_wait_dscnt 0x0
	v_lshlrev_b64_e32 v[0:1], 1, v[2:3]
	v_mov_b32_e32 v3, 0
	s_mov_b32 s31, 0
	s_mov_b32 s33, 0
.LBB5_5:                                ;   Parent Loop BB5_3 Depth=1
                                        ; =>  This Inner Loop Header: Depth=2
	s_delay_alu instid0(VALU_DEP_2)
	v_add_nc_u64_e32 v[12:13], s[24:25], v[0:1]
	v_add_nc_u64_e32 v[14:15], s[26:27], v[0:1]
	v_add_nc_u32_e32 v2, s20, v2
	s_add_co_i32 s34, s33, 1
	s_cmp_gt_u32 s33, 6
	v_add_nc_u64_e32 v[0:1], s[8:9], v[0:1]
	s_cselect_b32 s33, -1, 0
	global_load_u16 v16, v[12:13], off
	global_load_u16 v17, v[14:15], off
	v_cmp_le_i32_e32 vcc_lo, s29, v2
	s_or_b32 s33, s33, vcc_lo
	s_delay_alu instid0(SALU_CYCLE_1) | instskip(NEXT) | instid1(SALU_CYCLE_1)
	s_and_b32 s33, exec_lo, s33
	s_or_b32 s31, s33, s31
	s_mov_b32 s33, s34
	s_wait_loadcnt 0x0
	v_fmac_f16_e32 v3, v16, v17
	s_wait_xcnt 0x0
	s_and_not1_b32 exec_lo, exec_lo, s31
	s_cbranch_execnz .LBB5_5
; %bb.6:                                ;   in Loop: Header=BB5_3 Depth=1
	s_or_b32 exec_lo, exec_lo, s31
.LBB5_7:                                ;   in Loop: Header=BB5_3 Depth=1
	s_delay_alu instid0(SALU_CYCLE_1)
	s_or_b32 exec_lo, exec_lo, s21
	s_and_saveexec_b32 s21, s0
; %bb.8:                                ;   in Loop: Header=BB5_3 Depth=1
	ds_store_b16 v4, v11
; %bb.9:                                ;   in Loop: Header=BB5_3 Depth=1
	s_or_b32 exec_lo, exec_lo, s21
	s_wait_dscnt 0x0
	v_and_b32_e32 v0, 0xffff, v3
	s_wait_dscnt 0x0
	s_barrier_signal -1
	s_barrier_wait -1
	ds_bpermute_b32 v0, v5, v0
	s_wait_dscnt 0x0
	v_add_f16_e32 v1, v3, v0
	s_delay_alu instid0(VALU_DEP_1) | instskip(NEXT) | instid1(VALU_DEP_1)
	v_and_b32_e32 v3, 0xffff, v1
	v_and_or_b32 v0, 0xffff0000, v0, v3
	ds_bpermute_b32 v0, v6, v0
	s_wait_dscnt 0x0
	v_add_f16_e32 v1, v1, v0
	s_delay_alu instid0(VALU_DEP_1) | instskip(NEXT) | instid1(VALU_DEP_1)
	v_and_b32_e32 v3, 0xffff, v1
	v_and_or_b32 v0, 0xffff0000, v0, v3
	;; [unrolled: 6-line block ×4, first 2 shown]
	ds_bpermute_b32 v1, v9, v1
	s_and_saveexec_b32 s21, s1
	s_cbranch_execz .LBB5_11
; %bb.10:                               ;   in Loop: Header=BB5_3 Depth=1
	s_wait_dscnt 0x0
	v_add_f16_e32 v0, v0, v1
	ds_store_b16 v10, v0
.LBB5_11:                               ;   in Loop: Header=BB5_3 Depth=1
	s_or_b32 exec_lo, exec_lo, s21
	v_mov_b32_e32 v0, 0
	s_wait_dscnt 0x0
	s_barrier_signal -1
	s_barrier_wait -1
	s_and_saveexec_b32 s21, s2
	s_cbranch_execnz .LBB5_14
; %bb.12:                               ;   in Loop: Header=BB5_3 Depth=1
	s_or_b32 exec_lo, exec_lo, s21
	s_and_saveexec_b32 s21, s0
	s_cbranch_execnz .LBB5_15
.LBB5_13:                               ;   in Loop: Header=BB5_3 Depth=1
	s_or_b32 exec_lo, exec_lo, s21
	s_and_saveexec_b32 s21, s3
	s_cbranch_execz .LBB5_2
	s_branch .LBB5_16
.LBB5_14:                               ;   in Loop: Header=BB5_3 Depth=1
	ds_load_u16 v0, v4
	s_or_b32 exec_lo, exec_lo, s21
	s_and_saveexec_b32 s21, s0
	s_cbranch_execz .LBB5_13
.LBB5_15:                               ;   in Loop: Header=BB5_3 Depth=1
	s_wait_dscnt 0x0
	v_and_b32_e32 v1, 0xffff, v0
	ds_bpermute_b32 v1, v6, v1
	s_wait_dscnt 0x0
	v_add_f16_e32 v0, v0, v1
	s_delay_alu instid0(VALU_DEP_1) | instskip(NEXT) | instid1(VALU_DEP_1)
	v_and_b32_e32 v3, 0xffff, v0
	v_and_or_b32 v1, 0xffff0000, v1, v3
	ds_bpermute_b32 v1, v7, v1
	s_wait_dscnt 0x0
	v_add_f16_e32 v0, v0, v1
	s_delay_alu instid0(VALU_DEP_1) | instskip(NEXT) | instid1(VALU_DEP_1)
	v_and_b32_e32 v3, 0xffff, v0
	v_and_or_b32 v1, 0xffff0000, v1, v3
	;; [unrolled: 6-line block ×3, first 2 shown]
	ds_bpermute_b32 v1, v9, v1
	s_wait_dscnt 0x0
	v_add_f16_e32 v0, v0, v1
	s_or_b32 exec_lo, exec_lo, s21
	s_and_saveexec_b32 s21, s3
	s_cbranch_execz .LBB5_2
.LBB5_16:                               ;   in Loop: Header=BB5_3 Depth=1
	s_and_b32 vcc_lo, exec_lo, s30
	s_mov_b32 s24, -1
	s_cbranch_vccz .LBB5_18
; %bb.17:                               ;   in Loop: Header=BB5_3 Depth=1
	s_mul_u64 s[24:25], s[18:19], s[16:17]
	s_delay_alu instid0(SALU_CYCLE_1) | instskip(NEXT) | instid1(SALU_CYCLE_1)
	s_lshl_b64 s[24:25], s[24:25], 1
	s_add_nc_u64 s[26:27], s[4:5], s[24:25]
	s_mov_b32 s24, 0
	s_wait_dscnt 0x0
	global_store_b16 v11, v0, s[26:27]
.LBB5_18:                               ;   in Loop: Header=BB5_3 Depth=1
	s_and_not1_b32 vcc_lo, exec_lo, s24
	s_cbranch_vccnz .LBB5_2
; %bb.19:                               ;   in Loop: Header=BB5_3 Depth=1
	s_lshl_b64 s[24:25], s[16:17], 1
	s_delay_alu instid0(SALU_CYCLE_1)
	s_add_nc_u64 s[24:25], s[6:7], s[24:25]
	s_wait_dscnt 0x0
	global_store_b16 v11, v0, s[24:25]
	s_branch .LBB5_2
.LBB5_20:
	s_endpgm
	.section	.rodata,"a",@progbits
	.p2align	6, 0x0
	.amdhsa_kernel _ZL23rocblas_dot_kernel_inc1ILb0ELi512ELi8ELb0EDF16_PKDF16_DF16_EviT4_llS2_lliPT5_PT3_
		.amdhsa_group_segment_fixed_size 64
		.amdhsa_private_segment_fixed_size 0
		.amdhsa_kernarg_size 336
		.amdhsa_user_sgpr_count 2
		.amdhsa_user_sgpr_dispatch_ptr 0
		.amdhsa_user_sgpr_queue_ptr 0
		.amdhsa_user_sgpr_kernarg_segment_ptr 1
		.amdhsa_user_sgpr_dispatch_id 0
		.amdhsa_user_sgpr_kernarg_preload_length 0
		.amdhsa_user_sgpr_kernarg_preload_offset 0
		.amdhsa_user_sgpr_private_segment_size 0
		.amdhsa_wavefront_size32 1
		.amdhsa_uses_dynamic_stack 0
		.amdhsa_enable_private_segment 0
		.amdhsa_system_sgpr_workgroup_id_x 1
		.amdhsa_system_sgpr_workgroup_id_y 0
		.amdhsa_system_sgpr_workgroup_id_z 1
		.amdhsa_system_sgpr_workgroup_info 0
		.amdhsa_system_vgpr_workitem_id 0
		.amdhsa_next_free_vgpr 18
		.amdhsa_next_free_sgpr 35
		.amdhsa_named_barrier_count 0
		.amdhsa_reserve_vcc 1
		.amdhsa_float_round_mode_32 0
		.amdhsa_float_round_mode_16_64 0
		.amdhsa_float_denorm_mode_32 3
		.amdhsa_float_denorm_mode_16_64 3
		.amdhsa_fp16_overflow 0
		.amdhsa_memory_ordered 1
		.amdhsa_forward_progress 1
		.amdhsa_inst_pref_size 10
		.amdhsa_round_robin_scheduling 0
		.amdhsa_exception_fp_ieee_invalid_op 0
		.amdhsa_exception_fp_denorm_src 0
		.amdhsa_exception_fp_ieee_div_zero 0
		.amdhsa_exception_fp_ieee_overflow 0
		.amdhsa_exception_fp_ieee_underflow 0
		.amdhsa_exception_fp_ieee_inexact 0
		.amdhsa_exception_int_div_zero 0
	.end_amdhsa_kernel
	.section	.text._ZL23rocblas_dot_kernel_inc1ILb0ELi512ELi8ELb0EDF16_PKDF16_DF16_EviT4_llS2_lliPT5_PT3_,"axG",@progbits,_ZL23rocblas_dot_kernel_inc1ILb0ELi512ELi8ELb0EDF16_PKDF16_DF16_EviT4_llS2_lliPT5_PT3_,comdat
.Lfunc_end5:
	.size	_ZL23rocblas_dot_kernel_inc1ILb0ELi512ELi8ELb0EDF16_PKDF16_DF16_EviT4_llS2_lliPT5_PT3_, .Lfunc_end5-_ZL23rocblas_dot_kernel_inc1ILb0ELi512ELi8ELb0EDF16_PKDF16_DF16_EviT4_llS2_lliPT5_PT3_
                                        ; -- End function
	.set _ZL23rocblas_dot_kernel_inc1ILb0ELi512ELi8ELb0EDF16_PKDF16_DF16_EviT4_llS2_lliPT5_PT3_.num_vgpr, 18
	.set _ZL23rocblas_dot_kernel_inc1ILb0ELi512ELi8ELb0EDF16_PKDF16_DF16_EviT4_llS2_lliPT5_PT3_.num_agpr, 0
	.set _ZL23rocblas_dot_kernel_inc1ILb0ELi512ELi8ELb0EDF16_PKDF16_DF16_EviT4_llS2_lliPT5_PT3_.numbered_sgpr, 35
	.set _ZL23rocblas_dot_kernel_inc1ILb0ELi512ELi8ELb0EDF16_PKDF16_DF16_EviT4_llS2_lliPT5_PT3_.num_named_barrier, 0
	.set _ZL23rocblas_dot_kernel_inc1ILb0ELi512ELi8ELb0EDF16_PKDF16_DF16_EviT4_llS2_lliPT5_PT3_.private_seg_size, 0
	.set _ZL23rocblas_dot_kernel_inc1ILb0ELi512ELi8ELb0EDF16_PKDF16_DF16_EviT4_llS2_lliPT5_PT3_.uses_vcc, 1
	.set _ZL23rocblas_dot_kernel_inc1ILb0ELi512ELi8ELb0EDF16_PKDF16_DF16_EviT4_llS2_lliPT5_PT3_.uses_flat_scratch, 0
	.set _ZL23rocblas_dot_kernel_inc1ILb0ELi512ELi8ELb0EDF16_PKDF16_DF16_EviT4_llS2_lliPT5_PT3_.has_dyn_sized_stack, 0
	.set _ZL23rocblas_dot_kernel_inc1ILb0ELi512ELi8ELb0EDF16_PKDF16_DF16_EviT4_llS2_lliPT5_PT3_.has_recursion, 0
	.set _ZL23rocblas_dot_kernel_inc1ILb0ELi512ELi8ELb0EDF16_PKDF16_DF16_EviT4_llS2_lliPT5_PT3_.has_indirect_call, 0
	.section	.AMDGPU.csdata,"",@progbits
; Kernel info:
; codeLenInByte = 1160
; TotalNumSgprs: 37
; NumVgprs: 18
; ScratchSize: 0
; MemoryBound: 0
; FloatMode: 240
; IeeeMode: 1
; LDSByteSize: 64 bytes/workgroup (compile time only)
; SGPRBlocks: 0
; VGPRBlocks: 1
; NumSGPRsForWavesPerEU: 37
; NumVGPRsForWavesPerEU: 18
; NamedBarCnt: 0
; Occupancy: 16
; WaveLimiterHint : 0
; COMPUTE_PGM_RSRC2:SCRATCH_EN: 0
; COMPUTE_PGM_RSRC2:USER_SGPR: 2
; COMPUTE_PGM_RSRC2:TRAP_HANDLER: 0
; COMPUTE_PGM_RSRC2:TGID_X_EN: 1
; COMPUTE_PGM_RSRC2:TGID_Y_EN: 0
; COMPUTE_PGM_RSRC2:TGID_Z_EN: 1
; COMPUTE_PGM_RSRC2:TIDIG_COMP_CNT: 0
	.section	.text._ZL18rocblas_dot_kernelIiLb0ELi512ELi8ELb0EDF16_PKDF16_DF16_EviT5_lT_lS2_lS3_liPT6_PT4_,"axG",@progbits,_ZL18rocblas_dot_kernelIiLb0ELi512ELi8ELb0EDF16_PKDF16_DF16_EviT5_lT_lS2_lS3_liPT6_PT4_,comdat
	.globl	_ZL18rocblas_dot_kernelIiLb0ELi512ELi8ELb0EDF16_PKDF16_DF16_EviT5_lT_lS2_lS3_liPT6_PT4_ ; -- Begin function _ZL18rocblas_dot_kernelIiLb0ELi512ELi8ELb0EDF16_PKDF16_DF16_EviT5_lT_lS2_lS3_liPT6_PT4_
	.p2align	8
	.type	_ZL18rocblas_dot_kernelIiLb0ELi512ELi8ELb0EDF16_PKDF16_DF16_EviT5_lT_lS2_lS3_liPT6_PT4_,@function
_ZL18rocblas_dot_kernelIiLb0ELi512ELi8ELb0EDF16_PKDF16_DF16_EviT5_lT_lS2_lS3_liPT6_PT4_: ; @_ZL18rocblas_dot_kernelIiLb0ELi512ELi8ELb0EDF16_PKDF16_DF16_EviT5_lT_lS2_lS3_liPT6_PT4_
; %bb.0:
	s_load_b32 s30, s[0:1], 0x48
	s_bfe_u32 s2, ttmp6, 0x40014
	s_lshr_b32 s3, ttmp7, 16
	s_add_co_i32 s2, s2, 1
	s_bfe_u32 s5, ttmp6, 0x40008
	s_mul_i32 s4, s3, s2
	s_getreg_b32 s2, hwreg(HW_REG_IB_STS2, 6, 4)
	s_add_co_i32 s5, s5, s4
	s_cmp_eq_u32 s2, 0
	s_mov_b32 s21, 0
	s_cselect_b32 s20, s3, s5
	s_wait_kmcnt 0x0
	s_cmp_ge_u32 s20, s30
	s_cbranch_scc1 .LBB6_20
; %bb.1:
	v_mbcnt_lo_u32_b32 v2, -1, 0
	s_clause 0x7
	s_load_b32 s24, s[0:1], 0x18
	s_load_b96 s[16:18], s[0:1], 0x30
	s_load_b32 s22, s[0:1], 0x60
	s_load_b128 s[8:11], s[0:1], 0x20
	s_load_b128 s[12:15], s[0:1], 0x8
	s_load_b32 s31, s[0:1], 0x0
	s_load_b128 s[4:7], s[0:1], 0x50
	s_load_b64 s[26:27], s[0:1], 0x40
	s_wait_xcnt 0x0
	s_bfe_u32 s0, ttmp6, 0x4000c
	s_and_b32 s1, ttmp6, 15
	s_add_co_i32 s3, s0, 1
	v_cmp_gt_u32_e32 vcc_lo, 24, v2
	s_mul_i32 s3, ttmp9, s3
	v_and_b32_e32 v1, 31, v0
	s_add_co_i32 s1, s1, s3
	s_mov_b32 s35, s21
	v_cndmask_b32_e64 v3, 0, 8, vcc_lo
	v_cmp_gt_u32_e32 vcc_lo, 28, v2
	v_cmp_gt_u32_e64 s0, 32, v0
	v_lshl_or_b32 v6, v2, 2, 64
	s_wait_kmcnt 0x0
	s_ashr_i32 s25, s24, 31
	s_ashr_i32 s29, s18, 31
	v_cndmask_b32_e64 v8, 0, 4, vcc_lo
	v_cmp_gt_u32_e32 vcc_lo, 30, v2
	s_cmp_eq_u32 s2, 0
	s_mov_b32 s28, s18
	s_cselect_b32 s34, ttmp9, s1
	s_cmp_lg_u32 s22, 1
	v_cndmask_b32_e64 v9, 0, 2, vcc_lo
	v_cmp_ne_u32_e32 vcc_lo, 31, v2
	s_cselect_b32 s33, -1, 0
	s_lshl_b32 s18, s22, 9
	v_add_lshl_u32 v7, v3, v2, 2
	v_lshrrev_b32_e32 v3, 4, v0
	v_add_co_ci_u32_e64 v10, null, 0, v2, vcc_lo
	s_lshl_b64 s[14:15], s[14:15], 1
	s_ashr_i32 s19, s18, 31
	v_lshl_or_b32 v4, s34, 9, v0
	s_lshl_b64 s[34:35], s[34:35], 1
	s_add_nc_u64 s[12:13], s[12:13], s[14:15]
	s_lshl_b64 s[14:15], s[24:25], 1
	s_mul_u64 s[24:25], s[24:25], s[18:19]
	v_dual_lshlrev_b32 v5, 1, v1 :: v_dual_lshlrev_b32 v10, 2, v10
	v_add_lshl_u32 v8, v8, v2, 2
	v_add_lshl_u32 v9, v9, v2, 2
	v_cmp_eq_u32_e64 s1, 0, v1
	v_dual_mov_b32 v12, 0 :: v_dual_bitop2_b32 v11, 30, v3 bitop3:0x40
	v_cmp_gt_u32_e64 s2, 16, v0
	v_cmp_eq_u32_e64 s3, 0, v0
	s_add_nc_u64 s[4:5], s[4:5], s[34:35]
	s_lshl_b64 s[34:35], s[16:17], 1
	s_lshl_b64 s[16:17], s[24:25], 1
	s_lshl_b64 s[24:25], s[28:29], 1
	s_mul_u64 s[28:29], s[28:29], s[18:19]
	s_mov_b32 s23, s21
	s_lshl_b64 s[8:9], s[8:9], 1
	s_add_nc_u64 s[10:11], s[10:11], s[34:35]
	s_lshl_b64 s[26:27], s[26:27], 1
	s_lshl_b64 s[28:29], s[28:29], 1
	s_branch .LBB6_3
.LBB6_2:                                ;   in Loop: Header=BB6_3 Depth=1
	s_wait_xcnt 0x0
	s_or_b32 exec_lo, exec_lo, s19
	s_add_co_i32 s20, s20, 0x10000
	s_delay_alu instid0(SALU_CYCLE_1)
	s_cmp_lt_u32 s20, s30
	s_cbranch_scc0 .LBB6_20
.LBB6_3:                                ; =>This Loop Header: Depth=1
                                        ;     Child Loop BB6_5 Depth 2
	v_mov_b32_e32 v13, 0
	s_mov_b32 s19, exec_lo
	v_cmpx_gt_i32_e64 s31, v4
	s_cbranch_execz .LBB6_7
; %bb.4:                                ;   in Loop: Header=BB6_3 Depth=1
	s_mul_u64 s[34:35], s[8:9], s[20:21]
	s_mul_u64 s[36:37], s[26:27], s[20:21]
	s_add_nc_u64 s[34:35], s[12:13], s[34:35]
	s_add_nc_u64 s[36:37], s[10:11], s[36:37]
	s_wait_dscnt 0x0
	v_mad_nc_u64_u32 v[0:1], s14, v4, s[34:35]
	v_mad_nc_u64_u32 v[2:3], s24, v4, s[36:37]
	v_ashrrev_i32_e32 v13, 31, v4
	s_mov_b32 s34, 0
	s_mov_b32 s35, 0
	s_delay_alu instid0(VALU_DEP_3) | instskip(NEXT) | instid1(VALU_DEP_3)
	v_mad_u32 v1, s15, v4, v1
	v_mad_u32 v3, s25, v4, v3
	s_delay_alu instid0(VALU_DEP_2) | instskip(NEXT) | instid1(VALU_DEP_2)
	v_mad_u32 v1, s14, v13, v1
	v_mad_u32 v3, s24, v13, v3
	v_mov_b32_e32 v13, 0
.LBB6_5:                                ;   Parent Loop BB6_3 Depth=1
                                        ; =>  This Inner Loop Header: Depth=2
	global_load_u16 v14, v[2:3], off
	global_load_u16 v15, v[0:1], off
	v_add_nc_u32_e32 v4, s18, v4
	s_add_co_i32 s36, s35, 1
	s_cmp_gt_u32 s35, 6
	s_wait_xcnt 0x0
	v_add_nc_u64_e32 v[0:1], s[16:17], v[0:1]
	s_cselect_b32 s35, -1, 0
	v_cmp_le_i32_e32 vcc_lo, s31, v4
	v_add_nc_u64_e32 v[2:3], s[28:29], v[2:3]
	s_or_b32 s35, s35, vcc_lo
	s_delay_alu instid0(SALU_CYCLE_1) | instskip(NEXT) | instid1(SALU_CYCLE_1)
	s_and_b32 s35, exec_lo, s35
	s_or_b32 s34, s35, s34
	s_mov_b32 s35, s36
	s_wait_loadcnt 0x0
	v_fmac_f16_e32 v13, v14, v15
	s_and_not1_b32 exec_lo, exec_lo, s34
	s_cbranch_execnz .LBB6_5
; %bb.6:                                ;   in Loop: Header=BB6_3 Depth=1
	s_or_b32 exec_lo, exec_lo, s34
.LBB6_7:                                ;   in Loop: Header=BB6_3 Depth=1
	s_delay_alu instid0(SALU_CYCLE_1)
	s_or_b32 exec_lo, exec_lo, s19
	s_and_saveexec_b32 s19, s0
; %bb.8:                                ;   in Loop: Header=BB6_3 Depth=1
	ds_store_b16 v5, v12
; %bb.9:                                ;   in Loop: Header=BB6_3 Depth=1
	s_or_b32 exec_lo, exec_lo, s19
	s_wait_dscnt 0x0
	v_and_b32_e32 v0, 0xffff, v13
	s_wait_dscnt 0x0
	s_barrier_signal -1
	s_barrier_wait -1
	ds_bpermute_b32 v0, v6, v0
	s_wait_dscnt 0x0
	v_add_f16_e32 v1, v13, v0
	s_delay_alu instid0(VALU_DEP_1) | instskip(NEXT) | instid1(VALU_DEP_1)
	v_and_b32_e32 v2, 0xffff, v1
	v_and_or_b32 v0, 0xffff0000, v0, v2
	ds_bpermute_b32 v0, v7, v0
	s_wait_dscnt 0x0
	v_add_f16_e32 v1, v1, v0
	s_delay_alu instid0(VALU_DEP_1) | instskip(NEXT) | instid1(VALU_DEP_1)
	v_and_b32_e32 v2, 0xffff, v1
	v_and_or_b32 v0, 0xffff0000, v0, v2
	;; [unrolled: 6-line block ×4, first 2 shown]
	ds_bpermute_b32 v1, v10, v1
	s_and_saveexec_b32 s19, s1
	s_cbranch_execz .LBB6_11
; %bb.10:                               ;   in Loop: Header=BB6_3 Depth=1
	s_wait_dscnt 0x0
	v_add_f16_e32 v0, v0, v1
	ds_store_b16 v11, v0
.LBB6_11:                               ;   in Loop: Header=BB6_3 Depth=1
	s_or_b32 exec_lo, exec_lo, s19
	v_mov_b32_e32 v0, 0
	s_wait_dscnt 0x0
	s_barrier_signal -1
	s_barrier_wait -1
	s_and_saveexec_b32 s19, s2
	s_cbranch_execnz .LBB6_14
; %bb.12:                               ;   in Loop: Header=BB6_3 Depth=1
	s_or_b32 exec_lo, exec_lo, s19
	s_and_saveexec_b32 s19, s0
	s_cbranch_execnz .LBB6_15
.LBB6_13:                               ;   in Loop: Header=BB6_3 Depth=1
	s_or_b32 exec_lo, exec_lo, s19
	s_and_saveexec_b32 s19, s3
	s_cbranch_execz .LBB6_2
	s_branch .LBB6_16
.LBB6_14:                               ;   in Loop: Header=BB6_3 Depth=1
	ds_load_u16 v0, v5
	s_or_b32 exec_lo, exec_lo, s19
	s_and_saveexec_b32 s19, s0
	s_cbranch_execz .LBB6_13
.LBB6_15:                               ;   in Loop: Header=BB6_3 Depth=1
	s_wait_dscnt 0x0
	v_and_b32_e32 v1, 0xffff, v0
	ds_bpermute_b32 v1, v7, v1
	s_wait_dscnt 0x0
	v_add_f16_e32 v0, v0, v1
	s_delay_alu instid0(VALU_DEP_1) | instskip(NEXT) | instid1(VALU_DEP_1)
	v_and_b32_e32 v2, 0xffff, v0
	v_and_or_b32 v1, 0xffff0000, v1, v2
	ds_bpermute_b32 v1, v8, v1
	s_wait_dscnt 0x0
	v_add_f16_e32 v0, v0, v1
	s_delay_alu instid0(VALU_DEP_1) | instskip(NEXT) | instid1(VALU_DEP_1)
	v_and_b32_e32 v2, 0xffff, v0
	v_and_or_b32 v1, 0xffff0000, v1, v2
	;; [unrolled: 6-line block ×3, first 2 shown]
	ds_bpermute_b32 v1, v10, v1
	s_wait_dscnt 0x0
	v_add_f16_e32 v0, v0, v1
	s_or_b32 exec_lo, exec_lo, s19
	s_and_saveexec_b32 s19, s3
	s_cbranch_execz .LBB6_2
.LBB6_16:                               ;   in Loop: Header=BB6_3 Depth=1
	s_and_b32 vcc_lo, exec_lo, s33
	s_mov_b32 s34, -1
	s_cbranch_vccz .LBB6_18
; %bb.17:                               ;   in Loop: Header=BB6_3 Depth=1
	s_mul_u64 s[34:35], s[22:23], s[20:21]
	s_delay_alu instid0(SALU_CYCLE_1) | instskip(NEXT) | instid1(SALU_CYCLE_1)
	s_lshl_b64 s[34:35], s[34:35], 1
	s_add_nc_u64 s[36:37], s[4:5], s[34:35]
	s_mov_b32 s34, 0
	s_wait_dscnt 0x0
	global_store_b16 v12, v0, s[36:37]
.LBB6_18:                               ;   in Loop: Header=BB6_3 Depth=1
	s_and_not1_b32 vcc_lo, exec_lo, s34
	s_cbranch_vccnz .LBB6_2
; %bb.19:                               ;   in Loop: Header=BB6_3 Depth=1
	s_lshl_b64 s[34:35], s[20:21], 1
	s_delay_alu instid0(SALU_CYCLE_1)
	s_add_nc_u64 s[34:35], s[6:7], s[34:35]
	s_wait_dscnt 0x0
	global_store_b16 v12, v0, s[34:35]
	s_branch .LBB6_2
.LBB6_20:
	s_endpgm
	.section	.rodata,"a",@progbits
	.p2align	6, 0x0
	.amdhsa_kernel _ZL18rocblas_dot_kernelIiLb0ELi512ELi8ELb0EDF16_PKDF16_DF16_EviT5_lT_lS2_lS3_liPT6_PT4_
		.amdhsa_group_segment_fixed_size 64
		.amdhsa_private_segment_fixed_size 0
		.amdhsa_kernarg_size 352
		.amdhsa_user_sgpr_count 2
		.amdhsa_user_sgpr_dispatch_ptr 0
		.amdhsa_user_sgpr_queue_ptr 0
		.amdhsa_user_sgpr_kernarg_segment_ptr 1
		.amdhsa_user_sgpr_dispatch_id 0
		.amdhsa_user_sgpr_kernarg_preload_length 0
		.amdhsa_user_sgpr_kernarg_preload_offset 0
		.amdhsa_user_sgpr_private_segment_size 0
		.amdhsa_wavefront_size32 1
		.amdhsa_uses_dynamic_stack 0
		.amdhsa_enable_private_segment 0
		.amdhsa_system_sgpr_workgroup_id_x 1
		.amdhsa_system_sgpr_workgroup_id_y 0
		.amdhsa_system_sgpr_workgroup_id_z 1
		.amdhsa_system_sgpr_workgroup_info 0
		.amdhsa_system_vgpr_workitem_id 0
		.amdhsa_next_free_vgpr 16
		.amdhsa_next_free_sgpr 38
		.amdhsa_named_barrier_count 0
		.amdhsa_reserve_vcc 1
		.amdhsa_float_round_mode_32 0
		.amdhsa_float_round_mode_16_64 0
		.amdhsa_float_denorm_mode_32 3
		.amdhsa_float_denorm_mode_16_64 3
		.amdhsa_fp16_overflow 0
		.amdhsa_memory_ordered 1
		.amdhsa_forward_progress 1
		.amdhsa_inst_pref_size 10
		.amdhsa_round_robin_scheduling 0
		.amdhsa_exception_fp_ieee_invalid_op 0
		.amdhsa_exception_fp_denorm_src 0
		.amdhsa_exception_fp_ieee_div_zero 0
		.amdhsa_exception_fp_ieee_overflow 0
		.amdhsa_exception_fp_ieee_underflow 0
		.amdhsa_exception_fp_ieee_inexact 0
		.amdhsa_exception_int_div_zero 0
	.end_amdhsa_kernel
	.section	.text._ZL18rocblas_dot_kernelIiLb0ELi512ELi8ELb0EDF16_PKDF16_DF16_EviT5_lT_lS2_lS3_liPT6_PT4_,"axG",@progbits,_ZL18rocblas_dot_kernelIiLb0ELi512ELi8ELb0EDF16_PKDF16_DF16_EviT5_lT_lS2_lS3_liPT6_PT4_,comdat
.Lfunc_end6:
	.size	_ZL18rocblas_dot_kernelIiLb0ELi512ELi8ELb0EDF16_PKDF16_DF16_EviT5_lT_lS2_lS3_liPT6_PT4_, .Lfunc_end6-_ZL18rocblas_dot_kernelIiLb0ELi512ELi8ELb0EDF16_PKDF16_DF16_EviT5_lT_lS2_lS3_liPT6_PT4_
                                        ; -- End function
	.set _ZL18rocblas_dot_kernelIiLb0ELi512ELi8ELb0EDF16_PKDF16_DF16_EviT5_lT_lS2_lS3_liPT6_PT4_.num_vgpr, 16
	.set _ZL18rocblas_dot_kernelIiLb0ELi512ELi8ELb0EDF16_PKDF16_DF16_EviT5_lT_lS2_lS3_liPT6_PT4_.num_agpr, 0
	.set _ZL18rocblas_dot_kernelIiLb0ELi512ELi8ELb0EDF16_PKDF16_DF16_EviT5_lT_lS2_lS3_liPT6_PT4_.numbered_sgpr, 38
	.set _ZL18rocblas_dot_kernelIiLb0ELi512ELi8ELb0EDF16_PKDF16_DF16_EviT5_lT_lS2_lS3_liPT6_PT4_.num_named_barrier, 0
	.set _ZL18rocblas_dot_kernelIiLb0ELi512ELi8ELb0EDF16_PKDF16_DF16_EviT5_lT_lS2_lS3_liPT6_PT4_.private_seg_size, 0
	.set _ZL18rocblas_dot_kernelIiLb0ELi512ELi8ELb0EDF16_PKDF16_DF16_EviT5_lT_lS2_lS3_liPT6_PT4_.uses_vcc, 1
	.set _ZL18rocblas_dot_kernelIiLb0ELi512ELi8ELb0EDF16_PKDF16_DF16_EviT5_lT_lS2_lS3_liPT6_PT4_.uses_flat_scratch, 0
	.set _ZL18rocblas_dot_kernelIiLb0ELi512ELi8ELb0EDF16_PKDF16_DF16_EviT5_lT_lS2_lS3_liPT6_PT4_.has_dyn_sized_stack, 0
	.set _ZL18rocblas_dot_kernelIiLb0ELi512ELi8ELb0EDF16_PKDF16_DF16_EviT5_lT_lS2_lS3_liPT6_PT4_.has_recursion, 0
	.set _ZL18rocblas_dot_kernelIiLb0ELi512ELi8ELb0EDF16_PKDF16_DF16_EviT5_lT_lS2_lS3_liPT6_PT4_.has_indirect_call, 0
	.section	.AMDGPU.csdata,"",@progbits
; Kernel info:
; codeLenInByte = 1236
; TotalNumSgprs: 40
; NumVgprs: 16
; ScratchSize: 0
; MemoryBound: 0
; FloatMode: 240
; IeeeMode: 1
; LDSByteSize: 64 bytes/workgroup (compile time only)
; SGPRBlocks: 0
; VGPRBlocks: 0
; NumSGPRsForWavesPerEU: 40
; NumVGPRsForWavesPerEU: 16
; NamedBarCnt: 0
; Occupancy: 16
; WaveLimiterHint : 0
; COMPUTE_PGM_RSRC2:SCRATCH_EN: 0
; COMPUTE_PGM_RSRC2:USER_SGPR: 2
; COMPUTE_PGM_RSRC2:TRAP_HANDLER: 0
; COMPUTE_PGM_RSRC2:TGID_X_EN: 1
; COMPUTE_PGM_RSRC2:TGID_Y_EN: 0
; COMPUTE_PGM_RSRC2:TGID_Z_EN: 1
; COMPUTE_PGM_RSRC2:TIDIG_COMP_CNT: 0
	.section	.text._ZL24rocblas_dot_kernel_magsqIiLb0ELi512ELi8ELb0EDF16_PKDF16_DF16_EviT5_lT_liPT6_PT4_,"axG",@progbits,_ZL24rocblas_dot_kernel_magsqIiLb0ELi512ELi8ELb0EDF16_PKDF16_DF16_EviT5_lT_liPT6_PT4_,comdat
	.globl	_ZL24rocblas_dot_kernel_magsqIiLb0ELi512ELi8ELb0EDF16_PKDF16_DF16_EviT5_lT_liPT6_PT4_ ; -- Begin function _ZL24rocblas_dot_kernel_magsqIiLb0ELi512ELi8ELb0EDF16_PKDF16_DF16_EviT5_lT_liPT6_PT4_
	.p2align	8
	.type	_ZL24rocblas_dot_kernel_magsqIiLb0ELi512ELi8ELb0EDF16_PKDF16_DF16_EviT5_lT_liPT6_PT4_,@function
_ZL24rocblas_dot_kernel_magsqIiLb0ELi512ELi8ELb0EDF16_PKDF16_DF16_EviT5_lT_liPT6_PT4_: ; @_ZL24rocblas_dot_kernel_magsqIiLb0ELi512ELi8ELb0EDF16_PKDF16_DF16_EviT5_lT_liPT6_PT4_
; %bb.0:
	s_load_b32 s22, s[0:1], 0x28
	s_bfe_u32 s2, ttmp6, 0x40014
	s_lshr_b32 s3, ttmp7, 16
	s_add_co_i32 s2, s2, 1
	s_bfe_u32 s5, ttmp6, 0x40008
	s_mul_i32 s4, s3, s2
	s_getreg_b32 s2, hwreg(HW_REG_IB_STS2, 6, 4)
	s_add_co_i32 s5, s5, s4
	s_cmp_eq_u32 s2, 0
	s_mov_b32 s13, 0
	s_cselect_b32 s12, s3, s5
	s_wait_kmcnt 0x0
	s_cmp_ge_u32 s12, s22
	s_cbranch_scc1 .LBB7_20
; %bb.1:
	v_mbcnt_lo_u32_b32 v7, -1, 0
	s_clause 0x5
	s_load_b32 s18, s[0:1], 0x18
	s_load_b128 s[4:7], s[0:1], 0x30
	s_load_b32 s14, s[0:1], 0x40
	s_load_b128 s[8:11], s[0:1], 0x8
	s_load_b64 s[20:21], s[0:1], 0x20
	s_load_b32 s23, s[0:1], 0x0
	s_wait_xcnt 0x0
	s_bfe_u32 s0, ttmp6, 0x4000c
	s_and_b32 s1, ttmp6, 15
	s_add_co_i32 s3, s0, 1
	v_cmp_gt_u32_e32 vcc_lo, 24, v7
	s_mul_i32 s3, ttmp9, s3
	v_dual_lshrrev_b32 v10, 4, v0 :: v_dual_bitop2_b32 v1, 31, v0 bitop3:0x40
	s_add_co_i32 s1, s1, s3
	v_cndmask_b32_e64 v5, 0, 8, vcc_lo
	v_cmp_gt_u32_e32 vcc_lo, 28, v7
	s_mov_b32 s27, s13
	v_cmp_gt_u32_e64 s0, 32, v0
	v_lshlrev_b32_e32 v2, 1, v1
	v_lshl_or_b32 v3, v7, 2, 64
	v_cndmask_b32_e64 v6, 0, 4, vcc_lo
	v_cmp_gt_u32_e32 vcc_lo, 30, v7
	s_wait_kmcnt 0x0
	s_ashr_i32 s19, s18, 31
	s_cmp_eq_u32 s2, 0
	v_add_lshl_u32 v5, v5, v7, 2
	s_cselect_b32 s26, ttmp9, s1
	v_cndmask_b32_e64 v8, 0, 2, vcc_lo
	v_cmp_ne_u32_e32 vcc_lo, 31, v7
	s_cmp_lg_u32 s14, 1
	v_lshl_or_b32 v4, s26, 9, v0
	s_cselect_b32 s24, -1, 0
	s_lshl_b32 s16, s14, 9
	v_add_co_ci_u32_e64 v9, null, 0, v7, vcc_lo
	s_lshl_b64 s[26:27], s[26:27], 1
	s_ashr_i32 s17, s16, 31
	v_add_lshl_u32 v6, v6, v7, 2
	v_add_lshl_u32 v7, v8, v7, 2
	v_lshlrev_b32_e32 v8, 2, v9
	v_cmp_eq_u32_e64 s1, 0, v1
	v_and_b32_e32 v9, 30, v10
	v_cmp_gt_u32_e64 s2, 16, v0
	v_cmp_eq_u32_e64 s3, 0, v0
	v_mov_b32_e32 v10, 0
	s_lshl_b64 s[10:11], s[10:11], 1
	s_add_nc_u64 s[4:5], s[4:5], s[26:27]
	s_mul_u64 s[26:27], s[18:19], s[16:17]
	s_mov_b32 s15, s13
	s_add_nc_u64 s[8:9], s[8:9], s[10:11]
	s_lshl_b64 s[10:11], s[18:19], 1
	s_lshl_b64 s[18:19], s[20:21], 1
	;; [unrolled: 1-line block ×3, first 2 shown]
	s_branch .LBB7_3
.LBB7_2:                                ;   in Loop: Header=BB7_3 Depth=1
	s_wait_xcnt 0x0
	s_or_b32 exec_lo, exec_lo, s17
	s_add_co_i32 s12, s12, 0x10000
	s_delay_alu instid0(SALU_CYCLE_1)
	s_cmp_lt_u32 s12, s22
	s_cbranch_scc0 .LBB7_20
.LBB7_3:                                ; =>This Loop Header: Depth=1
                                        ;     Child Loop BB7_5 Depth 2
	v_mov_b32_e32 v11, 0
	s_mov_b32 s17, exec_lo
	v_cmpx_gt_i32_e64 s23, v4
	s_cbranch_execz .LBB7_7
; %bb.4:                                ;   in Loop: Header=BB7_3 Depth=1
	s_mul_u64 s[26:27], s[18:19], s[12:13]
	v_ashrrev_i32_e32 v11, 31, v4
	s_add_nc_u64 s[26:27], s[8:9], s[26:27]
	s_mov_b32 s25, 0
	s_wait_dscnt 0x0
	v_mad_nc_u64_u32 v[0:1], s10, v4, s[26:27]
	s_mov_b32 s26, 0
	s_delay_alu instid0(VALU_DEP_1) | instskip(NEXT) | instid1(VALU_DEP_1)
	v_mad_u32 v1, s11, v4, v1
	v_mad_u32 v1, s10, v11, v1
	v_mov_b32_e32 v11, 0
.LBB7_5:                                ;   Parent Loop BB7_3 Depth=1
                                        ; =>  This Inner Loop Header: Depth=2
	global_load_u16 v12, v[0:1], off
	v_add_nc_u32_e32 v4, s16, v4
	s_add_co_i32 s27, s26, 1
	s_cmp_gt_u32 s26, 6
	s_wait_xcnt 0x0
	v_add_nc_u64_e32 v[0:1], s[20:21], v[0:1]
	s_cselect_b32 s26, -1, 0
	v_cmp_le_i32_e32 vcc_lo, s23, v4
	s_or_b32 s26, s26, vcc_lo
	s_delay_alu instid0(SALU_CYCLE_1) | instskip(NEXT) | instid1(SALU_CYCLE_1)
	s_and_b32 s26, exec_lo, s26
	s_or_b32 s25, s26, s25
	s_mov_b32 s26, s27
	s_wait_loadcnt 0x0
	v_fmac_f16_e32 v11, v12, v12
	s_and_not1_b32 exec_lo, exec_lo, s25
	s_cbranch_execnz .LBB7_5
; %bb.6:                                ;   in Loop: Header=BB7_3 Depth=1
	s_or_b32 exec_lo, exec_lo, s25
.LBB7_7:                                ;   in Loop: Header=BB7_3 Depth=1
	s_delay_alu instid0(SALU_CYCLE_1)
	s_or_b32 exec_lo, exec_lo, s17
	s_and_saveexec_b32 s17, s0
; %bb.8:                                ;   in Loop: Header=BB7_3 Depth=1
	ds_store_b16 v2, v10
; %bb.9:                                ;   in Loop: Header=BB7_3 Depth=1
	s_or_b32 exec_lo, exec_lo, s17
	s_wait_dscnt 0x0
	v_and_b32_e32 v0, 0xffff, v11
	s_wait_dscnt 0x0
	s_barrier_signal -1
	s_barrier_wait -1
	ds_bpermute_b32 v0, v3, v0
	s_wait_dscnt 0x0
	v_add_f16_e32 v1, v11, v0
	s_delay_alu instid0(VALU_DEP_1) | instskip(NEXT) | instid1(VALU_DEP_1)
	v_and_b32_e32 v11, 0xffff, v1
	v_and_or_b32 v0, 0xffff0000, v0, v11
	ds_bpermute_b32 v0, v5, v0
	s_wait_dscnt 0x0
	v_add_f16_e32 v1, v1, v0
	s_delay_alu instid0(VALU_DEP_1) | instskip(NEXT) | instid1(VALU_DEP_1)
	v_and_b32_e32 v11, 0xffff, v1
	v_and_or_b32 v0, 0xffff0000, v0, v11
	;; [unrolled: 6-line block ×4, first 2 shown]
	ds_bpermute_b32 v1, v8, v1
	s_and_saveexec_b32 s17, s1
	s_cbranch_execz .LBB7_11
; %bb.10:                               ;   in Loop: Header=BB7_3 Depth=1
	s_wait_dscnt 0x0
	v_add_f16_e32 v0, v0, v1
	ds_store_b16 v9, v0
.LBB7_11:                               ;   in Loop: Header=BB7_3 Depth=1
	s_or_b32 exec_lo, exec_lo, s17
	v_mov_b32_e32 v0, 0
	s_wait_dscnt 0x0
	s_barrier_signal -1
	s_barrier_wait -1
	s_and_saveexec_b32 s17, s2
	s_cbranch_execnz .LBB7_14
; %bb.12:                               ;   in Loop: Header=BB7_3 Depth=1
	s_or_b32 exec_lo, exec_lo, s17
	s_and_saveexec_b32 s17, s0
	s_cbranch_execnz .LBB7_15
.LBB7_13:                               ;   in Loop: Header=BB7_3 Depth=1
	s_or_b32 exec_lo, exec_lo, s17
	s_and_saveexec_b32 s17, s3
	s_cbranch_execz .LBB7_2
	s_branch .LBB7_16
.LBB7_14:                               ;   in Loop: Header=BB7_3 Depth=1
	ds_load_u16 v0, v2
	s_or_b32 exec_lo, exec_lo, s17
	s_and_saveexec_b32 s17, s0
	s_cbranch_execz .LBB7_13
.LBB7_15:                               ;   in Loop: Header=BB7_3 Depth=1
	s_wait_dscnt 0x0
	v_and_b32_e32 v1, 0xffff, v0
	ds_bpermute_b32 v1, v5, v1
	s_wait_dscnt 0x0
	v_add_f16_e32 v0, v0, v1
	s_delay_alu instid0(VALU_DEP_1) | instskip(NEXT) | instid1(VALU_DEP_1)
	v_and_b32_e32 v11, 0xffff, v0
	v_and_or_b32 v1, 0xffff0000, v1, v11
	ds_bpermute_b32 v1, v6, v1
	s_wait_dscnt 0x0
	v_add_f16_e32 v0, v0, v1
	s_delay_alu instid0(VALU_DEP_1) | instskip(NEXT) | instid1(VALU_DEP_1)
	v_and_b32_e32 v11, 0xffff, v0
	v_and_or_b32 v1, 0xffff0000, v1, v11
	;; [unrolled: 6-line block ×3, first 2 shown]
	ds_bpermute_b32 v1, v8, v1
	s_wait_dscnt 0x0
	v_add_f16_e32 v0, v0, v1
	s_or_b32 exec_lo, exec_lo, s17
	s_and_saveexec_b32 s17, s3
	s_cbranch_execz .LBB7_2
.LBB7_16:                               ;   in Loop: Header=BB7_3 Depth=1
	s_and_b32 vcc_lo, exec_lo, s24
	s_mov_b32 s25, -1
	s_cbranch_vccz .LBB7_18
; %bb.17:                               ;   in Loop: Header=BB7_3 Depth=1
	s_mul_u64 s[26:27], s[14:15], s[12:13]
	s_mov_b32 s25, 0
	s_lshl_b64 s[26:27], s[26:27], 1
	s_delay_alu instid0(SALU_CYCLE_1)
	s_add_nc_u64 s[26:27], s[4:5], s[26:27]
	s_wait_dscnt 0x0
	global_store_b16 v10, v0, s[26:27]
.LBB7_18:                               ;   in Loop: Header=BB7_3 Depth=1
	s_and_not1_b32 vcc_lo, exec_lo, s25
	s_cbranch_vccnz .LBB7_2
; %bb.19:                               ;   in Loop: Header=BB7_3 Depth=1
	s_wait_xcnt 0x0
	s_lshl_b64 s[26:27], s[12:13], 1
	s_delay_alu instid0(SALU_CYCLE_1)
	s_add_nc_u64 s[26:27], s[6:7], s[26:27]
	s_wait_dscnt 0x0
	global_store_b16 v10, v0, s[26:27]
	s_branch .LBB7_2
.LBB7_20:
	s_endpgm
	.section	.rodata,"a",@progbits
	.p2align	6, 0x0
	.amdhsa_kernel _ZL24rocblas_dot_kernel_magsqIiLb0ELi512ELi8ELb0EDF16_PKDF16_DF16_EviT5_lT_liPT6_PT4_
		.amdhsa_group_segment_fixed_size 64
		.amdhsa_private_segment_fixed_size 0
		.amdhsa_kernarg_size 320
		.amdhsa_user_sgpr_count 2
		.amdhsa_user_sgpr_dispatch_ptr 0
		.amdhsa_user_sgpr_queue_ptr 0
		.amdhsa_user_sgpr_kernarg_segment_ptr 1
		.amdhsa_user_sgpr_dispatch_id 0
		.amdhsa_user_sgpr_kernarg_preload_length 0
		.amdhsa_user_sgpr_kernarg_preload_offset 0
		.amdhsa_user_sgpr_private_segment_size 0
		.amdhsa_wavefront_size32 1
		.amdhsa_uses_dynamic_stack 0
		.amdhsa_enable_private_segment 0
		.amdhsa_system_sgpr_workgroup_id_x 1
		.amdhsa_system_sgpr_workgroup_id_y 0
		.amdhsa_system_sgpr_workgroup_id_z 1
		.amdhsa_system_sgpr_workgroup_info 0
		.amdhsa_system_vgpr_workitem_id 0
		.amdhsa_next_free_vgpr 13
		.amdhsa_next_free_sgpr 28
		.amdhsa_named_barrier_count 0
		.amdhsa_reserve_vcc 1
		.amdhsa_float_round_mode_32 0
		.amdhsa_float_round_mode_16_64 0
		.amdhsa_float_denorm_mode_32 3
		.amdhsa_float_denorm_mode_16_64 3
		.amdhsa_fp16_overflow 0
		.amdhsa_memory_ordered 1
		.amdhsa_forward_progress 1
		.amdhsa_inst_pref_size 9
		.amdhsa_round_robin_scheduling 0
		.amdhsa_exception_fp_ieee_invalid_op 0
		.amdhsa_exception_fp_denorm_src 0
		.amdhsa_exception_fp_ieee_div_zero 0
		.amdhsa_exception_fp_ieee_overflow 0
		.amdhsa_exception_fp_ieee_underflow 0
		.amdhsa_exception_fp_ieee_inexact 0
		.amdhsa_exception_int_div_zero 0
	.end_amdhsa_kernel
	.section	.text._ZL24rocblas_dot_kernel_magsqIiLb0ELi512ELi8ELb0EDF16_PKDF16_DF16_EviT5_lT_liPT6_PT4_,"axG",@progbits,_ZL24rocblas_dot_kernel_magsqIiLb0ELi512ELi8ELb0EDF16_PKDF16_DF16_EviT5_lT_liPT6_PT4_,comdat
.Lfunc_end7:
	.size	_ZL24rocblas_dot_kernel_magsqIiLb0ELi512ELi8ELb0EDF16_PKDF16_DF16_EviT5_lT_liPT6_PT4_, .Lfunc_end7-_ZL24rocblas_dot_kernel_magsqIiLb0ELi512ELi8ELb0EDF16_PKDF16_DF16_EviT5_lT_liPT6_PT4_
                                        ; -- End function
	.set _ZL24rocblas_dot_kernel_magsqIiLb0ELi512ELi8ELb0EDF16_PKDF16_DF16_EviT5_lT_liPT6_PT4_.num_vgpr, 13
	.set _ZL24rocblas_dot_kernel_magsqIiLb0ELi512ELi8ELb0EDF16_PKDF16_DF16_EviT5_lT_liPT6_PT4_.num_agpr, 0
	.set _ZL24rocblas_dot_kernel_magsqIiLb0ELi512ELi8ELb0EDF16_PKDF16_DF16_EviT5_lT_liPT6_PT4_.numbered_sgpr, 28
	.set _ZL24rocblas_dot_kernel_magsqIiLb0ELi512ELi8ELb0EDF16_PKDF16_DF16_EviT5_lT_liPT6_PT4_.num_named_barrier, 0
	.set _ZL24rocblas_dot_kernel_magsqIiLb0ELi512ELi8ELb0EDF16_PKDF16_DF16_EviT5_lT_liPT6_PT4_.private_seg_size, 0
	.set _ZL24rocblas_dot_kernel_magsqIiLb0ELi512ELi8ELb0EDF16_PKDF16_DF16_EviT5_lT_liPT6_PT4_.uses_vcc, 1
	.set _ZL24rocblas_dot_kernel_magsqIiLb0ELi512ELi8ELb0EDF16_PKDF16_DF16_EviT5_lT_liPT6_PT4_.uses_flat_scratch, 0
	.set _ZL24rocblas_dot_kernel_magsqIiLb0ELi512ELi8ELb0EDF16_PKDF16_DF16_EviT5_lT_liPT6_PT4_.has_dyn_sized_stack, 0
	.set _ZL24rocblas_dot_kernel_magsqIiLb0ELi512ELi8ELb0EDF16_PKDF16_DF16_EviT5_lT_liPT6_PT4_.has_recursion, 0
	.set _ZL24rocblas_dot_kernel_magsqIiLb0ELi512ELi8ELb0EDF16_PKDF16_DF16_EviT5_lT_liPT6_PT4_.has_indirect_call, 0
	.section	.AMDGPU.csdata,"",@progbits
; Kernel info:
; codeLenInByte = 1136
; TotalNumSgprs: 30
; NumVgprs: 13
; ScratchSize: 0
; MemoryBound: 0
; FloatMode: 240
; IeeeMode: 1
; LDSByteSize: 64 bytes/workgroup (compile time only)
; SGPRBlocks: 0
; VGPRBlocks: 0
; NumSGPRsForWavesPerEU: 30
; NumVGPRsForWavesPerEU: 13
; NamedBarCnt: 0
; Occupancy: 16
; WaveLimiterHint : 0
; COMPUTE_PGM_RSRC2:SCRATCH_EN: 0
; COMPUTE_PGM_RSRC2:USER_SGPR: 2
; COMPUTE_PGM_RSRC2:TRAP_HANDLER: 0
; COMPUTE_PGM_RSRC2:TGID_X_EN: 1
; COMPUTE_PGM_RSRC2:TGID_Y_EN: 0
; COMPUTE_PGM_RSRC2:TGID_Z_EN: 1
; COMPUTE_PGM_RSRC2:TIDIG_COMP_CNT: 0
	.section	.text._ZL28rocblas_dot_batched_4_kernelIiLi32ELi4ELb0Ef16rocblas_bfloat16PKS0_EviT5_lT_lS3_lS4_liPT4_,"axG",@progbits,_ZL28rocblas_dot_batched_4_kernelIiLi32ELi4ELb0Ef16rocblas_bfloat16PKS0_EviT5_lT_lS3_lS4_liPT4_,comdat
	.globl	_ZL28rocblas_dot_batched_4_kernelIiLi32ELi4ELb0Ef16rocblas_bfloat16PKS0_EviT5_lT_lS3_lS4_liPT4_ ; -- Begin function _ZL28rocblas_dot_batched_4_kernelIiLi32ELi4ELb0Ef16rocblas_bfloat16PKS0_EviT5_lT_lS3_lS4_liPT4_
	.p2align	8
	.type	_ZL28rocblas_dot_batched_4_kernelIiLi32ELi4ELb0Ef16rocblas_bfloat16PKS0_EviT5_lT_lS3_lS4_liPT4_,@function
_ZL28rocblas_dot_batched_4_kernelIiLi32ELi4ELb0Ef16rocblas_bfloat16PKS0_EviT5_lT_lS3_lS4_liPT4_: ; @_ZL28rocblas_dot_batched_4_kernelIiLi32ELi4ELb0Ef16rocblas_bfloat16PKS0_EviT5_lT_lS3_lS4_liPT4_
; %bb.0:
	s_load_b32 s2, s[0:1], 0x48
	s_bfe_u32 s3, ttmp6, 0x4000c
	s_and_b32 s4, ttmp6, 15
	s_add_co_i32 s3, s3, 1
	v_bfe_u32 v1, v0, 10, 10
	s_mul_i32 s3, ttmp9, s3
	s_delay_alu instid0(SALU_CYCLE_1) | instskip(SKIP_1) | instid1(SALU_CYCLE_1)
	s_add_co_i32 s4, s4, s3
	s_getreg_b32 s3, hwreg(HW_REG_IB_STS2, 6, 4)
	s_cmp_eq_u32 s3, 0
	s_cselect_b32 s3, ttmp9, s4
	s_delay_alu instid0(SALU_CYCLE_1) | instskip(SKIP_1) | instid1(VALU_DEP_1)
	v_lshl_add_u32 v2, s3, 2, v1
	s_wait_kmcnt 0x0
	v_cmp_gt_u32_e32 vcc_lo, s2, v2
	s_and_saveexec_b32 s2, vcc_lo
	s_cbranch_execz .LBB8_11
; %bb.1:
	s_load_b32 s6, s[0:1], 0x0
	v_mov_b32_e32 v3, 0
	v_and_b32_e32 v0, 0x3ff, v0
	s_mov_b32 s7, exec_lo
	s_delay_alu instid0(VALU_DEP_2) | instskip(SKIP_1) | instid1(VALU_DEP_2)
	v_mov_b32_e32 v1, v3
	s_wait_kmcnt 0x0
	v_cmpx_gt_i32_e64 s6, v0
	s_cbranch_execz .LBB8_5
; %bb.2:
	s_clause 0x3
	s_load_b128 s[8:11], s[0:1], 0x20
	s_load_b64 s[2:3], s[0:1], 0x40
	s_load_b32 s4, s[0:1], 0x18
	s_load_b96 s[16:18], s[0:1], 0x30
	v_mov_b32_e32 v1, 0
	s_load_b128 s[12:15], s[0:1], 0x8
	s_wait_kmcnt 0x0
	v_mul_u64_e32 v[4:5], s[8:9], v[2:3]
	v_mul_u64_e32 v[6:7], s[2:3], v[2:3]
	s_ashr_i32 s5, s4, 31
	s_ashr_i32 s9, s18, 31
	v_mul_u64_e32 v[8:9], s[4:5], v[0:1]
	s_mov_b32 s8, s18
	s_lshl_b64 s[2:3], s[14:15], 1
	s_lshl_b64 s[14:15], s[16:17], 1
	s_add_nc_u64 s[2:3], s[12:13], s[2:3]
	s_add_nc_u64 s[10:11], s[10:11], s[14:15]
	s_delay_alu instid0(VALU_DEP_3) | instskip(NEXT) | instid1(VALU_DEP_3)
	v_lshlrev_b64_e32 v[4:5], 1, v[4:5]
	v_lshlrev_b64_e32 v[6:7], 1, v[6:7]
	s_delay_alu instid0(VALU_DEP_2) | instskip(SKIP_2) | instid1(VALU_DEP_3)
	v_lshl_add_u64 v[4:5], v[8:9], 1, v[4:5]
	v_mov_b32_e32 v8, v0
	v_mul_u64_e32 v[10:11], s[8:9], v[0:1]
	v_add_nc_u64_e32 v[4:5], s[2:3], v[4:5]
	s_lshl_b64 s[2:3], s[4:5], 6
	s_lshl_b64 s[4:5], s[8:9], 6
	s_mov_b32 s8, 0
	s_delay_alu instid0(VALU_DEP_2) | instskip(NEXT) | instid1(VALU_DEP_1)
	v_lshl_add_u64 v[6:7], v[10:11], 1, v[6:7]
	v_add_nc_u64_e32 v[6:7], s[10:11], v[6:7]
.LBB8_3:                                ; =>This Inner Loop Header: Depth=1
	global_load_u16 v9, v[4:5], off
	global_load_u16 v10, v[6:7], off
	v_add_nc_u32_e32 v8, 32, v8
	s_wait_xcnt 0x1
	v_add_nc_u64_e32 v[4:5], s[2:3], v[4:5]
	s_wait_xcnt 0x0
	v_add_nc_u64_e32 v[6:7], s[4:5], v[6:7]
	v_cmp_le_i32_e32 vcc_lo, s6, v8
	s_or_b32 s8, vcc_lo, s8
	s_wait_loadcnt 0x0
	v_fma_mix_f32_bf16 v1, v10, v9, v1 op_sel_hi:[1,1,0]
	s_and_not1_b32 exec_lo, exec_lo, s8
	s_cbranch_execnz .LBB8_3
; %bb.4:
	s_or_b32 exec_lo, exec_lo, s8
.LBB8_5:
	s_delay_alu instid0(SALU_CYCLE_1) | instskip(SKIP_4) | instid1(VALU_DEP_1)
	s_or_b32 exec_lo, exec_lo, s7
	v_mbcnt_lo_u32_b32 v4, -1, 0
	s_load_b64 s[0:1], s[0:1], 0x50
	s_barrier_signal -1
	s_barrier_wait -1
	v_lshl_or_b32 v5, v4, 2, 64
	v_cmp_gt_u32_e32 vcc_lo, 24, v4
	ds_bpermute_b32 v5, v5, v1
	v_cndmask_b32_e64 v6, 0, 8, vcc_lo
	v_cmp_gt_u32_e32 vcc_lo, 28, v4
	s_delay_alu instid0(VALU_DEP_2)
	v_add_lshl_u32 v6, v6, v4, 2
	s_wait_dscnt 0x0
	v_add_f32_e32 v1, v1, v5
	ds_bpermute_b32 v5, v6, v1
	v_cndmask_b32_e64 v6, 0, 4, vcc_lo
	v_cmp_gt_u32_e32 vcc_lo, 30, v4
	s_delay_alu instid0(VALU_DEP_2)
	v_add_lshl_u32 v6, v6, v4, 2
	s_wait_dscnt 0x0
	v_add_f32_e32 v1, v1, v5
	ds_bpermute_b32 v5, v6, v1
	v_cndmask_b32_e64 v6, 0, 2, vcc_lo
	v_cmp_ne_u32_e32 vcc_lo, 31, v4
	s_delay_alu instid0(VALU_DEP_2) | instskip(SKIP_3) | instid1(VALU_DEP_2)
	v_add_lshl_u32 v6, v6, v4, 2
	v_add_co_ci_u32_e64 v4, null, 0, v4, vcc_lo
	v_cmp_eq_u32_e32 vcc_lo, 0, v0
	s_wait_dscnt 0x0
	v_dual_add_f32 v1, v1, v5 :: v_dual_lshlrev_b32 v4, 2, v4
	ds_bpermute_b32 v5, v6, v1
	s_wait_dscnt 0x0
	v_add_f32_e32 v1, v1, v5
	ds_bpermute_b32 v4, v4, v1
	s_and_b32 exec_lo, exec_lo, vcc_lo
	s_cbranch_execz .LBB8_11
; %bb.6:
	s_wait_dscnt 0x0
	v_add_f32_e32 v0, v1, v4
	s_delay_alu instid0(VALU_DEP_1) | instskip(NEXT) | instid1(VALU_DEP_1)
	v_and_b32_e32 v1, 0x7f800000, v0
	v_cmp_ne_u32_e32 vcc_lo, 0x7f800000, v1
                                        ; implicit-def: $vgpr1
	s_and_saveexec_b32 s2, vcc_lo
	s_delay_alu instid0(SALU_CYCLE_1)
	s_xor_b32 s2, exec_lo, s2
; %bb.7:
	v_bfe_u32 v1, v0, 16, 1
	s_delay_alu instid0(VALU_DEP_1)
	v_add3_u32 v1, v0, v1, 0x7fff
                                        ; implicit-def: $vgpr0
; %bb.8:
	s_and_not1_saveexec_b32 s2, s2
; %bb.9:
	v_and_b32_e32 v1, 0xffff, v0
	v_or_b32_e32 v4, 0x10000, v0
	s_delay_alu instid0(VALU_DEP_2) | instskip(NEXT) | instid1(VALU_DEP_2)
	v_cmp_eq_u32_e32 vcc_lo, 0, v1
	v_cndmask_b32_e32 v1, v4, v0, vcc_lo
; %bb.10:
	s_or_b32 exec_lo, exec_lo, s2
	s_wait_kmcnt 0x0
	v_lshl_add_u64 v[2:3], v[2:3], 1, s[0:1]
	global_store_d16_hi_b16 v[2:3], v1, off
.LBB8_11:
	s_endpgm
	.section	.rodata,"a",@progbits
	.p2align	6, 0x0
	.amdhsa_kernel _ZL28rocblas_dot_batched_4_kernelIiLi32ELi4ELb0Ef16rocblas_bfloat16PKS0_EviT5_lT_lS3_lS4_liPT4_
		.amdhsa_group_segment_fixed_size 0
		.amdhsa_private_segment_fixed_size 0
		.amdhsa_kernarg_size 88
		.amdhsa_user_sgpr_count 2
		.amdhsa_user_sgpr_dispatch_ptr 0
		.amdhsa_user_sgpr_queue_ptr 0
		.amdhsa_user_sgpr_kernarg_segment_ptr 1
		.amdhsa_user_sgpr_dispatch_id 0
		.amdhsa_user_sgpr_kernarg_preload_length 0
		.amdhsa_user_sgpr_kernarg_preload_offset 0
		.amdhsa_user_sgpr_private_segment_size 0
		.amdhsa_wavefront_size32 1
		.amdhsa_uses_dynamic_stack 0
		.amdhsa_enable_private_segment 0
		.amdhsa_system_sgpr_workgroup_id_x 1
		.amdhsa_system_sgpr_workgroup_id_y 0
		.amdhsa_system_sgpr_workgroup_id_z 0
		.amdhsa_system_sgpr_workgroup_info 0
		.amdhsa_system_vgpr_workitem_id 1
		.amdhsa_next_free_vgpr 12
		.amdhsa_next_free_sgpr 19
		.amdhsa_named_barrier_count 0
		.amdhsa_reserve_vcc 1
		.amdhsa_float_round_mode_32 0
		.amdhsa_float_round_mode_16_64 0
		.amdhsa_float_denorm_mode_32 3
		.amdhsa_float_denorm_mode_16_64 3
		.amdhsa_fp16_overflow 0
		.amdhsa_memory_ordered 1
		.amdhsa_forward_progress 1
		.amdhsa_inst_pref_size 6
		.amdhsa_round_robin_scheduling 0
		.amdhsa_exception_fp_ieee_invalid_op 0
		.amdhsa_exception_fp_denorm_src 0
		.amdhsa_exception_fp_ieee_div_zero 0
		.amdhsa_exception_fp_ieee_overflow 0
		.amdhsa_exception_fp_ieee_underflow 0
		.amdhsa_exception_fp_ieee_inexact 0
		.amdhsa_exception_int_div_zero 0
	.end_amdhsa_kernel
	.section	.text._ZL28rocblas_dot_batched_4_kernelIiLi32ELi4ELb0Ef16rocblas_bfloat16PKS0_EviT5_lT_lS3_lS4_liPT4_,"axG",@progbits,_ZL28rocblas_dot_batched_4_kernelIiLi32ELi4ELb0Ef16rocblas_bfloat16PKS0_EviT5_lT_lS3_lS4_liPT4_,comdat
.Lfunc_end8:
	.size	_ZL28rocblas_dot_batched_4_kernelIiLi32ELi4ELb0Ef16rocblas_bfloat16PKS0_EviT5_lT_lS3_lS4_liPT4_, .Lfunc_end8-_ZL28rocblas_dot_batched_4_kernelIiLi32ELi4ELb0Ef16rocblas_bfloat16PKS0_EviT5_lT_lS3_lS4_liPT4_
                                        ; -- End function
	.set _ZL28rocblas_dot_batched_4_kernelIiLi32ELi4ELb0Ef16rocblas_bfloat16PKS0_EviT5_lT_lS3_lS4_liPT4_.num_vgpr, 12
	.set _ZL28rocblas_dot_batched_4_kernelIiLi32ELi4ELb0Ef16rocblas_bfloat16PKS0_EviT5_lT_lS3_lS4_liPT4_.num_agpr, 0
	.set _ZL28rocblas_dot_batched_4_kernelIiLi32ELi4ELb0Ef16rocblas_bfloat16PKS0_EviT5_lT_lS3_lS4_liPT4_.numbered_sgpr, 19
	.set _ZL28rocblas_dot_batched_4_kernelIiLi32ELi4ELb0Ef16rocblas_bfloat16PKS0_EviT5_lT_lS3_lS4_liPT4_.num_named_barrier, 0
	.set _ZL28rocblas_dot_batched_4_kernelIiLi32ELi4ELb0Ef16rocblas_bfloat16PKS0_EviT5_lT_lS3_lS4_liPT4_.private_seg_size, 0
	.set _ZL28rocblas_dot_batched_4_kernelIiLi32ELi4ELb0Ef16rocblas_bfloat16PKS0_EviT5_lT_lS3_lS4_liPT4_.uses_vcc, 1
	.set _ZL28rocblas_dot_batched_4_kernelIiLi32ELi4ELb0Ef16rocblas_bfloat16PKS0_EviT5_lT_lS3_lS4_liPT4_.uses_flat_scratch, 0
	.set _ZL28rocblas_dot_batched_4_kernelIiLi32ELi4ELb0Ef16rocblas_bfloat16PKS0_EviT5_lT_lS3_lS4_liPT4_.has_dyn_sized_stack, 0
	.set _ZL28rocblas_dot_batched_4_kernelIiLi32ELi4ELb0Ef16rocblas_bfloat16PKS0_EviT5_lT_lS3_lS4_liPT4_.has_recursion, 0
	.set _ZL28rocblas_dot_batched_4_kernelIiLi32ELi4ELb0Ef16rocblas_bfloat16PKS0_EviT5_lT_lS3_lS4_liPT4_.has_indirect_call, 0
	.section	.AMDGPU.csdata,"",@progbits
; Kernel info:
; codeLenInByte = 704
; TotalNumSgprs: 21
; NumVgprs: 12
; ScratchSize: 0
; MemoryBound: 0
; FloatMode: 240
; IeeeMode: 1
; LDSByteSize: 0 bytes/workgroup (compile time only)
; SGPRBlocks: 0
; VGPRBlocks: 0
; NumSGPRsForWavesPerEU: 21
; NumVGPRsForWavesPerEU: 12
; NamedBarCnt: 0
; Occupancy: 16
; WaveLimiterHint : 0
; COMPUTE_PGM_RSRC2:SCRATCH_EN: 0
; COMPUTE_PGM_RSRC2:USER_SGPR: 2
; COMPUTE_PGM_RSRC2:TRAP_HANDLER: 0
; COMPUTE_PGM_RSRC2:TGID_X_EN: 1
; COMPUTE_PGM_RSRC2:TGID_Y_EN: 0
; COMPUTE_PGM_RSRC2:TGID_Z_EN: 0
; COMPUTE_PGM_RSRC2:TIDIG_COMP_CNT: 1
	.section	.text._ZL28rocblas_dot_batched_4_kernelIiLi64ELi4ELb0Ef16rocblas_bfloat16PKS0_EviT5_lT_lS3_lS4_liPT4_,"axG",@progbits,_ZL28rocblas_dot_batched_4_kernelIiLi64ELi4ELb0Ef16rocblas_bfloat16PKS0_EviT5_lT_lS3_lS4_liPT4_,comdat
	.globl	_ZL28rocblas_dot_batched_4_kernelIiLi64ELi4ELb0Ef16rocblas_bfloat16PKS0_EviT5_lT_lS3_lS4_liPT4_ ; -- Begin function _ZL28rocblas_dot_batched_4_kernelIiLi64ELi4ELb0Ef16rocblas_bfloat16PKS0_EviT5_lT_lS3_lS4_liPT4_
	.p2align	8
	.type	_ZL28rocblas_dot_batched_4_kernelIiLi64ELi4ELb0Ef16rocblas_bfloat16PKS0_EviT5_lT_lS3_lS4_liPT4_,@function
_ZL28rocblas_dot_batched_4_kernelIiLi64ELi4ELb0Ef16rocblas_bfloat16PKS0_EviT5_lT_lS3_lS4_liPT4_: ; @_ZL28rocblas_dot_batched_4_kernelIiLi64ELi4ELb0Ef16rocblas_bfloat16PKS0_EviT5_lT_lS3_lS4_liPT4_
; %bb.0:
	s_load_b32 s2, s[0:1], 0x48
	s_bfe_u32 s3, ttmp6, 0x4000c
	s_and_b32 s4, ttmp6, 15
	s_add_co_i32 s3, s3, 1
	v_bfe_u32 v1, v0, 10, 10
	s_mul_i32 s3, ttmp9, s3
	s_delay_alu instid0(SALU_CYCLE_1) | instskip(SKIP_1) | instid1(SALU_CYCLE_1)
	s_add_co_i32 s4, s4, s3
	s_getreg_b32 s3, hwreg(HW_REG_IB_STS2, 6, 4)
	s_cmp_eq_u32 s3, 0
	s_cselect_b32 s3, ttmp9, s4
	s_delay_alu instid0(SALU_CYCLE_1) | instskip(SKIP_1) | instid1(VALU_DEP_1)
	v_lshl_add_u32 v2, s3, 2, v1
	s_wait_kmcnt 0x0
	v_cmp_gt_u32_e32 vcc_lo, s2, v2
	s_and_saveexec_b32 s2, vcc_lo
	s_cbranch_execz .LBB9_11
; %bb.1:
	s_load_b32 s6, s[0:1], 0x0
	v_mov_b32_e32 v3, 0
	v_and_b32_e32 v0, 0x3ff, v0
	s_mov_b32 s7, exec_lo
	s_delay_alu instid0(VALU_DEP_2) | instskip(SKIP_1) | instid1(VALU_DEP_2)
	v_mov_b32_e32 v1, v3
	s_wait_kmcnt 0x0
	v_cmpx_gt_i32_e64 s6, v0
	s_cbranch_execz .LBB9_5
; %bb.2:
	s_clause 0x3
	s_load_b128 s[8:11], s[0:1], 0x20
	s_load_b64 s[2:3], s[0:1], 0x40
	s_load_b32 s4, s[0:1], 0x18
	s_load_b96 s[16:18], s[0:1], 0x30
	v_mov_b32_e32 v1, 0
	s_load_b128 s[12:15], s[0:1], 0x8
	s_wait_kmcnt 0x0
	v_mul_u64_e32 v[4:5], s[8:9], v[2:3]
	v_mul_u64_e32 v[6:7], s[2:3], v[2:3]
	s_ashr_i32 s5, s4, 31
	s_ashr_i32 s9, s18, 31
	v_mul_u64_e32 v[8:9], s[4:5], v[0:1]
	s_mov_b32 s8, s18
	s_lshl_b64 s[2:3], s[14:15], 1
	s_lshl_b64 s[14:15], s[16:17], 1
	s_add_nc_u64 s[2:3], s[12:13], s[2:3]
	s_add_nc_u64 s[10:11], s[10:11], s[14:15]
	s_delay_alu instid0(VALU_DEP_3) | instskip(NEXT) | instid1(VALU_DEP_3)
	v_lshlrev_b64_e32 v[4:5], 1, v[4:5]
	v_lshlrev_b64_e32 v[6:7], 1, v[6:7]
	s_delay_alu instid0(VALU_DEP_2) | instskip(SKIP_2) | instid1(VALU_DEP_3)
	v_lshl_add_u64 v[4:5], v[8:9], 1, v[4:5]
	v_mov_b32_e32 v8, v0
	v_mul_u64_e32 v[10:11], s[8:9], v[0:1]
	v_add_nc_u64_e32 v[4:5], s[2:3], v[4:5]
	s_lshl_b64 s[2:3], s[4:5], 7
	s_lshl_b64 s[4:5], s[8:9], 7
	s_mov_b32 s8, 0
	s_delay_alu instid0(VALU_DEP_2) | instskip(NEXT) | instid1(VALU_DEP_1)
	v_lshl_add_u64 v[6:7], v[10:11], 1, v[6:7]
	v_add_nc_u64_e32 v[6:7], s[10:11], v[6:7]
.LBB9_3:                                ; =>This Inner Loop Header: Depth=1
	global_load_u16 v9, v[4:5], off
	global_load_u16 v10, v[6:7], off
	v_add_nc_u32_e32 v8, 64, v8
	s_wait_xcnt 0x1
	v_add_nc_u64_e32 v[4:5], s[2:3], v[4:5]
	s_wait_xcnt 0x0
	v_add_nc_u64_e32 v[6:7], s[4:5], v[6:7]
	v_cmp_le_i32_e32 vcc_lo, s6, v8
	s_or_b32 s8, vcc_lo, s8
	s_wait_loadcnt 0x0
	v_fma_mix_f32_bf16 v1, v10, v9, v1 op_sel_hi:[1,1,0]
	s_and_not1_b32 exec_lo, exec_lo, s8
	s_cbranch_execnz .LBB9_3
; %bb.4:
	s_or_b32 exec_lo, exec_lo, s8
.LBB9_5:
	s_delay_alu instid0(SALU_CYCLE_1) | instskip(SKIP_4) | instid1(VALU_DEP_1)
	s_or_b32 exec_lo, exec_lo, s7
	v_mbcnt_lo_u32_b32 v4, -1, 0
	s_load_b64 s[0:1], s[0:1], 0x50
	s_barrier_signal -1
	s_barrier_wait -1
	v_lshlrev_b32_e32 v5, 2, v4
	v_cmp_gt_u32_e32 vcc_lo, 24, v4
	ds_bpermute_b32 v6, v5, v1
	s_wait_dscnt 0x0
	v_dual_add_f32 v1, v1, v6 :: v_dual_bitop2_b32 v5, 64, v5 bitop3:0x54
	v_cndmask_b32_e64 v6, 0, 8, vcc_lo
	v_cmp_gt_u32_e32 vcc_lo, 28, v4
	ds_bpermute_b32 v5, v5, v1
	v_add_lshl_u32 v6, v6, v4, 2
	s_wait_dscnt 0x0
	v_add_f32_e32 v1, v1, v5
	ds_bpermute_b32 v5, v6, v1
	v_cndmask_b32_e64 v6, 0, 4, vcc_lo
	v_cmp_gt_u32_e32 vcc_lo, 30, v4
	s_delay_alu instid0(VALU_DEP_2)
	v_add_lshl_u32 v6, v6, v4, 2
	s_wait_dscnt 0x0
	v_add_f32_e32 v1, v1, v5
	ds_bpermute_b32 v5, v6, v1
	v_cndmask_b32_e64 v6, 0, 2, vcc_lo
	v_cmp_ne_u32_e32 vcc_lo, 31, v4
	s_delay_alu instid0(VALU_DEP_2) | instskip(SKIP_3) | instid1(VALU_DEP_2)
	v_add_lshl_u32 v6, v6, v4, 2
	v_add_co_ci_u32_e64 v4, null, 0, v4, vcc_lo
	v_cmp_eq_u32_e32 vcc_lo, 0, v0
	s_wait_dscnt 0x0
	v_dual_add_f32 v1, v1, v5 :: v_dual_lshlrev_b32 v4, 2, v4
	ds_bpermute_b32 v5, v6, v1
	s_wait_dscnt 0x0
	v_add_f32_e32 v1, v1, v5
	ds_bpermute_b32 v4, v4, v1
	s_and_b32 exec_lo, exec_lo, vcc_lo
	s_cbranch_execz .LBB9_11
; %bb.6:
	s_wait_dscnt 0x0
	v_add_f32_e32 v0, v1, v4
	s_delay_alu instid0(VALU_DEP_1) | instskip(NEXT) | instid1(VALU_DEP_1)
	v_and_b32_e32 v1, 0x7f800000, v0
	v_cmp_ne_u32_e32 vcc_lo, 0x7f800000, v1
                                        ; implicit-def: $vgpr1
	s_and_saveexec_b32 s2, vcc_lo
	s_delay_alu instid0(SALU_CYCLE_1)
	s_xor_b32 s2, exec_lo, s2
; %bb.7:
	v_bfe_u32 v1, v0, 16, 1
	s_delay_alu instid0(VALU_DEP_1)
	v_add3_u32 v1, v0, v1, 0x7fff
                                        ; implicit-def: $vgpr0
; %bb.8:
	s_and_not1_saveexec_b32 s2, s2
; %bb.9:
	v_and_b32_e32 v1, 0xffff, v0
	v_or_b32_e32 v4, 0x10000, v0
	s_delay_alu instid0(VALU_DEP_2) | instskip(NEXT) | instid1(VALU_DEP_2)
	v_cmp_eq_u32_e32 vcc_lo, 0, v1
	v_cndmask_b32_e32 v1, v4, v0, vcc_lo
; %bb.10:
	s_or_b32 exec_lo, exec_lo, s2
	s_wait_kmcnt 0x0
	v_lshl_add_u64 v[2:3], v[2:3], 1, s[0:1]
	global_store_d16_hi_b16 v[2:3], v1, off
.LBB9_11:
	s_endpgm
	.section	.rodata,"a",@progbits
	.p2align	6, 0x0
	.amdhsa_kernel _ZL28rocblas_dot_batched_4_kernelIiLi64ELi4ELb0Ef16rocblas_bfloat16PKS0_EviT5_lT_lS3_lS4_liPT4_
		.amdhsa_group_segment_fixed_size 0
		.amdhsa_private_segment_fixed_size 0
		.amdhsa_kernarg_size 88
		.amdhsa_user_sgpr_count 2
		.amdhsa_user_sgpr_dispatch_ptr 0
		.amdhsa_user_sgpr_queue_ptr 0
		.amdhsa_user_sgpr_kernarg_segment_ptr 1
		.amdhsa_user_sgpr_dispatch_id 0
		.amdhsa_user_sgpr_kernarg_preload_length 0
		.amdhsa_user_sgpr_kernarg_preload_offset 0
		.amdhsa_user_sgpr_private_segment_size 0
		.amdhsa_wavefront_size32 1
		.amdhsa_uses_dynamic_stack 0
		.amdhsa_enable_private_segment 0
		.amdhsa_system_sgpr_workgroup_id_x 1
		.amdhsa_system_sgpr_workgroup_id_y 0
		.amdhsa_system_sgpr_workgroup_id_z 0
		.amdhsa_system_sgpr_workgroup_info 0
		.amdhsa_system_vgpr_workitem_id 1
		.amdhsa_next_free_vgpr 12
		.amdhsa_next_free_sgpr 19
		.amdhsa_named_barrier_count 0
		.amdhsa_reserve_vcc 1
		.amdhsa_float_round_mode_32 0
		.amdhsa_float_round_mode_16_64 0
		.amdhsa_float_denorm_mode_32 3
		.amdhsa_float_denorm_mode_16_64 3
		.amdhsa_fp16_overflow 0
		.amdhsa_memory_ordered 1
		.amdhsa_forward_progress 1
		.amdhsa_inst_pref_size 6
		.amdhsa_round_robin_scheduling 0
		.amdhsa_exception_fp_ieee_invalid_op 0
		.amdhsa_exception_fp_denorm_src 0
		.amdhsa_exception_fp_ieee_div_zero 0
		.amdhsa_exception_fp_ieee_overflow 0
		.amdhsa_exception_fp_ieee_underflow 0
		.amdhsa_exception_fp_ieee_inexact 0
		.amdhsa_exception_int_div_zero 0
	.end_amdhsa_kernel
	.section	.text._ZL28rocblas_dot_batched_4_kernelIiLi64ELi4ELb0Ef16rocblas_bfloat16PKS0_EviT5_lT_lS3_lS4_liPT4_,"axG",@progbits,_ZL28rocblas_dot_batched_4_kernelIiLi64ELi4ELb0Ef16rocblas_bfloat16PKS0_EviT5_lT_lS3_lS4_liPT4_,comdat
.Lfunc_end9:
	.size	_ZL28rocblas_dot_batched_4_kernelIiLi64ELi4ELb0Ef16rocblas_bfloat16PKS0_EviT5_lT_lS3_lS4_liPT4_, .Lfunc_end9-_ZL28rocblas_dot_batched_4_kernelIiLi64ELi4ELb0Ef16rocblas_bfloat16PKS0_EviT5_lT_lS3_lS4_liPT4_
                                        ; -- End function
	.set _ZL28rocblas_dot_batched_4_kernelIiLi64ELi4ELb0Ef16rocblas_bfloat16PKS0_EviT5_lT_lS3_lS4_liPT4_.num_vgpr, 12
	.set _ZL28rocblas_dot_batched_4_kernelIiLi64ELi4ELb0Ef16rocblas_bfloat16PKS0_EviT5_lT_lS3_lS4_liPT4_.num_agpr, 0
	.set _ZL28rocblas_dot_batched_4_kernelIiLi64ELi4ELb0Ef16rocblas_bfloat16PKS0_EviT5_lT_lS3_lS4_liPT4_.numbered_sgpr, 19
	.set _ZL28rocblas_dot_batched_4_kernelIiLi64ELi4ELb0Ef16rocblas_bfloat16PKS0_EviT5_lT_lS3_lS4_liPT4_.num_named_barrier, 0
	.set _ZL28rocblas_dot_batched_4_kernelIiLi64ELi4ELb0Ef16rocblas_bfloat16PKS0_EviT5_lT_lS3_lS4_liPT4_.private_seg_size, 0
	.set _ZL28rocblas_dot_batched_4_kernelIiLi64ELi4ELb0Ef16rocblas_bfloat16PKS0_EviT5_lT_lS3_lS4_liPT4_.uses_vcc, 1
	.set _ZL28rocblas_dot_batched_4_kernelIiLi64ELi4ELb0Ef16rocblas_bfloat16PKS0_EviT5_lT_lS3_lS4_liPT4_.uses_flat_scratch, 0
	.set _ZL28rocblas_dot_batched_4_kernelIiLi64ELi4ELb0Ef16rocblas_bfloat16PKS0_EviT5_lT_lS3_lS4_liPT4_.has_dyn_sized_stack, 0
	.set _ZL28rocblas_dot_batched_4_kernelIiLi64ELi4ELb0Ef16rocblas_bfloat16PKS0_EviT5_lT_lS3_lS4_liPT4_.has_recursion, 0
	.set _ZL28rocblas_dot_batched_4_kernelIiLi64ELi4ELb0Ef16rocblas_bfloat16PKS0_EviT5_lT_lS3_lS4_liPT4_.has_indirect_call, 0
	.section	.AMDGPU.csdata,"",@progbits
; Kernel info:
; codeLenInByte = 720
; TotalNumSgprs: 21
; NumVgprs: 12
; ScratchSize: 0
; MemoryBound: 0
; FloatMode: 240
; IeeeMode: 1
; LDSByteSize: 0 bytes/workgroup (compile time only)
; SGPRBlocks: 0
; VGPRBlocks: 0
; NumSGPRsForWavesPerEU: 21
; NumVGPRsForWavesPerEU: 12
; NamedBarCnt: 0
; Occupancy: 16
; WaveLimiterHint : 0
; COMPUTE_PGM_RSRC2:SCRATCH_EN: 0
; COMPUTE_PGM_RSRC2:USER_SGPR: 2
; COMPUTE_PGM_RSRC2:TRAP_HANDLER: 0
; COMPUTE_PGM_RSRC2:TGID_X_EN: 1
; COMPUTE_PGM_RSRC2:TGID_Y_EN: 0
; COMPUTE_PGM_RSRC2:TGID_Z_EN: 0
; COMPUTE_PGM_RSRC2:TIDIG_COMP_CNT: 1
	.section	.text._ZL26rocblas_dot_kernel_inc1by2ILb1ELi1024ELi32ELb0E16rocblas_bfloat16PKS0_fEviT4_llS3_lliPT5_PT3_,"axG",@progbits,_ZL26rocblas_dot_kernel_inc1by2ILb1ELi1024ELi32ELb0E16rocblas_bfloat16PKS0_fEviT4_llS3_lliPT5_PT3_,comdat
	.globl	_ZL26rocblas_dot_kernel_inc1by2ILb1ELi1024ELi32ELb0E16rocblas_bfloat16PKS0_fEviT4_llS3_lliPT5_PT3_ ; -- Begin function _ZL26rocblas_dot_kernel_inc1by2ILb1ELi1024ELi32ELb0E16rocblas_bfloat16PKS0_fEviT4_llS3_lliPT5_PT3_
	.p2align	8
	.type	_ZL26rocblas_dot_kernel_inc1by2ILb1ELi1024ELi32ELb0E16rocblas_bfloat16PKS0_fEviT4_llS3_lliPT5_PT3_,@function
_ZL26rocblas_dot_kernel_inc1by2ILb1ELi1024ELi32ELb0E16rocblas_bfloat16PKS0_fEviT4_llS3_lliPT5_PT3_: ; @_ZL26rocblas_dot_kernel_inc1by2ILb1ELi1024ELi32ELb0E16rocblas_bfloat16PKS0_fEviT4_llS3_lliPT5_PT3_
; %bb.0:
	s_load_b32 s3, s[0:1], 0x38
	s_bfe_u32 s2, ttmp6, 0x40014
	s_lshr_b32 s4, ttmp7, 16
	s_add_co_i32 s2, s2, 1
	s_bfe_u32 s5, ttmp6, 0x40008
	s_mul_i32 s2, s4, s2
	s_getreg_b32 s6, hwreg(HW_REG_IB_STS2, 6, 4)
	s_add_co_i32 s5, s5, s2
	s_cmp_eq_u32 s6, 0
	s_mov_b32 s13, 0
	s_cselect_b32 s12, s4, s5
	s_wait_kmcnt 0x0
	s_cmp_ge_u32 s12, s3
	s_cbranch_scc1 .LBB10_23
; %bb.1:
	s_clause 0x4
	s_load_b32 s20, s[0:1], 0x0
	s_load_b128 s[4:7], s[0:1], 0x10
	s_load_b128 s[8:11], s[0:1], 0x28
	s_load_b64 s[16:17], s[0:1], 0x8
	s_load_b64 s[18:19], s[0:1], 0x20
	v_mbcnt_lo_u32_b32 v2, -1, 0
	s_load_b64 s[14:15], s[0:1], 0x48
	v_dual_mov_b32 v13, 0 :: v_dual_bitop2_b32 v1, 31, v0 bitop3:0x40
	v_cmp_gt_u32_e32 vcc_lo, 32, v0
	s_wait_xcnt 0x0
	v_cmp_gt_u32_e64 s0, 24, v2
	v_lshl_or_b32 v7, v2, 2, 64
	s_delay_alu instid0(VALU_DEP_2) | instskip(SKIP_1) | instid1(VALU_DEP_2)
	v_cndmask_b32_e64 v3, 0, 8, s0
	v_cmp_gt_u32_e64 s0, 28, v2
	v_add_lshl_u32 v8, v3, v2, 2
	s_delay_alu instid0(VALU_DEP_2)
	v_cndmask_b32_e64 v4, 0, 4, s0
	s_wait_kmcnt 0x0
	s_lshl_b64 s[0:1], s[4:5], 1
	v_lshrrev_b32_e32 v3, 3, v0
	s_add_nc_u64 s[4:5], s[16:17], s[0:1]
	v_cmp_gt_u32_e64 s0, 30, v2
	s_ashr_i32 s21, s20, 31
	s_lshl_b64 s[8:9], s[8:9], 1
	s_add_co_i32 s22, s20, -1
	v_add_lshl_u32 v9, v4, v2, 2
	v_cndmask_b32_e64 v5, 0, 2, s0
	v_cmp_ne_u32_e64 s0, 31, v2
	v_and_b32_e32 v12, 0x7c, v3
	v_cmp_eq_u32_e64 s1, 0, v0
	s_bitcmp1_b32 s20, 0
	v_add_lshl_u32 v10, v5, v2, 2
	v_add_co_ci_u32_e64 v11, null, 0, v2, s0
	v_lshlrev_b32_e32 v6, 2, v1
	v_cmp_eq_u32_e64 s0, 0, v1
	s_add_nc_u64 s[8:9], s[18:19], s[8:9]
	v_lshlrev_b32_e32 v11, 2, v11
	s_cselect_b32 s23, -1, 0
	s_lshl_b64 s[16:17], s[10:11], 1
	s_lshl_b64 s[18:19], s[6:7], 1
	;; [unrolled: 1-line block ×3, first 2 shown]
	s_branch .LBB10_4
.LBB10_2:                               ;   in Loop: Header=BB10_4 Depth=1
	s_or_b32 exec_lo, exec_lo, s25
	s_lshl_b64 s[26:27], s[12:13], 1
	s_delay_alu instid0(SALU_CYCLE_1)
	s_add_nc_u64 s[26:27], s[14:15], s[26:27]
	global_store_d16_hi_b16 v13, v2, s[26:27]
.LBB10_3:                               ;   in Loop: Header=BB10_4 Depth=1
	s_wait_xcnt 0x0
	s_or_b32 exec_lo, exec_lo, s24
	s_add_co_i32 s12, s12, 0x10000
	s_delay_alu instid0(SALU_CYCLE_1)
	s_cmp_lt_u32 s12, s3
	s_cbranch_scc0 .LBB10_23
.LBB10_4:                               ; =>This Loop Header: Depth=1
                                        ;     Child Loop BB10_6 Depth 2
	s_wait_dscnt 0x0
	v_dual_mov_b32 v1, 0 :: v_dual_lshlrev_b32 v0, 1, v0
	s_mov_b32 s24, exec_lo
	s_delay_alu instid0(VALU_DEP_1)
	v_cmpx_gt_i32_e64 s22, v0
	s_cbranch_execz .LBB10_8
; %bb.5:                                ;   in Loop: Header=BB10_4 Depth=1
	v_ashrrev_i32_e32 v1, 31, v0
	s_mul_u64 s[26:27], s[16:17], s[12:13]
	s_mul_u64 s[28:29], s[18:19], s[12:13]
	s_add_nc_u64 s[26:27], s[8:9], s[26:27]
	s_add_nc_u64 s[28:29], s[4:5], s[28:29]
	v_lshlrev_b64_e32 v[4:5], 1, v[0:1]
	v_mov_b32_e32 v1, 0
	s_mov_b32 s25, 0
	s_mov_b32 s2, 0
	s_delay_alu instid0(VALU_DEP_2)
	v_add_nc_u64_e32 v[2:3], s[26:27], v[4:5]
	v_add_nc_u64_e32 v[4:5], s[28:29], v[4:5]
.LBB10_6:                               ;   Parent Loop BB10_4 Depth=1
                                        ; =>  This Inner Loop Header: Depth=2
	global_load_b32 v14, v[2:3], off
	global_load_b32 v16, v[4:5], off
	s_add_co_i32 s26, s2, 1
	s_cmp_gt_u32 s2, 30
	s_wait_xcnt 0x1
	v_add_nc_u64_e32 v[2:3], 0x1000, v[2:3]
	s_cselect_b32 s27, -1, 0
	s_wait_xcnt 0x0
	v_add_nc_u64_e32 v[4:5], 0x1000, v[4:5]
	s_wait_loadcnt 0x1
	v_and_b32_e32 v15, 0xffff0000, v14
	v_lshlrev_b32_e32 v14, 16, v14
	s_wait_loadcnt 0x0
	v_and_b32_e32 v17, 0xffff0000, v16
	v_lshlrev_b32_e32 v16, 16, v16
	s_delay_alu instid0(VALU_DEP_1) | instskip(NEXT) | instid1(VALU_DEP_1)
	v_pk_mul_f32 v[14:15], v[14:15], v[16:17]
	v_dual_add_f32 v1, v1, v14 :: v_dual_add_nc_u32 v0, 0x800, v0
	s_delay_alu instid0(VALU_DEP_1) | instskip(NEXT) | instid1(VALU_DEP_2)
	v_cmp_le_i32_e64 s2, s22, v0
	v_add_f32_e32 v1, v1, v15
	s_or_b32 s2, s27, s2
	s_delay_alu instid0(SALU_CYCLE_1) | instskip(NEXT) | instid1(SALU_CYCLE_1)
	s_and_b32 s2, exec_lo, s2
	s_or_b32 s25, s2, s25
	s_mov_b32 s2, s26
	s_and_not1_b32 exec_lo, exec_lo, s25
	s_cbranch_execnz .LBB10_6
; %bb.7:                                ;   in Loop: Header=BB10_4 Depth=1
	s_or_b32 exec_lo, exec_lo, s25
.LBB10_8:                               ;   in Loop: Header=BB10_4 Depth=1
	s_delay_alu instid0(SALU_CYCLE_1) | instskip(SKIP_2) | instid1(SALU_CYCLE_1)
	s_or_b32 exec_lo, exec_lo, s24
	v_cmp_eq_u32_e64 s2, s22, v0
	s_and_b32 s24, s23, s2
	s_and_saveexec_b32 s2, s24
	s_cbranch_execz .LBB10_10
; %bb.9:                                ;   in Loop: Header=BB10_4 Depth=1
	s_mul_u64 s[24:25], s[10:11], s[12:13]
	s_mul_u64 s[26:27], s[6:7], s[12:13]
	s_lshl_b64 s[24:25], s[24:25], 1
	s_lshl_b64 s[26:27], s[26:27], 1
	s_add_nc_u64 s[24:25], s[8:9], s[24:25]
	s_add_nc_u64 s[26:27], s[4:5], s[26:27]
	;; [unrolled: 1-line block ×4, first 2 shown]
	s_add_nc_u64 s[24:25], s[24:25], -2
	s_add_nc_u64 s[26:27], s[26:27], -2
	s_load_u16 s28, s[24:25], 0x0
	s_load_u16 s29, s[26:27], 0x0
	s_wait_kmcnt 0x0
	v_fma_mix_f32_bf16 v1, s29, s28, v1 op_sel_hi:[1,1,0]
.LBB10_10:                              ;   in Loop: Header=BB10_4 Depth=1
	s_or_b32 exec_lo, exec_lo, s2
	s_and_saveexec_b32 s2, vcc_lo
; %bb.11:                               ;   in Loop: Header=BB10_4 Depth=1
	ds_store_b32 v6, v13
; %bb.12:                               ;   in Loop: Header=BB10_4 Depth=1
	s_or_b32 exec_lo, exec_lo, s2
	ds_bpermute_b32 v2, v7, v1
	s_wait_dscnt 0x0
	s_barrier_signal -1
	s_barrier_wait -1
	v_add_f32_e32 v1, v1, v2
	ds_bpermute_b32 v2, v8, v1
	s_wait_dscnt 0x0
	v_add_f32_e32 v1, v1, v2
	ds_bpermute_b32 v2, v9, v1
	s_wait_dscnt 0x0
	;; [unrolled: 3-line block ×3, first 2 shown]
	v_add_f32_e32 v1, v1, v2
	ds_bpermute_b32 v2, v11, v1
	s_and_saveexec_b32 s2, s0
	s_cbranch_execz .LBB10_14
; %bb.13:                               ;   in Loop: Header=BB10_4 Depth=1
	s_wait_dscnt 0x0
	v_add_f32_e32 v1, v1, v2
	ds_store_b32 v12, v1
.LBB10_14:                              ;   in Loop: Header=BB10_4 Depth=1
	s_or_b32 exec_lo, exec_lo, s2
	v_mov_b32_e32 v1, 0
	s_wait_dscnt 0x0
	s_barrier_signal -1
	s_barrier_wait -1
	s_and_saveexec_b32 s2, vcc_lo
	s_cbranch_execnz .LBB10_17
; %bb.15:                               ;   in Loop: Header=BB10_4 Depth=1
	s_or_b32 exec_lo, exec_lo, s2
	s_and_saveexec_b32 s2, vcc_lo
	s_cbranch_execnz .LBB10_18
.LBB10_16:                              ;   in Loop: Header=BB10_4 Depth=1
	s_or_b32 exec_lo, exec_lo, s2
	s_wait_xcnt 0x0
	s_and_saveexec_b32 s24, s1
	s_cbranch_execz .LBB10_3
	s_branch .LBB10_19
.LBB10_17:                              ;   in Loop: Header=BB10_4 Depth=1
	ds_load_b32 v1, v6
	s_or_b32 exec_lo, exec_lo, s2
	s_and_saveexec_b32 s2, vcc_lo
	s_cbranch_execz .LBB10_16
.LBB10_18:                              ;   in Loop: Header=BB10_4 Depth=1
	s_wait_dscnt 0x0
	ds_bpermute_b32 v2, v7, v1
	s_wait_dscnt 0x0
	v_add_f32_e32 v1, v1, v2
	ds_bpermute_b32 v2, v8, v1
	s_wait_dscnt 0x0
	v_add_f32_e32 v1, v1, v2
	ds_bpermute_b32 v2, v9, v1
	s_wait_dscnt 0x0
	v_add_f32_e32 v1, v1, v2
	ds_bpermute_b32 v2, v10, v1
	s_wait_dscnt 0x0
	v_add_f32_e32 v1, v1, v2
	ds_bpermute_b32 v2, v11, v1
	s_wait_dscnt 0x0
	v_add_f32_e32 v1, v1, v2
	s_or_b32 exec_lo, exec_lo, s2
	s_wait_xcnt 0x0
	s_and_saveexec_b32 s24, s1
	s_cbranch_execz .LBB10_3
.LBB10_19:                              ;   in Loop: Header=BB10_4 Depth=1
	s_wait_dscnt 0x0
	v_and_b32_e32 v2, 0x7f800000, v1
	s_delay_alu instid0(VALU_DEP_1) | instskip(SKIP_1) | instid1(SALU_CYCLE_1)
	v_cmp_ne_u32_e64 s2, 0x7f800000, v2
                                        ; implicit-def: $vgpr2
	s_and_saveexec_b32 s25, s2
	s_xor_b32 s2, exec_lo, s25
; %bb.20:                               ;   in Loop: Header=BB10_4 Depth=1
	v_bfe_u32 v2, v1, 16, 1
	s_delay_alu instid0(VALU_DEP_1)
	v_add3_u32 v2, v1, v2, 0x7fff
                                        ; implicit-def: $vgpr1
; %bb.21:                               ;   in Loop: Header=BB10_4 Depth=1
	s_and_not1_saveexec_b32 s25, s2
	s_cbranch_execz .LBB10_2
; %bb.22:                               ;   in Loop: Header=BB10_4 Depth=1
	v_and_b32_e32 v2, 0xffff, v1
	v_or_b32_e32 v3, 0x10000, v1
	s_delay_alu instid0(VALU_DEP_2) | instskip(NEXT) | instid1(VALU_DEP_1)
	v_cmp_eq_u32_e64 s2, 0, v2
	v_cndmask_b32_e64 v2, v3, v1, s2
	s_branch .LBB10_2
.LBB10_23:
	s_endpgm
	.section	.rodata,"a",@progbits
	.p2align	6, 0x0
	.amdhsa_kernel _ZL26rocblas_dot_kernel_inc1by2ILb1ELi1024ELi32ELb0E16rocblas_bfloat16PKS0_fEviT4_llS3_lliPT5_PT3_
		.amdhsa_group_segment_fixed_size 128
		.amdhsa_private_segment_fixed_size 0
		.amdhsa_kernarg_size 80
		.amdhsa_user_sgpr_count 2
		.amdhsa_user_sgpr_dispatch_ptr 0
		.amdhsa_user_sgpr_queue_ptr 0
		.amdhsa_user_sgpr_kernarg_segment_ptr 1
		.amdhsa_user_sgpr_dispatch_id 0
		.amdhsa_user_sgpr_kernarg_preload_length 0
		.amdhsa_user_sgpr_kernarg_preload_offset 0
		.amdhsa_user_sgpr_private_segment_size 0
		.amdhsa_wavefront_size32 1
		.amdhsa_uses_dynamic_stack 0
		.amdhsa_enable_private_segment 0
		.amdhsa_system_sgpr_workgroup_id_x 1
		.amdhsa_system_sgpr_workgroup_id_y 0
		.amdhsa_system_sgpr_workgroup_id_z 1
		.amdhsa_system_sgpr_workgroup_info 0
		.amdhsa_system_vgpr_workitem_id 0
		.amdhsa_next_free_vgpr 18
		.amdhsa_next_free_sgpr 30
		.amdhsa_named_barrier_count 0
		.amdhsa_reserve_vcc 1
		.amdhsa_float_round_mode_32 0
		.amdhsa_float_round_mode_16_64 0
		.amdhsa_float_denorm_mode_32 3
		.amdhsa_float_denorm_mode_16_64 3
		.amdhsa_fp16_overflow 0
		.amdhsa_memory_ordered 1
		.amdhsa_forward_progress 1
		.amdhsa_inst_pref_size 9
		.amdhsa_round_robin_scheduling 0
		.amdhsa_exception_fp_ieee_invalid_op 0
		.amdhsa_exception_fp_denorm_src 0
		.amdhsa_exception_fp_ieee_div_zero 0
		.amdhsa_exception_fp_ieee_overflow 0
		.amdhsa_exception_fp_ieee_underflow 0
		.amdhsa_exception_fp_ieee_inexact 0
		.amdhsa_exception_int_div_zero 0
	.end_amdhsa_kernel
	.section	.text._ZL26rocblas_dot_kernel_inc1by2ILb1ELi1024ELi32ELb0E16rocblas_bfloat16PKS0_fEviT4_llS3_lliPT5_PT3_,"axG",@progbits,_ZL26rocblas_dot_kernel_inc1by2ILb1ELi1024ELi32ELb0E16rocblas_bfloat16PKS0_fEviT4_llS3_lliPT5_PT3_,comdat
.Lfunc_end10:
	.size	_ZL26rocblas_dot_kernel_inc1by2ILb1ELi1024ELi32ELb0E16rocblas_bfloat16PKS0_fEviT4_llS3_lliPT5_PT3_, .Lfunc_end10-_ZL26rocblas_dot_kernel_inc1by2ILb1ELi1024ELi32ELb0E16rocblas_bfloat16PKS0_fEviT4_llS3_lliPT5_PT3_
                                        ; -- End function
	.set _ZL26rocblas_dot_kernel_inc1by2ILb1ELi1024ELi32ELb0E16rocblas_bfloat16PKS0_fEviT4_llS3_lliPT5_PT3_.num_vgpr, 18
	.set _ZL26rocblas_dot_kernel_inc1by2ILb1ELi1024ELi32ELb0E16rocblas_bfloat16PKS0_fEviT4_llS3_lliPT5_PT3_.num_agpr, 0
	.set _ZL26rocblas_dot_kernel_inc1by2ILb1ELi1024ELi32ELb0E16rocblas_bfloat16PKS0_fEviT4_llS3_lliPT5_PT3_.numbered_sgpr, 30
	.set _ZL26rocblas_dot_kernel_inc1by2ILb1ELi1024ELi32ELb0E16rocblas_bfloat16PKS0_fEviT4_llS3_lliPT5_PT3_.num_named_barrier, 0
	.set _ZL26rocblas_dot_kernel_inc1by2ILb1ELi1024ELi32ELb0E16rocblas_bfloat16PKS0_fEviT4_llS3_lliPT5_PT3_.private_seg_size, 0
	.set _ZL26rocblas_dot_kernel_inc1by2ILb1ELi1024ELi32ELb0E16rocblas_bfloat16PKS0_fEviT4_llS3_lliPT5_PT3_.uses_vcc, 1
	.set _ZL26rocblas_dot_kernel_inc1by2ILb1ELi1024ELi32ELb0E16rocblas_bfloat16PKS0_fEviT4_llS3_lliPT5_PT3_.uses_flat_scratch, 0
	.set _ZL26rocblas_dot_kernel_inc1by2ILb1ELi1024ELi32ELb0E16rocblas_bfloat16PKS0_fEviT4_llS3_lliPT5_PT3_.has_dyn_sized_stack, 0
	.set _ZL26rocblas_dot_kernel_inc1by2ILb1ELi1024ELi32ELb0E16rocblas_bfloat16PKS0_fEviT4_llS3_lliPT5_PT3_.has_recursion, 0
	.set _ZL26rocblas_dot_kernel_inc1by2ILb1ELi1024ELi32ELb0E16rocblas_bfloat16PKS0_fEviT4_llS3_lliPT5_PT3_.has_indirect_call, 0
	.section	.AMDGPU.csdata,"",@progbits
; Kernel info:
; codeLenInByte = 1152
; TotalNumSgprs: 32
; NumVgprs: 18
; ScratchSize: 0
; MemoryBound: 0
; FloatMode: 240
; IeeeMode: 1
; LDSByteSize: 128 bytes/workgroup (compile time only)
; SGPRBlocks: 0
; VGPRBlocks: 1
; NumSGPRsForWavesPerEU: 32
; NumVGPRsForWavesPerEU: 18
; NamedBarCnt: 0
; Occupancy: 16
; WaveLimiterHint : 0
; COMPUTE_PGM_RSRC2:SCRATCH_EN: 0
; COMPUTE_PGM_RSRC2:USER_SGPR: 2
; COMPUTE_PGM_RSRC2:TRAP_HANDLER: 0
; COMPUTE_PGM_RSRC2:TGID_X_EN: 1
; COMPUTE_PGM_RSRC2:TGID_Y_EN: 0
; COMPUTE_PGM_RSRC2:TGID_Z_EN: 1
; COMPUTE_PGM_RSRC2:TIDIG_COMP_CNT: 0
	.section	.text._ZL18rocblas_dot_kernelIiLb1ELi1024ELi32ELb0E16rocblas_bfloat16PKS0_fEviT5_lT_lS3_lS4_liPT6_PT4_,"axG",@progbits,_ZL18rocblas_dot_kernelIiLb1ELi1024ELi32ELb0E16rocblas_bfloat16PKS0_fEviT5_lT_lS3_lS4_liPT6_PT4_,comdat
	.globl	_ZL18rocblas_dot_kernelIiLb1ELi1024ELi32ELb0E16rocblas_bfloat16PKS0_fEviT5_lT_lS3_lS4_liPT6_PT4_ ; -- Begin function _ZL18rocblas_dot_kernelIiLb1ELi1024ELi32ELb0E16rocblas_bfloat16PKS0_fEviT5_lT_lS3_lS4_liPT6_PT4_
	.p2align	8
	.type	_ZL18rocblas_dot_kernelIiLb1ELi1024ELi32ELb0E16rocblas_bfloat16PKS0_fEviT5_lT_lS3_lS4_liPT6_PT4_,@function
_ZL18rocblas_dot_kernelIiLb1ELi1024ELi32ELb0E16rocblas_bfloat16PKS0_fEviT5_lT_lS3_lS4_liPT6_PT4_: ; @_ZL18rocblas_dot_kernelIiLb1ELi1024ELi32ELb0E16rocblas_bfloat16PKS0_fEviT5_lT_lS3_lS4_liPT6_PT4_
; %bb.0:
	s_load_b32 s3, s[0:1], 0x48
	s_bfe_u32 s2, ttmp6, 0x40014
	s_lshr_b32 s4, ttmp7, 16
	s_add_co_i32 s2, s2, 1
	s_bfe_u32 s5, ttmp6, 0x40008
	s_mul_i32 s2, s4, s2
	s_getreg_b32 s6, hwreg(HW_REG_IB_STS2, 6, 4)
	s_add_co_i32 s5, s5, s2
	s_cmp_eq_u32 s6, 0
	s_mov_b32 s17, 0
	s_cselect_b32 s16, s4, s5
	s_wait_kmcnt 0x0
	s_cmp_ge_u32 s16, s3
	s_cbranch_scc1 .LBB11_21
; %bb.1:
	v_mbcnt_lo_u32_b32 v3, -1, 0
	s_clause 0x6
	s_load_b32 s24, s[0:1], 0x18
	s_load_b96 s[12:14], s[0:1], 0x30
	s_load_b96 s[8:10], s[0:1], 0x58
	s_load_b128 s[4:7], s[0:1], 0x20
	s_load_b128 s[20:23], s[0:1], 0x8
	s_load_b32 s26, s[0:1], 0x0
	s_load_b64 s[28:29], s[0:1], 0x40
	v_and_b32_e32 v2, 31, v0
	s_wait_xcnt 0x0
	v_cmp_eq_u32_e64 s1, 0, v0
	v_cmp_gt_u32_e64 s0, 24, v3
	v_lshl_or_b32 v6, v3, 2, 64
	v_cmp_gt_u32_e32 vcc_lo, 32, v0
	v_mov_b32_e32 v12, 0
	s_delay_alu instid0(VALU_DEP_4) | instskip(SKIP_1) | instid1(VALU_DEP_2)
	v_cndmask_b32_e64 v4, 0, 8, s0
	v_cmp_gt_u32_e64 s0, 28, v3
	v_add_lshl_u32 v7, v4, v3, 2
	s_delay_alu instid0(VALU_DEP_2)
	v_cndmask_b32_e64 v5, 0, 4, s0
	v_cmp_gt_u32_e64 s0, 30, v3
	v_lshrrev_b32_e32 v4, 3, v0
	s_wait_kmcnt 0x0
	s_ashr_i32 s25, s24, 31
	s_lshl_b32 s10, s10, 10
	s_ashr_i32 s31, s14, 31
	v_cndmask_b32_e64 v9, 0, 2, s0
	v_cmp_ne_u32_e64 s0, 31, v3
	s_mov_b32 s30, s14
	s_lshl_b64 s[14:15], s[22:23], 1
	s_ashr_i32 s11, s10, 31
	v_lshlrev_b32_e32 v1, 2, v2
	v_add_co_ci_u32_e64 v10, null, 0, v3, s0
	v_add_lshl_u32 v8, v5, v3, 2
	v_add_lshl_u32 v9, v9, v3, 2
	v_cmp_eq_u32_e64 s0, 0, v2
	s_delay_alu instid0(VALU_DEP_4)
	v_lshlrev_b32_e32 v10, 2, v10
	v_and_b32_e32 v11, 0x7c, v4
	s_add_nc_u64 s[14:15], s[20:21], s[14:15]
	s_lshl_b64 s[18:19], s[24:25], 1
	s_mul_u64 s[20:21], s[24:25], s[10:11]
	s_lshl_b64 s[22:23], s[12:13], 1
	s_mul_u64 s[24:25], s[30:31], s[10:11]
	s_lshl_b64 s[4:5], s[4:5], 1
	s_lshl_b64 s[12:13], s[20:21], 1
	s_add_nc_u64 s[6:7], s[6:7], s[22:23]
	s_lshl_b64 s[20:21], s[30:31], 1
	s_lshl_b64 s[22:23], s[28:29], 1
	;; [unrolled: 1-line block ×3, first 2 shown]
	s_branch .LBB11_4
.LBB11_2:                               ;   in Loop: Header=BB11_4 Depth=1
	s_or_b32 exec_lo, exec_lo, s27
	s_lshl_b64 s[28:29], s[16:17], 1
	s_delay_alu instid0(SALU_CYCLE_1)
	s_add_nc_u64 s[28:29], s[8:9], s[28:29]
	global_store_d16_hi_b16 v12, v3, s[28:29]
.LBB11_3:                               ;   in Loop: Header=BB11_4 Depth=1
	s_wait_xcnt 0x0
	s_or_b32 exec_lo, exec_lo, s11
	s_add_co_i32 s16, s16, 0x10000
	s_delay_alu instid0(SALU_CYCLE_1)
	s_cmp_lt_u32 s16, s3
	s_cbranch_scc0 .LBB11_21
.LBB11_4:                               ; =>This Loop Header: Depth=1
                                        ;     Child Loop BB11_6 Depth 2
	v_mov_b32_e32 v13, 0
	s_mov_b32 s11, exec_lo
	v_cmpx_gt_i32_e64 s26, v0
	s_cbranch_execz .LBB11_8
; %bb.5:                                ;   in Loop: Header=BB11_4 Depth=1
	s_mul_u64 s[28:29], s[4:5], s[16:17]
	s_mul_u64 s[30:31], s[22:23], s[16:17]
	s_add_nc_u64 s[28:29], s[14:15], s[28:29]
	s_add_nc_u64 s[30:31], s[6:7], s[30:31]
	s_wait_dscnt 0x0
	v_mad_nc_u64_u32 v[2:3], s18, v0, s[28:29]
	v_mad_nc_u64_u32 v[4:5], s20, v0, s[30:31]
	v_ashrrev_i32_e32 v13, 31, v0
	s_mov_b32 s27, 0
	s_mov_b32 s28, 0
	s_delay_alu instid0(VALU_DEP_3) | instskip(NEXT) | instid1(VALU_DEP_3)
	v_mad_u32 v3, s19, v0, v3
	v_mad_u32 v5, s21, v0, v5
	s_delay_alu instid0(VALU_DEP_2) | instskip(NEXT) | instid1(VALU_DEP_2)
	v_mad_u32 v3, s18, v13, v3
	v_mad_u32 v5, s20, v13, v5
	v_mov_b32_e32 v13, 0
.LBB11_6:                               ;   Parent Loop BB11_4 Depth=1
                                        ; =>  This Inner Loop Header: Depth=2
	global_load_u16 v14, v[4:5], off
	global_load_u16 v15, v[2:3], off
	v_add_nc_u32_e32 v0, s10, v0
	s_add_co_i32 s29, s28, 1
	s_cmp_gt_u32 s28, 30
	s_wait_xcnt 0x0
	v_add_nc_u64_e32 v[2:3], s[12:13], v[2:3]
	s_cselect_b32 s28, -1, 0
	v_cmp_le_i32_e64 s2, s26, v0
	v_add_nc_u64_e32 v[4:5], s[24:25], v[4:5]
	s_or_b32 s2, s28, s2
	s_mov_b32 s28, s29
	s_and_b32 s2, exec_lo, s2
	s_delay_alu instid0(SALU_CYCLE_1)
	s_or_b32 s27, s2, s27
	s_wait_loadcnt 0x0
	v_fma_mix_f32_bf16 v13, v15, v14, v13 op_sel_hi:[1,1,0]
	s_and_not1_b32 exec_lo, exec_lo, s27
	s_cbranch_execnz .LBB11_6
; %bb.7:                                ;   in Loop: Header=BB11_4 Depth=1
	s_or_b32 exec_lo, exec_lo, s27
.LBB11_8:                               ;   in Loop: Header=BB11_4 Depth=1
	s_delay_alu instid0(SALU_CYCLE_1)
	s_or_b32 exec_lo, exec_lo, s11
	s_and_saveexec_b32 s2, vcc_lo
; %bb.9:                                ;   in Loop: Header=BB11_4 Depth=1
	ds_store_b32 v1, v12
; %bb.10:                               ;   in Loop: Header=BB11_4 Depth=1
	s_or_b32 exec_lo, exec_lo, s2
	s_wait_dscnt 0x0
	ds_bpermute_b32 v2, v6, v13
	s_wait_dscnt 0x0
	s_barrier_signal -1
	s_barrier_wait -1
	v_add_f32_e32 v2, v13, v2
	ds_bpermute_b32 v3, v7, v2
	s_wait_dscnt 0x0
	v_add_f32_e32 v2, v2, v3
	ds_bpermute_b32 v3, v8, v2
	s_wait_dscnt 0x0
	;; [unrolled: 3-line block ×3, first 2 shown]
	v_add_f32_e32 v2, v2, v3
	ds_bpermute_b32 v3, v10, v2
	s_and_saveexec_b32 s2, s0
	s_cbranch_execz .LBB11_12
; %bb.11:                               ;   in Loop: Header=BB11_4 Depth=1
	s_wait_dscnt 0x0
	v_add_f32_e32 v2, v2, v3
	ds_store_b32 v11, v2
.LBB11_12:                              ;   in Loop: Header=BB11_4 Depth=1
	s_or_b32 exec_lo, exec_lo, s2
	v_mov_b32_e32 v2, 0
	s_wait_dscnt 0x0
	s_barrier_signal -1
	s_barrier_wait -1
	s_and_saveexec_b32 s2, vcc_lo
	s_cbranch_execnz .LBB11_15
; %bb.13:                               ;   in Loop: Header=BB11_4 Depth=1
	s_or_b32 exec_lo, exec_lo, s2
	s_and_saveexec_b32 s2, vcc_lo
	s_cbranch_execnz .LBB11_16
.LBB11_14:                              ;   in Loop: Header=BB11_4 Depth=1
	s_or_b32 exec_lo, exec_lo, s2
	s_and_saveexec_b32 s11, s1
	s_cbranch_execz .LBB11_3
	s_branch .LBB11_17
.LBB11_15:                              ;   in Loop: Header=BB11_4 Depth=1
	ds_load_b32 v2, v1
	s_or_b32 exec_lo, exec_lo, s2
	s_and_saveexec_b32 s2, vcc_lo
	s_cbranch_execz .LBB11_14
.LBB11_16:                              ;   in Loop: Header=BB11_4 Depth=1
	s_wait_dscnt 0x0
	ds_bpermute_b32 v3, v6, v2
	s_wait_dscnt 0x0
	v_add_f32_e32 v2, v2, v3
	ds_bpermute_b32 v3, v7, v2
	s_wait_dscnt 0x0
	v_add_f32_e32 v2, v2, v3
	;; [unrolled: 3-line block ×5, first 2 shown]
	s_or_b32 exec_lo, exec_lo, s2
	s_and_saveexec_b32 s11, s1
	s_cbranch_execz .LBB11_3
.LBB11_17:                              ;   in Loop: Header=BB11_4 Depth=1
	s_wait_dscnt 0x0
	v_and_b32_e32 v3, 0x7f800000, v2
	s_delay_alu instid0(VALU_DEP_1) | instskip(SKIP_1) | instid1(SALU_CYCLE_1)
	v_cmp_ne_u32_e64 s2, 0x7f800000, v3
                                        ; implicit-def: $vgpr3
	s_and_saveexec_b32 s27, s2
	s_xor_b32 s2, exec_lo, s27
; %bb.18:                               ;   in Loop: Header=BB11_4 Depth=1
	v_bfe_u32 v3, v2, 16, 1
	s_delay_alu instid0(VALU_DEP_1)
	v_add3_u32 v3, v2, v3, 0x7fff
                                        ; implicit-def: $vgpr2
; %bb.19:                               ;   in Loop: Header=BB11_4 Depth=1
	s_and_not1_saveexec_b32 s27, s2
	s_cbranch_execz .LBB11_2
; %bb.20:                               ;   in Loop: Header=BB11_4 Depth=1
	v_and_b32_e32 v3, 0xffff, v2
	v_or_b32_e32 v4, 0x10000, v2
	s_delay_alu instid0(VALU_DEP_2) | instskip(NEXT) | instid1(VALU_DEP_1)
	v_cmp_eq_u32_e64 s2, 0, v3
	v_cndmask_b32_e64 v3, v4, v2, s2
	s_branch .LBB11_2
.LBB11_21:
	s_endpgm
	.section	.rodata,"a",@progbits
	.p2align	6, 0x0
	.amdhsa_kernel _ZL18rocblas_dot_kernelIiLb1ELi1024ELi32ELb0E16rocblas_bfloat16PKS0_fEviT5_lT_lS3_lS4_liPT6_PT4_
		.amdhsa_group_segment_fixed_size 128
		.amdhsa_private_segment_fixed_size 0
		.amdhsa_kernarg_size 352
		.amdhsa_user_sgpr_count 2
		.amdhsa_user_sgpr_dispatch_ptr 0
		.amdhsa_user_sgpr_queue_ptr 0
		.amdhsa_user_sgpr_kernarg_segment_ptr 1
		.amdhsa_user_sgpr_dispatch_id 0
		.amdhsa_user_sgpr_kernarg_preload_length 0
		.amdhsa_user_sgpr_kernarg_preload_offset 0
		.amdhsa_user_sgpr_private_segment_size 0
		.amdhsa_wavefront_size32 1
		.amdhsa_uses_dynamic_stack 0
		.amdhsa_enable_private_segment 0
		.amdhsa_system_sgpr_workgroup_id_x 1
		.amdhsa_system_sgpr_workgroup_id_y 0
		.amdhsa_system_sgpr_workgroup_id_z 1
		.amdhsa_system_sgpr_workgroup_info 0
		.amdhsa_system_vgpr_workitem_id 0
		.amdhsa_next_free_vgpr 16
		.amdhsa_next_free_sgpr 32
		.amdhsa_named_barrier_count 0
		.amdhsa_reserve_vcc 1
		.amdhsa_float_round_mode_32 0
		.amdhsa_float_round_mode_16_64 0
		.amdhsa_float_denorm_mode_32 3
		.amdhsa_float_denorm_mode_16_64 3
		.amdhsa_fp16_overflow 0
		.amdhsa_memory_ordered 1
		.amdhsa_forward_progress 1
		.amdhsa_inst_pref_size 9
		.amdhsa_round_robin_scheduling 0
		.amdhsa_exception_fp_ieee_invalid_op 0
		.amdhsa_exception_fp_denorm_src 0
		.amdhsa_exception_fp_ieee_div_zero 0
		.amdhsa_exception_fp_ieee_overflow 0
		.amdhsa_exception_fp_ieee_underflow 0
		.amdhsa_exception_fp_ieee_inexact 0
		.amdhsa_exception_int_div_zero 0
	.end_amdhsa_kernel
	.section	.text._ZL18rocblas_dot_kernelIiLb1ELi1024ELi32ELb0E16rocblas_bfloat16PKS0_fEviT5_lT_lS3_lS4_liPT6_PT4_,"axG",@progbits,_ZL18rocblas_dot_kernelIiLb1ELi1024ELi32ELb0E16rocblas_bfloat16PKS0_fEviT5_lT_lS3_lS4_liPT6_PT4_,comdat
.Lfunc_end11:
	.size	_ZL18rocblas_dot_kernelIiLb1ELi1024ELi32ELb0E16rocblas_bfloat16PKS0_fEviT5_lT_lS3_lS4_liPT6_PT4_, .Lfunc_end11-_ZL18rocblas_dot_kernelIiLb1ELi1024ELi32ELb0E16rocblas_bfloat16PKS0_fEviT5_lT_lS3_lS4_liPT6_PT4_
                                        ; -- End function
	.set _ZL18rocblas_dot_kernelIiLb1ELi1024ELi32ELb0E16rocblas_bfloat16PKS0_fEviT5_lT_lS3_lS4_liPT6_PT4_.num_vgpr, 16
	.set _ZL18rocblas_dot_kernelIiLb1ELi1024ELi32ELb0E16rocblas_bfloat16PKS0_fEviT5_lT_lS3_lS4_liPT6_PT4_.num_agpr, 0
	.set _ZL18rocblas_dot_kernelIiLb1ELi1024ELi32ELb0E16rocblas_bfloat16PKS0_fEviT5_lT_lS3_lS4_liPT6_PT4_.numbered_sgpr, 32
	.set _ZL18rocblas_dot_kernelIiLb1ELi1024ELi32ELb0E16rocblas_bfloat16PKS0_fEviT5_lT_lS3_lS4_liPT6_PT4_.num_named_barrier, 0
	.set _ZL18rocblas_dot_kernelIiLb1ELi1024ELi32ELb0E16rocblas_bfloat16PKS0_fEviT5_lT_lS3_lS4_liPT6_PT4_.private_seg_size, 0
	.set _ZL18rocblas_dot_kernelIiLb1ELi1024ELi32ELb0E16rocblas_bfloat16PKS0_fEviT5_lT_lS3_lS4_liPT6_PT4_.uses_vcc, 1
	.set _ZL18rocblas_dot_kernelIiLb1ELi1024ELi32ELb0E16rocblas_bfloat16PKS0_fEviT5_lT_lS3_lS4_liPT6_PT4_.uses_flat_scratch, 0
	.set _ZL18rocblas_dot_kernelIiLb1ELi1024ELi32ELb0E16rocblas_bfloat16PKS0_fEviT5_lT_lS3_lS4_liPT6_PT4_.has_dyn_sized_stack, 0
	.set _ZL18rocblas_dot_kernelIiLb1ELi1024ELi32ELb0E16rocblas_bfloat16PKS0_fEviT5_lT_lS3_lS4_liPT6_PT4_.has_recursion, 0
	.set _ZL18rocblas_dot_kernelIiLb1ELi1024ELi32ELb0E16rocblas_bfloat16PKS0_fEviT5_lT_lS3_lS4_liPT6_PT4_.has_indirect_call, 0
	.section	.AMDGPU.csdata,"",@progbits
; Kernel info:
; codeLenInByte = 1060
; TotalNumSgprs: 34
; NumVgprs: 16
; ScratchSize: 0
; MemoryBound: 0
; FloatMode: 240
; IeeeMode: 1
; LDSByteSize: 128 bytes/workgroup (compile time only)
; SGPRBlocks: 0
; VGPRBlocks: 0
; NumSGPRsForWavesPerEU: 34
; NumVGPRsForWavesPerEU: 16
; NamedBarCnt: 0
; Occupancy: 16
; WaveLimiterHint : 0
; COMPUTE_PGM_RSRC2:SCRATCH_EN: 0
; COMPUTE_PGM_RSRC2:USER_SGPR: 2
; COMPUTE_PGM_RSRC2:TRAP_HANDLER: 0
; COMPUTE_PGM_RSRC2:TGID_X_EN: 1
; COMPUTE_PGM_RSRC2:TGID_Y_EN: 0
; COMPUTE_PGM_RSRC2:TGID_Z_EN: 1
; COMPUTE_PGM_RSRC2:TIDIG_COMP_CNT: 0
	.section	.text._ZL24rocblas_dot_kernel_magsqIiLb1ELi1024ELi32ELb0E16rocblas_bfloat16PKS0_fEviT5_lT_liPT6_PT4_,"axG",@progbits,_ZL24rocblas_dot_kernel_magsqIiLb1ELi1024ELi32ELb0E16rocblas_bfloat16PKS0_fEviT5_lT_liPT6_PT4_,comdat
	.globl	_ZL24rocblas_dot_kernel_magsqIiLb1ELi1024ELi32ELb0E16rocblas_bfloat16PKS0_fEviT5_lT_liPT6_PT4_ ; -- Begin function _ZL24rocblas_dot_kernel_magsqIiLb1ELi1024ELi32ELb0E16rocblas_bfloat16PKS0_fEviT5_lT_liPT6_PT4_
	.p2align	8
	.type	_ZL24rocblas_dot_kernel_magsqIiLb1ELi1024ELi32ELb0E16rocblas_bfloat16PKS0_fEviT5_lT_liPT6_PT4_,@function
_ZL24rocblas_dot_kernel_magsqIiLb1ELi1024ELi32ELb0E16rocblas_bfloat16PKS0_fEviT5_lT_liPT6_PT4_: ; @_ZL24rocblas_dot_kernel_magsqIiLb1ELi1024ELi32ELb0E16rocblas_bfloat16PKS0_fEviT5_lT_liPT6_PT4_
; %bb.0:
	s_load_b32 s3, s[0:1], 0x28
	s_bfe_u32 s2, ttmp6, 0x40014
	s_lshr_b32 s4, ttmp7, 16
	s_add_co_i32 s2, s2, 1
	s_bfe_u32 s5, ttmp6, 0x40008
	s_mul_i32 s2, s4, s2
	s_getreg_b32 s6, hwreg(HW_REG_IB_STS2, 6, 4)
	s_add_co_i32 s5, s5, s2
	s_cmp_eq_u32 s6, 0
	s_mov_b32 s9, 0
	s_cselect_b32 s8, s4, s5
	s_wait_kmcnt 0x0
	s_cmp_ge_u32 s8, s3
	s_cbranch_scc1 .LBB12_21
; %bb.1:
	v_mbcnt_lo_u32_b32 v3, -1, 0
	s_clause 0x4
	s_load_b32 s16, s[0:1], 0x18
	s_load_b96 s[4:6], s[0:1], 0x38
	s_load_b128 s[12:15], s[0:1], 0x8
	s_load_b64 s[20:21], s[0:1], 0x20
	s_load_b32 s18, s[0:1], 0x0
	v_dual_lshrrev_b32 v9, 3, v0 :: v_dual_bitop2_b32 v2, 31, v0 bitop3:0x40
	s_wait_xcnt 0x0
	v_cmp_gt_u32_e64 s0, 24, v3
	v_lshl_or_b32 v4, v3, 2, 64
	v_cmp_eq_u32_e64 s1, 0, v0
	v_mov_b32_e32 v10, 0
	v_and_b32_e32 v9, 0x7c, v9
	v_cndmask_b32_e64 v5, 0, 8, s0
	v_cmp_gt_u32_e64 s0, 28, v3
	v_cmp_gt_u32_e32 vcc_lo, 32, v0
	s_delay_alu instid0(VALU_DEP_3) | instskip(NEXT) | instid1(VALU_DEP_3)
	v_add_lshl_u32 v5, v5, v3, 2
	v_cndmask_b32_e64 v6, 0, 4, s0
	v_cmp_gt_u32_e64 s0, 30, v3
	s_wait_kmcnt 0x0
	s_lshl_b64 s[10:11], s[14:15], 1
	s_lshl_b32 s6, s6, 10
	v_cndmask_b32_e64 v7, 0, 2, s0
	v_cmp_ne_u32_e64 s0, 31, v3
	s_ashr_i32 s17, s16, 31
	s_ashr_i32 s7, s6, 31
	v_add_lshl_u32 v6, v6, v3, 2
	v_add_lshl_u32 v7, v7, v3, 2
	v_add_co_ci_u32_e64 v8, null, 0, v3, s0
	v_lshlrev_b32_e32 v1, 2, v2
	v_cmp_eq_u32_e64 s0, 0, v2
	s_add_nc_u64 s[10:11], s[12:13], s[10:11]
	v_lshlrev_b32_e32 v8, 2, v8
	s_lshl_b64 s[12:13], s[16:17], 1
	s_mul_u64 s[16:17], s[16:17], s[6:7]
	s_lshl_b64 s[14:15], s[20:21], 1
	s_lshl_b64 s[16:17], s[16:17], 1
	s_branch .LBB12_4
.LBB12_2:                               ;   in Loop: Header=BB12_4 Depth=1
	s_or_b32 exec_lo, exec_lo, s19
	s_lshl_b64 s[20:21], s[8:9], 1
	s_delay_alu instid0(SALU_CYCLE_1)
	s_add_nc_u64 s[20:21], s[4:5], s[20:21]
	global_store_d16_hi_b16 v10, v3, s[20:21]
.LBB12_3:                               ;   in Loop: Header=BB12_4 Depth=1
	s_wait_xcnt 0x0
	s_or_b32 exec_lo, exec_lo, s7
	s_add_co_i32 s8, s8, 0x10000
	s_delay_alu instid0(SALU_CYCLE_1)
	s_cmp_lt_u32 s8, s3
	s_cbranch_scc0 .LBB12_21
.LBB12_4:                               ; =>This Loop Header: Depth=1
                                        ;     Child Loop BB12_6 Depth 2
	v_mov_b32_e32 v11, 0
	s_mov_b32 s7, exec_lo
	v_cmpx_gt_i32_e64 s18, v0
	s_cbranch_execz .LBB12_8
; %bb.5:                                ;   in Loop: Header=BB12_4 Depth=1
	s_mul_u64 s[20:21], s[14:15], s[8:9]
	v_ashrrev_i32_e32 v11, 31, v0
	s_add_nc_u64 s[20:21], s[10:11], s[20:21]
	s_mov_b32 s19, 0
	s_wait_dscnt 0x0
	v_mad_nc_u64_u32 v[2:3], s12, v0, s[20:21]
	s_mov_b32 s20, 0
	s_delay_alu instid0(VALU_DEP_1) | instskip(NEXT) | instid1(VALU_DEP_1)
	v_mad_u32 v3, s13, v0, v3
	v_mad_u32 v3, s12, v11, v3
	v_mov_b32_e32 v11, 0
.LBB12_6:                               ;   Parent Loop BB12_4 Depth=1
                                        ; =>  This Inner Loop Header: Depth=2
	global_load_u16 v12, v[2:3], off
	v_add_nc_u32_e32 v0, s6, v0
	s_add_co_i32 s21, s20, 1
	s_cmp_gt_u32 s20, 30
	s_wait_xcnt 0x0
	v_add_nc_u64_e32 v[2:3], s[16:17], v[2:3]
	s_cselect_b32 s20, -1, 0
	v_cmp_le_i32_e64 s2, s18, v0
	s_or_b32 s2, s20, s2
	s_mov_b32 s20, s21
	s_and_b32 s2, exec_lo, s2
	s_delay_alu instid0(SALU_CYCLE_1)
	s_or_b32 s19, s2, s19
	s_wait_loadcnt 0x0
	v_fma_mix_f32_bf16 v11, v12, v12, v11 op_sel_hi:[1,1,0]
	s_and_not1_b32 exec_lo, exec_lo, s19
	s_cbranch_execnz .LBB12_6
; %bb.7:                                ;   in Loop: Header=BB12_4 Depth=1
	s_or_b32 exec_lo, exec_lo, s19
.LBB12_8:                               ;   in Loop: Header=BB12_4 Depth=1
	s_delay_alu instid0(SALU_CYCLE_1)
	s_or_b32 exec_lo, exec_lo, s7
	s_and_saveexec_b32 s2, vcc_lo
; %bb.9:                                ;   in Loop: Header=BB12_4 Depth=1
	ds_store_b32 v1, v10
; %bb.10:                               ;   in Loop: Header=BB12_4 Depth=1
	s_or_b32 exec_lo, exec_lo, s2
	s_wait_dscnt 0x0
	ds_bpermute_b32 v2, v4, v11
	s_wait_dscnt 0x0
	s_barrier_signal -1
	s_barrier_wait -1
	v_add_f32_e32 v2, v11, v2
	ds_bpermute_b32 v3, v5, v2
	s_wait_dscnt 0x0
	v_add_f32_e32 v2, v2, v3
	ds_bpermute_b32 v3, v6, v2
	s_wait_dscnt 0x0
	;; [unrolled: 3-line block ×3, first 2 shown]
	v_add_f32_e32 v2, v2, v3
	ds_bpermute_b32 v3, v8, v2
	s_and_saveexec_b32 s2, s0
	s_cbranch_execz .LBB12_12
; %bb.11:                               ;   in Loop: Header=BB12_4 Depth=1
	s_wait_dscnt 0x0
	v_add_f32_e32 v2, v2, v3
	ds_store_b32 v9, v2
.LBB12_12:                              ;   in Loop: Header=BB12_4 Depth=1
	s_or_b32 exec_lo, exec_lo, s2
	v_mov_b32_e32 v2, 0
	s_wait_dscnt 0x0
	s_barrier_signal -1
	s_barrier_wait -1
	s_and_saveexec_b32 s2, vcc_lo
	s_cbranch_execnz .LBB12_15
; %bb.13:                               ;   in Loop: Header=BB12_4 Depth=1
	s_or_b32 exec_lo, exec_lo, s2
	s_and_saveexec_b32 s2, vcc_lo
	s_cbranch_execnz .LBB12_16
.LBB12_14:                              ;   in Loop: Header=BB12_4 Depth=1
	s_or_b32 exec_lo, exec_lo, s2
	s_and_saveexec_b32 s7, s1
	s_cbranch_execz .LBB12_3
	s_branch .LBB12_17
.LBB12_15:                              ;   in Loop: Header=BB12_4 Depth=1
	ds_load_b32 v2, v1
	s_or_b32 exec_lo, exec_lo, s2
	s_and_saveexec_b32 s2, vcc_lo
	s_cbranch_execz .LBB12_14
.LBB12_16:                              ;   in Loop: Header=BB12_4 Depth=1
	s_wait_dscnt 0x0
	ds_bpermute_b32 v3, v4, v2
	s_wait_dscnt 0x0
	v_add_f32_e32 v2, v2, v3
	ds_bpermute_b32 v3, v5, v2
	s_wait_dscnt 0x0
	v_add_f32_e32 v2, v2, v3
	ds_bpermute_b32 v3, v6, v2
	s_wait_dscnt 0x0
	v_add_f32_e32 v2, v2, v3
	ds_bpermute_b32 v3, v7, v2
	s_wait_dscnt 0x0
	v_add_f32_e32 v2, v2, v3
	ds_bpermute_b32 v3, v8, v2
	s_wait_dscnt 0x0
	v_add_f32_e32 v2, v2, v3
	s_or_b32 exec_lo, exec_lo, s2
	s_and_saveexec_b32 s7, s1
	s_cbranch_execz .LBB12_3
.LBB12_17:                              ;   in Loop: Header=BB12_4 Depth=1
	s_wait_dscnt 0x0
	v_and_b32_e32 v3, 0x7f800000, v2
	s_delay_alu instid0(VALU_DEP_1) | instskip(SKIP_1) | instid1(SALU_CYCLE_1)
	v_cmp_ne_u32_e64 s2, 0x7f800000, v3
                                        ; implicit-def: $vgpr3
	s_and_saveexec_b32 s19, s2
	s_xor_b32 s2, exec_lo, s19
; %bb.18:                               ;   in Loop: Header=BB12_4 Depth=1
	v_bfe_u32 v3, v2, 16, 1
	s_delay_alu instid0(VALU_DEP_1)
	v_add3_u32 v3, v2, v3, 0x7fff
                                        ; implicit-def: $vgpr2
; %bb.19:                               ;   in Loop: Header=BB12_4 Depth=1
	s_and_not1_saveexec_b32 s19, s2
	s_cbranch_execz .LBB12_2
; %bb.20:                               ;   in Loop: Header=BB12_4 Depth=1
	v_and_b32_e32 v3, 0xffff, v2
	v_or_b32_e32 v11, 0x10000, v2
	s_delay_alu instid0(VALU_DEP_2) | instskip(NEXT) | instid1(VALU_DEP_1)
	v_cmp_eq_u32_e64 s2, 0, v3
	v_cndmask_b32_e64 v3, v11, v2, s2
	s_branch .LBB12_2
.LBB12_21:
	s_endpgm
	.section	.rodata,"a",@progbits
	.p2align	6, 0x0
	.amdhsa_kernel _ZL24rocblas_dot_kernel_magsqIiLb1ELi1024ELi32ELb0E16rocblas_bfloat16PKS0_fEviT5_lT_liPT6_PT4_
		.amdhsa_group_segment_fixed_size 128
		.amdhsa_private_segment_fixed_size 0
		.amdhsa_kernarg_size 320
		.amdhsa_user_sgpr_count 2
		.amdhsa_user_sgpr_dispatch_ptr 0
		.amdhsa_user_sgpr_queue_ptr 0
		.amdhsa_user_sgpr_kernarg_segment_ptr 1
		.amdhsa_user_sgpr_dispatch_id 0
		.amdhsa_user_sgpr_kernarg_preload_length 0
		.amdhsa_user_sgpr_kernarg_preload_offset 0
		.amdhsa_user_sgpr_private_segment_size 0
		.amdhsa_wavefront_size32 1
		.amdhsa_uses_dynamic_stack 0
		.amdhsa_enable_private_segment 0
		.amdhsa_system_sgpr_workgroup_id_x 1
		.amdhsa_system_sgpr_workgroup_id_y 0
		.amdhsa_system_sgpr_workgroup_id_z 1
		.amdhsa_system_sgpr_workgroup_info 0
		.amdhsa_system_vgpr_workitem_id 0
		.amdhsa_next_free_vgpr 13
		.amdhsa_next_free_sgpr 22
		.amdhsa_named_barrier_count 0
		.amdhsa_reserve_vcc 1
		.amdhsa_float_round_mode_32 0
		.amdhsa_float_round_mode_16_64 0
		.amdhsa_float_denorm_mode_32 3
		.amdhsa_float_denorm_mode_16_64 3
		.amdhsa_fp16_overflow 0
		.amdhsa_memory_ordered 1
		.amdhsa_forward_progress 1
		.amdhsa_inst_pref_size 8
		.amdhsa_round_robin_scheduling 0
		.amdhsa_exception_fp_ieee_invalid_op 0
		.amdhsa_exception_fp_denorm_src 0
		.amdhsa_exception_fp_ieee_div_zero 0
		.amdhsa_exception_fp_ieee_overflow 0
		.amdhsa_exception_fp_ieee_underflow 0
		.amdhsa_exception_fp_ieee_inexact 0
		.amdhsa_exception_int_div_zero 0
	.end_amdhsa_kernel
	.section	.text._ZL24rocblas_dot_kernel_magsqIiLb1ELi1024ELi32ELb0E16rocblas_bfloat16PKS0_fEviT5_lT_liPT6_PT4_,"axG",@progbits,_ZL24rocblas_dot_kernel_magsqIiLb1ELi1024ELi32ELb0E16rocblas_bfloat16PKS0_fEviT5_lT_liPT6_PT4_,comdat
.Lfunc_end12:
	.size	_ZL24rocblas_dot_kernel_magsqIiLb1ELi1024ELi32ELb0E16rocblas_bfloat16PKS0_fEviT5_lT_liPT6_PT4_, .Lfunc_end12-_ZL24rocblas_dot_kernel_magsqIiLb1ELi1024ELi32ELb0E16rocblas_bfloat16PKS0_fEviT5_lT_liPT6_PT4_
                                        ; -- End function
	.set _ZL24rocblas_dot_kernel_magsqIiLb1ELi1024ELi32ELb0E16rocblas_bfloat16PKS0_fEviT5_lT_liPT6_PT4_.num_vgpr, 13
	.set _ZL24rocblas_dot_kernel_magsqIiLb1ELi1024ELi32ELb0E16rocblas_bfloat16PKS0_fEviT5_lT_liPT6_PT4_.num_agpr, 0
	.set _ZL24rocblas_dot_kernel_magsqIiLb1ELi1024ELi32ELb0E16rocblas_bfloat16PKS0_fEviT5_lT_liPT6_PT4_.numbered_sgpr, 22
	.set _ZL24rocblas_dot_kernel_magsqIiLb1ELi1024ELi32ELb0E16rocblas_bfloat16PKS0_fEviT5_lT_liPT6_PT4_.num_named_barrier, 0
	.set _ZL24rocblas_dot_kernel_magsqIiLb1ELi1024ELi32ELb0E16rocblas_bfloat16PKS0_fEviT5_lT_liPT6_PT4_.private_seg_size, 0
	.set _ZL24rocblas_dot_kernel_magsqIiLb1ELi1024ELi32ELb0E16rocblas_bfloat16PKS0_fEviT5_lT_liPT6_PT4_.uses_vcc, 1
	.set _ZL24rocblas_dot_kernel_magsqIiLb1ELi1024ELi32ELb0E16rocblas_bfloat16PKS0_fEviT5_lT_liPT6_PT4_.uses_flat_scratch, 0
	.set _ZL24rocblas_dot_kernel_magsqIiLb1ELi1024ELi32ELb0E16rocblas_bfloat16PKS0_fEviT5_lT_liPT6_PT4_.has_dyn_sized_stack, 0
	.set _ZL24rocblas_dot_kernel_magsqIiLb1ELi1024ELi32ELb0E16rocblas_bfloat16PKS0_fEviT5_lT_liPT6_PT4_.has_recursion, 0
	.set _ZL24rocblas_dot_kernel_magsqIiLb1ELi1024ELi32ELb0E16rocblas_bfloat16PKS0_fEviT5_lT_liPT6_PT4_.has_indirect_call, 0
	.section	.AMDGPU.csdata,"",@progbits
; Kernel info:
; codeLenInByte = 956
; TotalNumSgprs: 24
; NumVgprs: 13
; ScratchSize: 0
; MemoryBound: 0
; FloatMode: 240
; IeeeMode: 1
; LDSByteSize: 128 bytes/workgroup (compile time only)
; SGPRBlocks: 0
; VGPRBlocks: 0
; NumSGPRsForWavesPerEU: 24
; NumVGPRsForWavesPerEU: 13
; NamedBarCnt: 0
; Occupancy: 16
; WaveLimiterHint : 0
; COMPUTE_PGM_RSRC2:SCRATCH_EN: 0
; COMPUTE_PGM_RSRC2:USER_SGPR: 2
; COMPUTE_PGM_RSRC2:TRAP_HANDLER: 0
; COMPUTE_PGM_RSRC2:TGID_X_EN: 1
; COMPUTE_PGM_RSRC2:TGID_Y_EN: 0
; COMPUTE_PGM_RSRC2:TGID_Z_EN: 1
; COMPUTE_PGM_RSRC2:TIDIG_COMP_CNT: 0
	.section	.text._ZL23rocblas_dot_kernel_inc1ILb0ELi512ELi8ELb0E16rocblas_bfloat16PKS0_fEviT4_llS3_lliPT5_PT3_,"axG",@progbits,_ZL23rocblas_dot_kernel_inc1ILb0ELi512ELi8ELb0E16rocblas_bfloat16PKS0_fEviT4_llS3_lliPT5_PT3_,comdat
	.globl	_ZL23rocblas_dot_kernel_inc1ILb0ELi512ELi8ELb0E16rocblas_bfloat16PKS0_fEviT4_llS3_lliPT5_PT3_ ; -- Begin function _ZL23rocblas_dot_kernel_inc1ILb0ELi512ELi8ELb0E16rocblas_bfloat16PKS0_fEviT4_llS3_lliPT5_PT3_
	.p2align	8
	.type	_ZL23rocblas_dot_kernel_inc1ILb0ELi512ELi8ELb0E16rocblas_bfloat16PKS0_fEviT4_llS3_lliPT5_PT3_,@function
_ZL23rocblas_dot_kernel_inc1ILb0ELi512ELi8ELb0E16rocblas_bfloat16PKS0_fEviT4_llS3_lliPT5_PT3_: ; @_ZL23rocblas_dot_kernel_inc1ILb0ELi512ELi8ELb0E16rocblas_bfloat16PKS0_fEviT4_llS3_lliPT5_PT3_
; %bb.0:
	s_load_b32 s28, s[0:1], 0x38
	s_bfe_u32 s2, ttmp6, 0x40014
	s_lshr_b32 s3, ttmp7, 16
	s_add_co_i32 s2, s2, 1
	s_bfe_u32 s5, ttmp6, 0x40008
	s_mul_i32 s4, s3, s2
	s_getreg_b32 s2, hwreg(HW_REG_IB_STS2, 6, 4)
	s_add_co_i32 s5, s5, s4
	s_cmp_eq_u32 s2, 0
	s_mov_b32 s17, 0
	s_cselect_b32 s16, s3, s5
	s_wait_kmcnt 0x0
	s_cmp_ge_u32 s16, s28
	s_cbranch_scc1 .LBB13_24
; %bb.1:
	v_mbcnt_lo_u32_b32 v3, -1, 0
	s_clause 0x6
	s_load_b32 s18, s[0:1], 0x50
	s_load_b64 s[22:23], s[0:1], 0x8
	s_load_b32 s29, s[0:1], 0x0
	s_load_b64 s[24:25], s[0:1], 0x20
	s_load_b128 s[8:11], s[0:1], 0x10
	s_load_b128 s[4:7], s[0:1], 0x40
	;; [unrolled: 1-line block ×3, first 2 shown]
	s_wait_xcnt 0x0
	s_bfe_u32 s0, ttmp6, 0x4000c
	s_and_b32 s1, ttmp6, 15
	s_add_co_i32 s3, s0, 1
	v_cmp_gt_u32_e32 vcc_lo, 24, v3
	s_mul_i32 s3, ttmp9, s3
	v_dual_lshrrev_b32 v10, 3, v0 :: v_dual_bitop2_b32 v1, 31, v0 bitop3:0x40
	s_add_co_i32 s1, s1, s3
	v_cndmask_b32_e64 v6, 0, 8, vcc_lo
	v_cmp_gt_u32_e32 vcc_lo, 28, v3
	s_cmp_eq_u32 s2, 0
	s_mov_b32 s27, s17
	s_cselect_b32 s26, ttmp9, s1
	s_wait_kmcnt 0x0
	s_cmp_lg_u32 s18, 1
	v_cndmask_b32_e64 v7, 0, 4, vcc_lo
	v_cmp_gt_u32_e32 vcc_lo, 30, v3
	s_cselect_b32 s30, -1, 0
	s_lshl_b32 s20, s18, 9
	v_cmp_gt_u32_e64 s0, 32, v0
	s_lshl_b64 s[12:13], s[12:13], 1
	v_cndmask_b32_e64 v8, 0, 2, vcc_lo
	v_cmp_ne_u32_e32 vcc_lo, 31, v3
	v_dual_lshlrev_b32 v4, 2, v1 :: v_dual_bitop2_b32 v10, 60, v10 bitop3:0x40
	v_lshl_or_b32 v2, s26, 9, v0
	v_lshl_or_b32 v5, v3, 2, 64
	v_add_co_ci_u32_e64 v9, null, 0, v3, vcc_lo
	v_add_lshl_u32 v6, v6, v3, 2
	v_add_lshl_u32 v7, v7, v3, 2
	;; [unrolled: 1-line block ×3, first 2 shown]
	s_delay_alu instid0(VALU_DEP_4)
	v_dual_lshlrev_b32 v9, 2, v9 :: v_dual_mov_b32 v11, 0
	v_cmp_eq_u32_e64 s1, 0, v1
	v_cmp_gt_u32_e64 s2, 16, v0
	v_cmp_eq_u32_e64 s3, 0, v0
	s_lshl_b64 s[26:27], s[26:27], 2
	s_add_nc_u64 s[12:13], s[24:25], s[12:13]
	s_ashr_i32 s21, s20, 31
	s_lshl_b64 s[24:25], s[8:9], 1
	s_mov_b32 s19, s17
	s_add_nc_u64 s[4:5], s[4:5], s[26:27]
	s_lshl_b64 s[14:15], s[14:15], 1
	s_lshl_b64 s[8:9], s[20:21], 1
	s_add_nc_u64 s[22:23], s[22:23], s[24:25]
	s_lshl_b64 s[10:11], s[10:11], 1
	s_branch .LBB13_4
.LBB13_2:                               ;   in Loop: Header=BB13_4 Depth=1
	s_or_b32 exec_lo, exec_lo, s24
	s_lshl_b64 s[24:25], s[16:17], 1
	s_delay_alu instid0(SALU_CYCLE_1)
	s_add_nc_u64 s[24:25], s[6:7], s[24:25]
	global_store_d16_hi_b16 v11, v1, s[24:25]
.LBB13_3:                               ;   in Loop: Header=BB13_4 Depth=1
	s_wait_xcnt 0x0
	s_or_b32 exec_lo, exec_lo, s21
	s_add_co_i32 s16, s16, 0x10000
	s_delay_alu instid0(SALU_CYCLE_1)
	s_cmp_lt_u32 s16, s28
	s_cbranch_scc0 .LBB13_24
.LBB13_4:                               ; =>This Loop Header: Depth=1
                                        ;     Child Loop BB13_6 Depth 2
	v_mov_b32_e32 v3, 0
	s_mov_b32 s21, exec_lo
	v_cmpx_gt_i32_e64 s29, v2
	s_cbranch_execz .LBB13_8
; %bb.5:                                ;   in Loop: Header=BB13_4 Depth=1
	v_ashrrev_i32_e32 v3, 31, v2
	s_mul_u64 s[24:25], s[14:15], s[16:17]
	s_mul_u64 s[26:27], s[10:11], s[16:17]
	s_add_nc_u64 s[24:25], s[12:13], s[24:25]
	s_add_nc_u64 s[26:27], s[22:23], s[26:27]
	s_wait_dscnt 0x0
	v_lshlrev_b64_e32 v[0:1], 1, v[2:3]
	v_mov_b32_e32 v3, 0
	s_mov_b32 s31, 0
	s_mov_b32 s33, 0
.LBB13_6:                               ;   Parent Loop BB13_4 Depth=1
                                        ; =>  This Inner Loop Header: Depth=2
	s_delay_alu instid0(VALU_DEP_2)
	v_add_nc_u64_e32 v[12:13], s[24:25], v[0:1]
	v_add_nc_u64_e32 v[14:15], s[26:27], v[0:1]
	v_add_nc_u32_e32 v2, s20, v2
	s_add_co_i32 s34, s33, 1
	s_cmp_gt_u32 s33, 6
	v_add_nc_u64_e32 v[0:1], s[8:9], v[0:1]
	s_cselect_b32 s33, -1, 0
	global_load_u16 v16, v[12:13], off
	global_load_u16 v17, v[14:15], off
	v_cmp_le_i32_e32 vcc_lo, s29, v2
	s_or_b32 s33, s33, vcc_lo
	s_delay_alu instid0(SALU_CYCLE_1) | instskip(NEXT) | instid1(SALU_CYCLE_1)
	s_and_b32 s33, exec_lo, s33
	s_or_b32 s31, s33, s31
	s_mov_b32 s33, s34
	s_wait_loadcnt 0x0
	v_fma_mix_f32_bf16 v3, v17, v16, v3 op_sel_hi:[1,1,0]
	s_wait_xcnt 0x0
	s_and_not1_b32 exec_lo, exec_lo, s31
	s_cbranch_execnz .LBB13_6
; %bb.7:                                ;   in Loop: Header=BB13_4 Depth=1
	s_or_b32 exec_lo, exec_lo, s31
.LBB13_8:                               ;   in Loop: Header=BB13_4 Depth=1
	s_delay_alu instid0(SALU_CYCLE_1)
	s_or_b32 exec_lo, exec_lo, s21
	s_and_saveexec_b32 s21, s0
; %bb.9:                                ;   in Loop: Header=BB13_4 Depth=1
	ds_store_b32 v4, v11
; %bb.10:                               ;   in Loop: Header=BB13_4 Depth=1
	s_or_b32 exec_lo, exec_lo, s21
	s_wait_dscnt 0x0
	ds_bpermute_b32 v0, v5, v3
	s_wait_dscnt 0x0
	s_barrier_signal -1
	s_barrier_wait -1
	v_add_f32_e32 v0, v3, v0
	ds_bpermute_b32 v1, v6, v0
	s_wait_dscnt 0x0
	v_add_f32_e32 v0, v0, v1
	ds_bpermute_b32 v1, v7, v0
	s_wait_dscnt 0x0
	;; [unrolled: 3-line block ×3, first 2 shown]
	v_add_f32_e32 v0, v0, v1
	ds_bpermute_b32 v1, v9, v0
	s_and_saveexec_b32 s21, s1
	s_cbranch_execz .LBB13_12
; %bb.11:                               ;   in Loop: Header=BB13_4 Depth=1
	s_wait_dscnt 0x0
	v_add_f32_e32 v0, v0, v1
	ds_store_b32 v10, v0
.LBB13_12:                              ;   in Loop: Header=BB13_4 Depth=1
	s_or_b32 exec_lo, exec_lo, s21
	v_mov_b32_e32 v0, 0
	s_wait_dscnt 0x0
	s_barrier_signal -1
	s_barrier_wait -1
	s_and_saveexec_b32 s21, s2
	s_cbranch_execnz .LBB13_15
; %bb.13:                               ;   in Loop: Header=BB13_4 Depth=1
	s_or_b32 exec_lo, exec_lo, s21
	s_and_saveexec_b32 s21, s0
	s_cbranch_execnz .LBB13_16
.LBB13_14:                              ;   in Loop: Header=BB13_4 Depth=1
	s_or_b32 exec_lo, exec_lo, s21
	s_and_saveexec_b32 s21, s3
	s_cbranch_execz .LBB13_3
	s_branch .LBB13_17
.LBB13_15:                              ;   in Loop: Header=BB13_4 Depth=1
	ds_load_b32 v0, v4
	s_or_b32 exec_lo, exec_lo, s21
	s_and_saveexec_b32 s21, s0
	s_cbranch_execz .LBB13_14
.LBB13_16:                              ;   in Loop: Header=BB13_4 Depth=1
	s_wait_dscnt 0x0
	ds_bpermute_b32 v1, v6, v0
	s_wait_dscnt 0x0
	v_add_f32_e32 v0, v0, v1
	ds_bpermute_b32 v1, v7, v0
	s_wait_dscnt 0x0
	v_add_f32_e32 v0, v0, v1
	;; [unrolled: 3-line block ×4, first 2 shown]
	s_or_b32 exec_lo, exec_lo, s21
	s_and_saveexec_b32 s21, s3
	s_cbranch_execz .LBB13_3
.LBB13_17:                              ;   in Loop: Header=BB13_4 Depth=1
	s_and_b32 vcc_lo, exec_lo, s30
	s_mov_b32 s24, -1
	s_cbranch_vccz .LBB13_19
; %bb.18:                               ;   in Loop: Header=BB13_4 Depth=1
	s_mul_u64 s[24:25], s[18:19], s[16:17]
	s_delay_alu instid0(SALU_CYCLE_1) | instskip(NEXT) | instid1(SALU_CYCLE_1)
	s_lshl_b64 s[24:25], s[24:25], 2
	s_add_nc_u64 s[26:27], s[4:5], s[24:25]
	s_mov_b32 s24, 0
	s_wait_dscnt 0x0
	global_store_b32 v11, v0, s[26:27]
.LBB13_19:                              ;   in Loop: Header=BB13_4 Depth=1
	s_and_not1_b32 vcc_lo, exec_lo, s24
	s_cbranch_vccnz .LBB13_3
; %bb.20:                               ;   in Loop: Header=BB13_4 Depth=1
	s_wait_dscnt 0x0
	v_and_b32_e32 v1, 0x7f800000, v0
	s_delay_alu instid0(VALU_DEP_1) | instskip(SKIP_2) | instid1(SALU_CYCLE_1)
	v_cmp_ne_u32_e32 vcc_lo, 0x7f800000, v1
                                        ; implicit-def: $vgpr1
	s_wait_xcnt 0x0
	s_and_saveexec_b32 s24, vcc_lo
	s_xor_b32 s24, exec_lo, s24
; %bb.21:                               ;   in Loop: Header=BB13_4 Depth=1
	v_bfe_u32 v1, v0, 16, 1
	s_delay_alu instid0(VALU_DEP_1)
	v_add3_u32 v1, v0, v1, 0x7fff
                                        ; implicit-def: $vgpr0
; %bb.22:                               ;   in Loop: Header=BB13_4 Depth=1
	s_and_not1_saveexec_b32 s24, s24
	s_cbranch_execz .LBB13_2
; %bb.23:                               ;   in Loop: Header=BB13_4 Depth=1
	v_and_b32_e32 v1, 0xffff, v0
	v_or_b32_e32 v3, 0x10000, v0
	s_delay_alu instid0(VALU_DEP_2) | instskip(NEXT) | instid1(VALU_DEP_2)
	v_cmp_eq_u32_e32 vcc_lo, 0, v1
	v_cndmask_b32_e32 v1, v3, v0, vcc_lo
	s_branch .LBB13_2
.LBB13_24:
	s_endpgm
	.section	.rodata,"a",@progbits
	.p2align	6, 0x0
	.amdhsa_kernel _ZL23rocblas_dot_kernel_inc1ILb0ELi512ELi8ELb0E16rocblas_bfloat16PKS0_fEviT4_llS3_lliPT5_PT3_
		.amdhsa_group_segment_fixed_size 128
		.amdhsa_private_segment_fixed_size 0
		.amdhsa_kernarg_size 336
		.amdhsa_user_sgpr_count 2
		.amdhsa_user_sgpr_dispatch_ptr 0
		.amdhsa_user_sgpr_queue_ptr 0
		.amdhsa_user_sgpr_kernarg_segment_ptr 1
		.amdhsa_user_sgpr_dispatch_id 0
		.amdhsa_user_sgpr_kernarg_preload_length 0
		.amdhsa_user_sgpr_kernarg_preload_offset 0
		.amdhsa_user_sgpr_private_segment_size 0
		.amdhsa_wavefront_size32 1
		.amdhsa_uses_dynamic_stack 0
		.amdhsa_enable_private_segment 0
		.amdhsa_system_sgpr_workgroup_id_x 1
		.amdhsa_system_sgpr_workgroup_id_y 0
		.amdhsa_system_sgpr_workgroup_id_z 1
		.amdhsa_system_sgpr_workgroup_info 0
		.amdhsa_system_vgpr_workitem_id 0
		.amdhsa_next_free_vgpr 18
		.amdhsa_next_free_sgpr 35
		.amdhsa_named_barrier_count 0
		.amdhsa_reserve_vcc 1
		.amdhsa_float_round_mode_32 0
		.amdhsa_float_round_mode_16_64 0
		.amdhsa_float_denorm_mode_32 3
		.amdhsa_float_denorm_mode_16_64 3
		.amdhsa_fp16_overflow 0
		.amdhsa_memory_ordered 1
		.amdhsa_forward_progress 1
		.amdhsa_inst_pref_size 9
		.amdhsa_round_robin_scheduling 0
		.amdhsa_exception_fp_ieee_invalid_op 0
		.amdhsa_exception_fp_denorm_src 0
		.amdhsa_exception_fp_ieee_div_zero 0
		.amdhsa_exception_fp_ieee_overflow 0
		.amdhsa_exception_fp_ieee_underflow 0
		.amdhsa_exception_fp_ieee_inexact 0
		.amdhsa_exception_int_div_zero 0
	.end_amdhsa_kernel
	.section	.text._ZL23rocblas_dot_kernel_inc1ILb0ELi512ELi8ELb0E16rocblas_bfloat16PKS0_fEviT4_llS3_lliPT5_PT3_,"axG",@progbits,_ZL23rocblas_dot_kernel_inc1ILb0ELi512ELi8ELb0E16rocblas_bfloat16PKS0_fEviT4_llS3_lliPT5_PT3_,comdat
.Lfunc_end13:
	.size	_ZL23rocblas_dot_kernel_inc1ILb0ELi512ELi8ELb0E16rocblas_bfloat16PKS0_fEviT4_llS3_lliPT5_PT3_, .Lfunc_end13-_ZL23rocblas_dot_kernel_inc1ILb0ELi512ELi8ELb0E16rocblas_bfloat16PKS0_fEviT4_llS3_lliPT5_PT3_
                                        ; -- End function
	.set _ZL23rocblas_dot_kernel_inc1ILb0ELi512ELi8ELb0E16rocblas_bfloat16PKS0_fEviT4_llS3_lliPT5_PT3_.num_vgpr, 18
	.set _ZL23rocblas_dot_kernel_inc1ILb0ELi512ELi8ELb0E16rocblas_bfloat16PKS0_fEviT4_llS3_lliPT5_PT3_.num_agpr, 0
	.set _ZL23rocblas_dot_kernel_inc1ILb0ELi512ELi8ELb0E16rocblas_bfloat16PKS0_fEviT4_llS3_lliPT5_PT3_.numbered_sgpr, 35
	.set _ZL23rocblas_dot_kernel_inc1ILb0ELi512ELi8ELb0E16rocblas_bfloat16PKS0_fEviT4_llS3_lliPT5_PT3_.num_named_barrier, 0
	.set _ZL23rocblas_dot_kernel_inc1ILb0ELi512ELi8ELb0E16rocblas_bfloat16PKS0_fEviT4_llS3_lliPT5_PT3_.private_seg_size, 0
	.set _ZL23rocblas_dot_kernel_inc1ILb0ELi512ELi8ELb0E16rocblas_bfloat16PKS0_fEviT4_llS3_lliPT5_PT3_.uses_vcc, 1
	.set _ZL23rocblas_dot_kernel_inc1ILb0ELi512ELi8ELb0E16rocblas_bfloat16PKS0_fEviT4_llS3_lliPT5_PT3_.uses_flat_scratch, 0
	.set _ZL23rocblas_dot_kernel_inc1ILb0ELi512ELi8ELb0E16rocblas_bfloat16PKS0_fEviT4_llS3_lliPT5_PT3_.has_dyn_sized_stack, 0
	.set _ZL23rocblas_dot_kernel_inc1ILb0ELi512ELi8ELb0E16rocblas_bfloat16PKS0_fEviT4_llS3_lliPT5_PT3_.has_recursion, 0
	.set _ZL23rocblas_dot_kernel_inc1ILb0ELi512ELi8ELb0E16rocblas_bfloat16PKS0_fEviT4_llS3_lliPT5_PT3_.has_indirect_call, 0
	.section	.AMDGPU.csdata,"",@progbits
; Kernel info:
; codeLenInByte = 1072
; TotalNumSgprs: 37
; NumVgprs: 18
; ScratchSize: 0
; MemoryBound: 0
; FloatMode: 240
; IeeeMode: 1
; LDSByteSize: 128 bytes/workgroup (compile time only)
; SGPRBlocks: 0
; VGPRBlocks: 1
; NumSGPRsForWavesPerEU: 37
; NumVGPRsForWavesPerEU: 18
; NamedBarCnt: 0
; Occupancy: 16
; WaveLimiterHint : 0
; COMPUTE_PGM_RSRC2:SCRATCH_EN: 0
; COMPUTE_PGM_RSRC2:USER_SGPR: 2
; COMPUTE_PGM_RSRC2:TRAP_HANDLER: 0
; COMPUTE_PGM_RSRC2:TGID_X_EN: 1
; COMPUTE_PGM_RSRC2:TGID_Y_EN: 0
; COMPUTE_PGM_RSRC2:TGID_Z_EN: 1
; COMPUTE_PGM_RSRC2:TIDIG_COMP_CNT: 0
	.section	.text._ZL18rocblas_dot_kernelIiLb0ELi512ELi8ELb0E16rocblas_bfloat16PKS0_fEviT5_lT_lS3_lS4_liPT6_PT4_,"axG",@progbits,_ZL18rocblas_dot_kernelIiLb0ELi512ELi8ELb0E16rocblas_bfloat16PKS0_fEviT5_lT_lS3_lS4_liPT6_PT4_,comdat
	.globl	_ZL18rocblas_dot_kernelIiLb0ELi512ELi8ELb0E16rocblas_bfloat16PKS0_fEviT5_lT_lS3_lS4_liPT6_PT4_ ; -- Begin function _ZL18rocblas_dot_kernelIiLb0ELi512ELi8ELb0E16rocblas_bfloat16PKS0_fEviT5_lT_lS3_lS4_liPT6_PT4_
	.p2align	8
	.type	_ZL18rocblas_dot_kernelIiLb0ELi512ELi8ELb0E16rocblas_bfloat16PKS0_fEviT5_lT_lS3_lS4_liPT6_PT4_,@function
_ZL18rocblas_dot_kernelIiLb0ELi512ELi8ELb0E16rocblas_bfloat16PKS0_fEviT5_lT_lS3_lS4_liPT6_PT4_: ; @_ZL18rocblas_dot_kernelIiLb0ELi512ELi8ELb0E16rocblas_bfloat16PKS0_fEviT5_lT_lS3_lS4_liPT6_PT4_
; %bb.0:
	s_load_b32 s30, s[0:1], 0x48
	s_bfe_u32 s2, ttmp6, 0x40014
	s_lshr_b32 s3, ttmp7, 16
	s_add_co_i32 s2, s2, 1
	s_bfe_u32 s5, ttmp6, 0x40008
	s_mul_i32 s4, s3, s2
	s_getreg_b32 s2, hwreg(HW_REG_IB_STS2, 6, 4)
	s_add_co_i32 s5, s5, s4
	s_cmp_eq_u32 s2, 0
	s_mov_b32 s21, 0
	s_cselect_b32 s20, s3, s5
	s_wait_kmcnt 0x0
	s_cmp_ge_u32 s20, s30
	s_cbranch_scc1 .LBB14_24
; %bb.1:
	v_mbcnt_lo_u32_b32 v2, -1, 0
	s_clause 0x7
	s_load_b32 s24, s[0:1], 0x18
	s_load_b96 s[16:18], s[0:1], 0x30
	s_load_b32 s22, s[0:1], 0x60
	s_load_b128 s[8:11], s[0:1], 0x20
	s_load_b128 s[12:15], s[0:1], 0x8
	s_load_b32 s31, s[0:1], 0x0
	s_load_b128 s[4:7], s[0:1], 0x50
	s_load_b64 s[26:27], s[0:1], 0x40
	s_wait_xcnt 0x0
	s_bfe_u32 s0, ttmp6, 0x4000c
	s_and_b32 s1, ttmp6, 15
	s_add_co_i32 s3, s0, 1
	v_cmp_gt_u32_e32 vcc_lo, 24, v2
	s_mul_i32 s3, ttmp9, s3
	v_and_b32_e32 v1, 31, v0
	s_add_co_i32 s1, s1, s3
	s_mov_b32 s35, s21
	v_cndmask_b32_e64 v3, 0, 8, vcc_lo
	v_cmp_gt_u32_e32 vcc_lo, 28, v2
	v_cmp_gt_u32_e64 s0, 32, v0
	v_lshl_or_b32 v6, v2, 2, 64
	s_wait_kmcnt 0x0
	s_ashr_i32 s25, s24, 31
	s_ashr_i32 s29, s18, 31
	v_cndmask_b32_e64 v8, 0, 4, vcc_lo
	v_cmp_gt_u32_e32 vcc_lo, 30, v2
	s_cmp_eq_u32 s2, 0
	s_mov_b32 s28, s18
	s_cselect_b32 s34, ttmp9, s1
	s_cmp_lg_u32 s22, 1
	v_cndmask_b32_e64 v9, 0, 2, vcc_lo
	v_cmp_ne_u32_e32 vcc_lo, 31, v2
	s_cselect_b32 s33, -1, 0
	s_lshl_b32 s18, s22, 9
	v_add_lshl_u32 v7, v3, v2, 2
	v_lshrrev_b32_e32 v3, 3, v0
	v_add_co_ci_u32_e64 v10, null, 0, v2, vcc_lo
	s_lshl_b64 s[14:15], s[14:15], 1
	s_ashr_i32 s19, s18, 31
	v_lshl_or_b32 v4, s34, 9, v0
	s_lshl_b64 s[34:35], s[34:35], 2
	s_add_nc_u64 s[12:13], s[12:13], s[14:15]
	s_lshl_b64 s[14:15], s[24:25], 1
	s_mul_u64 s[24:25], s[24:25], s[18:19]
	v_dual_lshlrev_b32 v5, 2, v1 :: v_dual_lshlrev_b32 v10, 2, v10
	v_add_lshl_u32 v8, v8, v2, 2
	v_add_lshl_u32 v9, v9, v2, 2
	v_cmp_eq_u32_e64 s1, 0, v1
	v_dual_mov_b32 v12, 0 :: v_dual_bitop2_b32 v11, 60, v3 bitop3:0x40
	v_cmp_gt_u32_e64 s2, 16, v0
	v_cmp_eq_u32_e64 s3, 0, v0
	s_add_nc_u64 s[4:5], s[4:5], s[34:35]
	s_lshl_b64 s[34:35], s[16:17], 1
	s_lshl_b64 s[16:17], s[24:25], 1
	;; [unrolled: 1-line block ×3, first 2 shown]
	s_mul_u64 s[28:29], s[28:29], s[18:19]
	s_mov_b32 s23, s21
	s_lshl_b64 s[8:9], s[8:9], 1
	s_add_nc_u64 s[10:11], s[10:11], s[34:35]
	s_lshl_b64 s[26:27], s[26:27], 1
	s_lshl_b64 s[28:29], s[28:29], 1
	s_branch .LBB14_4
.LBB14_2:                               ;   in Loop: Header=BB14_4 Depth=1
	s_or_b32 exec_lo, exec_lo, s34
	s_lshl_b64 s[34:35], s[20:21], 1
	s_delay_alu instid0(SALU_CYCLE_1)
	s_add_nc_u64 s[34:35], s[6:7], s[34:35]
	global_store_d16_hi_b16 v12, v1, s[34:35]
.LBB14_3:                               ;   in Loop: Header=BB14_4 Depth=1
	s_wait_xcnt 0x0
	s_or_b32 exec_lo, exec_lo, s19
	s_add_co_i32 s20, s20, 0x10000
	s_delay_alu instid0(SALU_CYCLE_1)
	s_cmp_lt_u32 s20, s30
	s_cbranch_scc0 .LBB14_24
.LBB14_4:                               ; =>This Loop Header: Depth=1
                                        ;     Child Loop BB14_6 Depth 2
	v_mov_b32_e32 v13, 0
	s_mov_b32 s19, exec_lo
	v_cmpx_gt_i32_e64 s31, v4
	s_cbranch_execz .LBB14_8
; %bb.5:                                ;   in Loop: Header=BB14_4 Depth=1
	s_mul_u64 s[34:35], s[8:9], s[20:21]
	s_mul_u64 s[36:37], s[26:27], s[20:21]
	s_add_nc_u64 s[34:35], s[12:13], s[34:35]
	s_add_nc_u64 s[36:37], s[10:11], s[36:37]
	s_wait_dscnt 0x0
	v_mad_nc_u64_u32 v[0:1], s14, v4, s[34:35]
	v_mad_nc_u64_u32 v[2:3], s24, v4, s[36:37]
	v_ashrrev_i32_e32 v13, 31, v4
	s_mov_b32 s34, 0
	s_mov_b32 s35, 0
	s_delay_alu instid0(VALU_DEP_3) | instskip(NEXT) | instid1(VALU_DEP_3)
	v_mad_u32 v1, s15, v4, v1
	v_mad_u32 v3, s25, v4, v3
	s_delay_alu instid0(VALU_DEP_2) | instskip(NEXT) | instid1(VALU_DEP_2)
	v_mad_u32 v1, s14, v13, v1
	v_mad_u32 v3, s24, v13, v3
	v_mov_b32_e32 v13, 0
.LBB14_6:                               ;   Parent Loop BB14_4 Depth=1
                                        ; =>  This Inner Loop Header: Depth=2
	global_load_u16 v14, v[2:3], off
	global_load_u16 v15, v[0:1], off
	v_add_nc_u32_e32 v4, s18, v4
	s_add_co_i32 s36, s35, 1
	s_cmp_gt_u32 s35, 6
	s_wait_xcnt 0x0
	v_add_nc_u64_e32 v[0:1], s[16:17], v[0:1]
	s_cselect_b32 s35, -1, 0
	v_cmp_le_i32_e32 vcc_lo, s31, v4
	v_add_nc_u64_e32 v[2:3], s[28:29], v[2:3]
	s_or_b32 s35, s35, vcc_lo
	s_delay_alu instid0(SALU_CYCLE_1) | instskip(NEXT) | instid1(SALU_CYCLE_1)
	s_and_b32 s35, exec_lo, s35
	s_or_b32 s34, s35, s34
	s_mov_b32 s35, s36
	s_wait_loadcnt 0x0
	v_fma_mix_f32_bf16 v13, v15, v14, v13 op_sel_hi:[1,1,0]
	s_and_not1_b32 exec_lo, exec_lo, s34
	s_cbranch_execnz .LBB14_6
; %bb.7:                                ;   in Loop: Header=BB14_4 Depth=1
	s_or_b32 exec_lo, exec_lo, s34
.LBB14_8:                               ;   in Loop: Header=BB14_4 Depth=1
	s_delay_alu instid0(SALU_CYCLE_1)
	s_or_b32 exec_lo, exec_lo, s19
	s_and_saveexec_b32 s19, s0
; %bb.9:                                ;   in Loop: Header=BB14_4 Depth=1
	ds_store_b32 v5, v12
; %bb.10:                               ;   in Loop: Header=BB14_4 Depth=1
	s_or_b32 exec_lo, exec_lo, s19
	s_wait_dscnt 0x0
	ds_bpermute_b32 v0, v6, v13
	s_wait_dscnt 0x0
	s_barrier_signal -1
	s_barrier_wait -1
	v_add_f32_e32 v0, v13, v0
	ds_bpermute_b32 v1, v7, v0
	s_wait_dscnt 0x0
	v_add_f32_e32 v0, v0, v1
	ds_bpermute_b32 v1, v8, v0
	s_wait_dscnt 0x0
	;; [unrolled: 3-line block ×3, first 2 shown]
	v_add_f32_e32 v0, v0, v1
	ds_bpermute_b32 v1, v10, v0
	s_and_saveexec_b32 s19, s1
	s_cbranch_execz .LBB14_12
; %bb.11:                               ;   in Loop: Header=BB14_4 Depth=1
	s_wait_dscnt 0x0
	v_add_f32_e32 v0, v0, v1
	ds_store_b32 v11, v0
.LBB14_12:                              ;   in Loop: Header=BB14_4 Depth=1
	s_or_b32 exec_lo, exec_lo, s19
	v_mov_b32_e32 v0, 0
	s_wait_dscnt 0x0
	s_barrier_signal -1
	s_barrier_wait -1
	s_and_saveexec_b32 s19, s2
	s_cbranch_execnz .LBB14_15
; %bb.13:                               ;   in Loop: Header=BB14_4 Depth=1
	s_or_b32 exec_lo, exec_lo, s19
	s_and_saveexec_b32 s19, s0
	s_cbranch_execnz .LBB14_16
.LBB14_14:                              ;   in Loop: Header=BB14_4 Depth=1
	s_or_b32 exec_lo, exec_lo, s19
	s_and_saveexec_b32 s19, s3
	s_cbranch_execz .LBB14_3
	s_branch .LBB14_17
.LBB14_15:                              ;   in Loop: Header=BB14_4 Depth=1
	ds_load_b32 v0, v5
	s_or_b32 exec_lo, exec_lo, s19
	s_and_saveexec_b32 s19, s0
	s_cbranch_execz .LBB14_14
.LBB14_16:                              ;   in Loop: Header=BB14_4 Depth=1
	s_wait_dscnt 0x0
	ds_bpermute_b32 v1, v7, v0
	s_wait_dscnt 0x0
	v_add_f32_e32 v0, v0, v1
	ds_bpermute_b32 v1, v8, v0
	s_wait_dscnt 0x0
	v_add_f32_e32 v0, v0, v1
	;; [unrolled: 3-line block ×4, first 2 shown]
	s_or_b32 exec_lo, exec_lo, s19
	s_and_saveexec_b32 s19, s3
	s_cbranch_execz .LBB14_3
.LBB14_17:                              ;   in Loop: Header=BB14_4 Depth=1
	s_and_b32 vcc_lo, exec_lo, s33
	s_mov_b32 s34, -1
	s_cbranch_vccz .LBB14_19
; %bb.18:                               ;   in Loop: Header=BB14_4 Depth=1
	s_mul_u64 s[34:35], s[22:23], s[20:21]
	s_delay_alu instid0(SALU_CYCLE_1) | instskip(NEXT) | instid1(SALU_CYCLE_1)
	s_lshl_b64 s[34:35], s[34:35], 2
	s_add_nc_u64 s[36:37], s[4:5], s[34:35]
	s_mov_b32 s34, 0
	s_wait_dscnt 0x0
	global_store_b32 v12, v0, s[36:37]
.LBB14_19:                              ;   in Loop: Header=BB14_4 Depth=1
	s_and_not1_b32 vcc_lo, exec_lo, s34
	s_cbranch_vccnz .LBB14_3
; %bb.20:                               ;   in Loop: Header=BB14_4 Depth=1
	s_wait_dscnt 0x0
	v_and_b32_e32 v1, 0x7f800000, v0
	s_delay_alu instid0(VALU_DEP_1) | instskip(SKIP_2) | instid1(SALU_CYCLE_1)
	v_cmp_ne_u32_e32 vcc_lo, 0x7f800000, v1
                                        ; implicit-def: $vgpr1
	s_wait_xcnt 0x0
	s_and_saveexec_b32 s34, vcc_lo
	s_xor_b32 s34, exec_lo, s34
; %bb.21:                               ;   in Loop: Header=BB14_4 Depth=1
	v_bfe_u32 v1, v0, 16, 1
	s_delay_alu instid0(VALU_DEP_1)
	v_add3_u32 v1, v0, v1, 0x7fff
                                        ; implicit-def: $vgpr0
; %bb.22:                               ;   in Loop: Header=BB14_4 Depth=1
	s_and_not1_saveexec_b32 s34, s34
	s_cbranch_execz .LBB14_2
; %bb.23:                               ;   in Loop: Header=BB14_4 Depth=1
	v_and_b32_e32 v1, 0xffff, v0
	v_or_b32_e32 v2, 0x10000, v0
	s_delay_alu instid0(VALU_DEP_2) | instskip(NEXT) | instid1(VALU_DEP_2)
	v_cmp_eq_u32_e32 vcc_lo, 0, v1
	v_cndmask_b32_e32 v1, v2, v0, vcc_lo
	s_branch .LBB14_2
.LBB14_24:
	s_endpgm
	.section	.rodata,"a",@progbits
	.p2align	6, 0x0
	.amdhsa_kernel _ZL18rocblas_dot_kernelIiLb0ELi512ELi8ELb0E16rocblas_bfloat16PKS0_fEviT5_lT_lS3_lS4_liPT6_PT4_
		.amdhsa_group_segment_fixed_size 128
		.amdhsa_private_segment_fixed_size 0
		.amdhsa_kernarg_size 352
		.amdhsa_user_sgpr_count 2
		.amdhsa_user_sgpr_dispatch_ptr 0
		.amdhsa_user_sgpr_queue_ptr 0
		.amdhsa_user_sgpr_kernarg_segment_ptr 1
		.amdhsa_user_sgpr_dispatch_id 0
		.amdhsa_user_sgpr_kernarg_preload_length 0
		.amdhsa_user_sgpr_kernarg_preload_offset 0
		.amdhsa_user_sgpr_private_segment_size 0
		.amdhsa_wavefront_size32 1
		.amdhsa_uses_dynamic_stack 0
		.amdhsa_enable_private_segment 0
		.amdhsa_system_sgpr_workgroup_id_x 1
		.amdhsa_system_sgpr_workgroup_id_y 0
		.amdhsa_system_sgpr_workgroup_id_z 1
		.amdhsa_system_sgpr_workgroup_info 0
		.amdhsa_system_vgpr_workitem_id 0
		.amdhsa_next_free_vgpr 16
		.amdhsa_next_free_sgpr 38
		.amdhsa_named_barrier_count 0
		.amdhsa_reserve_vcc 1
		.amdhsa_float_round_mode_32 0
		.amdhsa_float_round_mode_16_64 0
		.amdhsa_float_denorm_mode_32 3
		.amdhsa_float_denorm_mode_16_64 3
		.amdhsa_fp16_overflow 0
		.amdhsa_memory_ordered 1
		.amdhsa_forward_progress 1
		.amdhsa_inst_pref_size 9
		.amdhsa_round_robin_scheduling 0
		.amdhsa_exception_fp_ieee_invalid_op 0
		.amdhsa_exception_fp_denorm_src 0
		.amdhsa_exception_fp_ieee_div_zero 0
		.amdhsa_exception_fp_ieee_overflow 0
		.amdhsa_exception_fp_ieee_underflow 0
		.amdhsa_exception_fp_ieee_inexact 0
		.amdhsa_exception_int_div_zero 0
	.end_amdhsa_kernel
	.section	.text._ZL18rocblas_dot_kernelIiLb0ELi512ELi8ELb0E16rocblas_bfloat16PKS0_fEviT5_lT_lS3_lS4_liPT6_PT4_,"axG",@progbits,_ZL18rocblas_dot_kernelIiLb0ELi512ELi8ELb0E16rocblas_bfloat16PKS0_fEviT5_lT_lS3_lS4_liPT6_PT4_,comdat
.Lfunc_end14:
	.size	_ZL18rocblas_dot_kernelIiLb0ELi512ELi8ELb0E16rocblas_bfloat16PKS0_fEviT5_lT_lS3_lS4_liPT6_PT4_, .Lfunc_end14-_ZL18rocblas_dot_kernelIiLb0ELi512ELi8ELb0E16rocblas_bfloat16PKS0_fEviT5_lT_lS3_lS4_liPT6_PT4_
                                        ; -- End function
	.set _ZL18rocblas_dot_kernelIiLb0ELi512ELi8ELb0E16rocblas_bfloat16PKS0_fEviT5_lT_lS3_lS4_liPT6_PT4_.num_vgpr, 16
	.set _ZL18rocblas_dot_kernelIiLb0ELi512ELi8ELb0E16rocblas_bfloat16PKS0_fEviT5_lT_lS3_lS4_liPT6_PT4_.num_agpr, 0
	.set _ZL18rocblas_dot_kernelIiLb0ELi512ELi8ELb0E16rocblas_bfloat16PKS0_fEviT5_lT_lS3_lS4_liPT6_PT4_.numbered_sgpr, 38
	.set _ZL18rocblas_dot_kernelIiLb0ELi512ELi8ELb0E16rocblas_bfloat16PKS0_fEviT5_lT_lS3_lS4_liPT6_PT4_.num_named_barrier, 0
	.set _ZL18rocblas_dot_kernelIiLb0ELi512ELi8ELb0E16rocblas_bfloat16PKS0_fEviT5_lT_lS3_lS4_liPT6_PT4_.private_seg_size, 0
	.set _ZL18rocblas_dot_kernelIiLb0ELi512ELi8ELb0E16rocblas_bfloat16PKS0_fEviT5_lT_lS3_lS4_liPT6_PT4_.uses_vcc, 1
	.set _ZL18rocblas_dot_kernelIiLb0ELi512ELi8ELb0E16rocblas_bfloat16PKS0_fEviT5_lT_lS3_lS4_liPT6_PT4_.uses_flat_scratch, 0
	.set _ZL18rocblas_dot_kernelIiLb0ELi512ELi8ELb0E16rocblas_bfloat16PKS0_fEviT5_lT_lS3_lS4_liPT6_PT4_.has_dyn_sized_stack, 0
	.set _ZL18rocblas_dot_kernelIiLb0ELi512ELi8ELb0E16rocblas_bfloat16PKS0_fEviT5_lT_lS3_lS4_liPT6_PT4_.has_recursion, 0
	.set _ZL18rocblas_dot_kernelIiLb0ELi512ELi8ELb0E16rocblas_bfloat16PKS0_fEviT5_lT_lS3_lS4_liPT6_PT4_.has_indirect_call, 0
	.section	.AMDGPU.csdata,"",@progbits
; Kernel info:
; codeLenInByte = 1148
; TotalNumSgprs: 40
; NumVgprs: 16
; ScratchSize: 0
; MemoryBound: 0
; FloatMode: 240
; IeeeMode: 1
; LDSByteSize: 128 bytes/workgroup (compile time only)
; SGPRBlocks: 0
; VGPRBlocks: 0
; NumSGPRsForWavesPerEU: 40
; NumVGPRsForWavesPerEU: 16
; NamedBarCnt: 0
; Occupancy: 16
; WaveLimiterHint : 0
; COMPUTE_PGM_RSRC2:SCRATCH_EN: 0
; COMPUTE_PGM_RSRC2:USER_SGPR: 2
; COMPUTE_PGM_RSRC2:TRAP_HANDLER: 0
; COMPUTE_PGM_RSRC2:TGID_X_EN: 1
; COMPUTE_PGM_RSRC2:TGID_Y_EN: 0
; COMPUTE_PGM_RSRC2:TGID_Z_EN: 1
; COMPUTE_PGM_RSRC2:TIDIG_COMP_CNT: 0
	.section	.text._ZL24rocblas_dot_kernel_magsqIiLb0ELi512ELi8ELb0E16rocblas_bfloat16PKS0_fEviT5_lT_liPT6_PT4_,"axG",@progbits,_ZL24rocblas_dot_kernel_magsqIiLb0ELi512ELi8ELb0E16rocblas_bfloat16PKS0_fEviT5_lT_liPT6_PT4_,comdat
	.globl	_ZL24rocblas_dot_kernel_magsqIiLb0ELi512ELi8ELb0E16rocblas_bfloat16PKS0_fEviT5_lT_liPT6_PT4_ ; -- Begin function _ZL24rocblas_dot_kernel_magsqIiLb0ELi512ELi8ELb0E16rocblas_bfloat16PKS0_fEviT5_lT_liPT6_PT4_
	.p2align	8
	.type	_ZL24rocblas_dot_kernel_magsqIiLb0ELi512ELi8ELb0E16rocblas_bfloat16PKS0_fEviT5_lT_liPT6_PT4_,@function
_ZL24rocblas_dot_kernel_magsqIiLb0ELi512ELi8ELb0E16rocblas_bfloat16PKS0_fEviT5_lT_liPT6_PT4_: ; @_ZL24rocblas_dot_kernel_magsqIiLb0ELi512ELi8ELb0E16rocblas_bfloat16PKS0_fEviT5_lT_liPT6_PT4_
; %bb.0:
	s_load_b32 s22, s[0:1], 0x28
	s_bfe_u32 s2, ttmp6, 0x40014
	s_lshr_b32 s3, ttmp7, 16
	s_add_co_i32 s2, s2, 1
	s_bfe_u32 s5, ttmp6, 0x40008
	s_mul_i32 s4, s3, s2
	s_getreg_b32 s2, hwreg(HW_REG_IB_STS2, 6, 4)
	s_add_co_i32 s5, s5, s4
	s_cmp_eq_u32 s2, 0
	s_mov_b32 s13, 0
	s_cselect_b32 s12, s3, s5
	s_wait_kmcnt 0x0
	s_cmp_ge_u32 s12, s22
	s_cbranch_scc1 .LBB15_24
; %bb.1:
	v_mbcnt_lo_u32_b32 v7, -1, 0
	s_clause 0x5
	s_load_b32 s18, s[0:1], 0x18
	s_load_b128 s[4:7], s[0:1], 0x30
	s_load_b32 s14, s[0:1], 0x40
	s_load_b128 s[8:11], s[0:1], 0x8
	s_load_b64 s[20:21], s[0:1], 0x20
	s_load_b32 s23, s[0:1], 0x0
	s_wait_xcnt 0x0
	s_bfe_u32 s0, ttmp6, 0x4000c
	s_and_b32 s1, ttmp6, 15
	s_add_co_i32 s3, s0, 1
	v_cmp_gt_u32_e32 vcc_lo, 24, v7
	s_mul_i32 s3, ttmp9, s3
	v_dual_lshrrev_b32 v10, 3, v0 :: v_dual_bitop2_b32 v1, 31, v0 bitop3:0x40
	s_add_co_i32 s1, s1, s3
	v_cndmask_b32_e64 v5, 0, 8, vcc_lo
	v_cmp_gt_u32_e32 vcc_lo, 28, v7
	s_mov_b32 s27, s13
	v_cmp_gt_u32_e64 s0, 32, v0
	v_lshlrev_b32_e32 v2, 2, v1
	v_lshl_or_b32 v3, v7, 2, 64
	v_cndmask_b32_e64 v6, 0, 4, vcc_lo
	v_cmp_gt_u32_e32 vcc_lo, 30, v7
	s_wait_kmcnt 0x0
	s_ashr_i32 s19, s18, 31
	s_cmp_eq_u32 s2, 0
	v_add_lshl_u32 v5, v5, v7, 2
	s_cselect_b32 s26, ttmp9, s1
	v_cndmask_b32_e64 v8, 0, 2, vcc_lo
	v_cmp_ne_u32_e32 vcc_lo, 31, v7
	s_cmp_lg_u32 s14, 1
	v_lshl_or_b32 v4, s26, 9, v0
	s_cselect_b32 s24, -1, 0
	s_lshl_b32 s16, s14, 9
	v_add_co_ci_u32_e64 v9, null, 0, v7, vcc_lo
	s_lshl_b64 s[26:27], s[26:27], 2
	s_ashr_i32 s17, s16, 31
	v_add_lshl_u32 v6, v6, v7, 2
	v_add_lshl_u32 v7, v8, v7, 2
	v_lshlrev_b32_e32 v8, 2, v9
	v_cmp_eq_u32_e64 s1, 0, v1
	v_and_b32_e32 v9, 60, v10
	v_cmp_gt_u32_e64 s2, 16, v0
	v_cmp_eq_u32_e64 s3, 0, v0
	v_mov_b32_e32 v10, 0
	s_lshl_b64 s[10:11], s[10:11], 1
	s_add_nc_u64 s[4:5], s[4:5], s[26:27]
	s_mul_u64 s[26:27], s[18:19], s[16:17]
	s_mov_b32 s15, s13
	s_add_nc_u64 s[8:9], s[8:9], s[10:11]
	s_lshl_b64 s[10:11], s[18:19], 1
	s_lshl_b64 s[18:19], s[20:21], 1
	;; [unrolled: 1-line block ×3, first 2 shown]
	s_branch .LBB15_4
.LBB15_2:                               ;   in Loop: Header=BB15_4 Depth=1
	s_or_b32 exec_lo, exec_lo, s25
	s_lshl_b64 s[26:27], s[12:13], 1
	s_delay_alu instid0(SALU_CYCLE_1)
	s_add_nc_u64 s[26:27], s[6:7], s[26:27]
	global_store_d16_hi_b16 v10, v1, s[26:27]
.LBB15_3:                               ;   in Loop: Header=BB15_4 Depth=1
	s_wait_xcnt 0x0
	s_or_b32 exec_lo, exec_lo, s17
	s_add_co_i32 s12, s12, 0x10000
	s_delay_alu instid0(SALU_CYCLE_1)
	s_cmp_lt_u32 s12, s22
	s_cbranch_scc0 .LBB15_24
.LBB15_4:                               ; =>This Loop Header: Depth=1
                                        ;     Child Loop BB15_6 Depth 2
	v_mov_b32_e32 v11, 0
	s_mov_b32 s17, exec_lo
	v_cmpx_gt_i32_e64 s23, v4
	s_cbranch_execz .LBB15_8
; %bb.5:                                ;   in Loop: Header=BB15_4 Depth=1
	s_mul_u64 s[26:27], s[18:19], s[12:13]
	v_ashrrev_i32_e32 v11, 31, v4
	s_add_nc_u64 s[26:27], s[8:9], s[26:27]
	s_mov_b32 s25, 0
	s_wait_dscnt 0x0
	v_mad_nc_u64_u32 v[0:1], s10, v4, s[26:27]
	s_mov_b32 s26, 0
	s_delay_alu instid0(VALU_DEP_1) | instskip(NEXT) | instid1(VALU_DEP_1)
	v_mad_u32 v1, s11, v4, v1
	v_mad_u32 v1, s10, v11, v1
	v_mov_b32_e32 v11, 0
.LBB15_6:                               ;   Parent Loop BB15_4 Depth=1
                                        ; =>  This Inner Loop Header: Depth=2
	global_load_u16 v12, v[0:1], off
	v_add_nc_u32_e32 v4, s16, v4
	s_add_co_i32 s27, s26, 1
	s_cmp_gt_u32 s26, 6
	s_wait_xcnt 0x0
	v_add_nc_u64_e32 v[0:1], s[20:21], v[0:1]
	s_cselect_b32 s26, -1, 0
	v_cmp_le_i32_e32 vcc_lo, s23, v4
	s_or_b32 s26, s26, vcc_lo
	s_delay_alu instid0(SALU_CYCLE_1) | instskip(NEXT) | instid1(SALU_CYCLE_1)
	s_and_b32 s26, exec_lo, s26
	s_or_b32 s25, s26, s25
	s_mov_b32 s26, s27
	s_wait_loadcnt 0x0
	v_fma_mix_f32_bf16 v11, v12, v12, v11 op_sel_hi:[1,1,0]
	s_and_not1_b32 exec_lo, exec_lo, s25
	s_cbranch_execnz .LBB15_6
; %bb.7:                                ;   in Loop: Header=BB15_4 Depth=1
	s_or_b32 exec_lo, exec_lo, s25
.LBB15_8:                               ;   in Loop: Header=BB15_4 Depth=1
	s_delay_alu instid0(SALU_CYCLE_1)
	s_or_b32 exec_lo, exec_lo, s17
	s_and_saveexec_b32 s17, s0
; %bb.9:                                ;   in Loop: Header=BB15_4 Depth=1
	ds_store_b32 v2, v10
; %bb.10:                               ;   in Loop: Header=BB15_4 Depth=1
	s_or_b32 exec_lo, exec_lo, s17
	s_wait_dscnt 0x0
	ds_bpermute_b32 v0, v3, v11
	s_wait_dscnt 0x0
	s_barrier_signal -1
	s_barrier_wait -1
	v_add_f32_e32 v0, v11, v0
	ds_bpermute_b32 v1, v5, v0
	s_wait_dscnt 0x0
	v_add_f32_e32 v0, v0, v1
	ds_bpermute_b32 v1, v6, v0
	s_wait_dscnt 0x0
	;; [unrolled: 3-line block ×3, first 2 shown]
	v_add_f32_e32 v0, v0, v1
	ds_bpermute_b32 v1, v8, v0
	s_and_saveexec_b32 s17, s1
	s_cbranch_execz .LBB15_12
; %bb.11:                               ;   in Loop: Header=BB15_4 Depth=1
	s_wait_dscnt 0x0
	v_add_f32_e32 v0, v0, v1
	ds_store_b32 v9, v0
.LBB15_12:                              ;   in Loop: Header=BB15_4 Depth=1
	s_or_b32 exec_lo, exec_lo, s17
	v_mov_b32_e32 v0, 0
	s_wait_dscnt 0x0
	s_barrier_signal -1
	s_barrier_wait -1
	s_and_saveexec_b32 s17, s2
	s_cbranch_execnz .LBB15_15
; %bb.13:                               ;   in Loop: Header=BB15_4 Depth=1
	s_or_b32 exec_lo, exec_lo, s17
	s_and_saveexec_b32 s17, s0
	s_cbranch_execnz .LBB15_16
.LBB15_14:                              ;   in Loop: Header=BB15_4 Depth=1
	s_or_b32 exec_lo, exec_lo, s17
	s_and_saveexec_b32 s17, s3
	s_cbranch_execz .LBB15_3
	s_branch .LBB15_17
.LBB15_15:                              ;   in Loop: Header=BB15_4 Depth=1
	ds_load_b32 v0, v2
	s_or_b32 exec_lo, exec_lo, s17
	s_and_saveexec_b32 s17, s0
	s_cbranch_execz .LBB15_14
.LBB15_16:                              ;   in Loop: Header=BB15_4 Depth=1
	s_wait_dscnt 0x0
	ds_bpermute_b32 v1, v5, v0
	s_wait_dscnt 0x0
	v_add_f32_e32 v0, v0, v1
	ds_bpermute_b32 v1, v6, v0
	s_wait_dscnt 0x0
	v_add_f32_e32 v0, v0, v1
	;; [unrolled: 3-line block ×4, first 2 shown]
	s_or_b32 exec_lo, exec_lo, s17
	s_and_saveexec_b32 s17, s3
	s_cbranch_execz .LBB15_3
.LBB15_17:                              ;   in Loop: Header=BB15_4 Depth=1
	s_and_b32 vcc_lo, exec_lo, s24
	s_mov_b32 s25, -1
	s_cbranch_vccz .LBB15_19
; %bb.18:                               ;   in Loop: Header=BB15_4 Depth=1
	s_mul_u64 s[26:27], s[14:15], s[12:13]
	s_mov_b32 s25, 0
	s_lshl_b64 s[26:27], s[26:27], 2
	s_delay_alu instid0(SALU_CYCLE_1)
	s_add_nc_u64 s[26:27], s[4:5], s[26:27]
	s_wait_dscnt 0x0
	global_store_b32 v10, v0, s[26:27]
.LBB15_19:                              ;   in Loop: Header=BB15_4 Depth=1
	s_and_not1_b32 vcc_lo, exec_lo, s25
	s_cbranch_vccnz .LBB15_3
; %bb.20:                               ;   in Loop: Header=BB15_4 Depth=1
	s_wait_dscnt 0x0
	v_and_b32_e32 v1, 0x7f800000, v0
	s_delay_alu instid0(VALU_DEP_1) | instskip(SKIP_2) | instid1(SALU_CYCLE_1)
	v_cmp_ne_u32_e32 vcc_lo, 0x7f800000, v1
                                        ; implicit-def: $vgpr1
	s_wait_xcnt 0x0
	s_and_saveexec_b32 s25, vcc_lo
	s_xor_b32 s25, exec_lo, s25
; %bb.21:                               ;   in Loop: Header=BB15_4 Depth=1
	v_bfe_u32 v1, v0, 16, 1
	s_delay_alu instid0(VALU_DEP_1)
	v_add3_u32 v1, v0, v1, 0x7fff
                                        ; implicit-def: $vgpr0
; %bb.22:                               ;   in Loop: Header=BB15_4 Depth=1
	s_and_not1_saveexec_b32 s25, s25
	s_cbranch_execz .LBB15_2
; %bb.23:                               ;   in Loop: Header=BB15_4 Depth=1
	v_and_b32_e32 v1, 0xffff, v0
	v_or_b32_e32 v11, 0x10000, v0
	s_delay_alu instid0(VALU_DEP_2) | instskip(NEXT) | instid1(VALU_DEP_2)
	v_cmp_eq_u32_e32 vcc_lo, 0, v1
	v_cndmask_b32_e32 v1, v11, v0, vcc_lo
	s_branch .LBB15_2
.LBB15_24:
	s_endpgm
	.section	.rodata,"a",@progbits
	.p2align	6, 0x0
	.amdhsa_kernel _ZL24rocblas_dot_kernel_magsqIiLb0ELi512ELi8ELb0E16rocblas_bfloat16PKS0_fEviT5_lT_liPT6_PT4_
		.amdhsa_group_segment_fixed_size 128
		.amdhsa_private_segment_fixed_size 0
		.amdhsa_kernarg_size 320
		.amdhsa_user_sgpr_count 2
		.amdhsa_user_sgpr_dispatch_ptr 0
		.amdhsa_user_sgpr_queue_ptr 0
		.amdhsa_user_sgpr_kernarg_segment_ptr 1
		.amdhsa_user_sgpr_dispatch_id 0
		.amdhsa_user_sgpr_kernarg_preload_length 0
		.amdhsa_user_sgpr_kernarg_preload_offset 0
		.amdhsa_user_sgpr_private_segment_size 0
		.amdhsa_wavefront_size32 1
		.amdhsa_uses_dynamic_stack 0
		.amdhsa_enable_private_segment 0
		.amdhsa_system_sgpr_workgroup_id_x 1
		.amdhsa_system_sgpr_workgroup_id_y 0
		.amdhsa_system_sgpr_workgroup_id_z 1
		.amdhsa_system_sgpr_workgroup_info 0
		.amdhsa_system_vgpr_workitem_id 0
		.amdhsa_next_free_vgpr 13
		.amdhsa_next_free_sgpr 28
		.amdhsa_named_barrier_count 0
		.amdhsa_reserve_vcc 1
		.amdhsa_float_round_mode_32 0
		.amdhsa_float_round_mode_16_64 0
		.amdhsa_float_denorm_mode_32 3
		.amdhsa_float_denorm_mode_16_64 3
		.amdhsa_fp16_overflow 0
		.amdhsa_memory_ordered 1
		.amdhsa_forward_progress 1
		.amdhsa_inst_pref_size 9
		.amdhsa_round_robin_scheduling 0
		.amdhsa_exception_fp_ieee_invalid_op 0
		.amdhsa_exception_fp_denorm_src 0
		.amdhsa_exception_fp_ieee_div_zero 0
		.amdhsa_exception_fp_ieee_overflow 0
		.amdhsa_exception_fp_ieee_underflow 0
		.amdhsa_exception_fp_ieee_inexact 0
		.amdhsa_exception_int_div_zero 0
	.end_amdhsa_kernel
	.section	.text._ZL24rocblas_dot_kernel_magsqIiLb0ELi512ELi8ELb0E16rocblas_bfloat16PKS0_fEviT5_lT_liPT6_PT4_,"axG",@progbits,_ZL24rocblas_dot_kernel_magsqIiLb0ELi512ELi8ELb0E16rocblas_bfloat16PKS0_fEviT5_lT_liPT6_PT4_,comdat
.Lfunc_end15:
	.size	_ZL24rocblas_dot_kernel_magsqIiLb0ELi512ELi8ELb0E16rocblas_bfloat16PKS0_fEviT5_lT_liPT6_PT4_, .Lfunc_end15-_ZL24rocblas_dot_kernel_magsqIiLb0ELi512ELi8ELb0E16rocblas_bfloat16PKS0_fEviT5_lT_liPT6_PT4_
                                        ; -- End function
	.set _ZL24rocblas_dot_kernel_magsqIiLb0ELi512ELi8ELb0E16rocblas_bfloat16PKS0_fEviT5_lT_liPT6_PT4_.num_vgpr, 13
	.set _ZL24rocblas_dot_kernel_magsqIiLb0ELi512ELi8ELb0E16rocblas_bfloat16PKS0_fEviT5_lT_liPT6_PT4_.num_agpr, 0
	.set _ZL24rocblas_dot_kernel_magsqIiLb0ELi512ELi8ELb0E16rocblas_bfloat16PKS0_fEviT5_lT_liPT6_PT4_.numbered_sgpr, 28
	.set _ZL24rocblas_dot_kernel_magsqIiLb0ELi512ELi8ELb0E16rocblas_bfloat16PKS0_fEviT5_lT_liPT6_PT4_.num_named_barrier, 0
	.set _ZL24rocblas_dot_kernel_magsqIiLb0ELi512ELi8ELb0E16rocblas_bfloat16PKS0_fEviT5_lT_liPT6_PT4_.private_seg_size, 0
	.set _ZL24rocblas_dot_kernel_magsqIiLb0ELi512ELi8ELb0E16rocblas_bfloat16PKS0_fEviT5_lT_liPT6_PT4_.uses_vcc, 1
	.set _ZL24rocblas_dot_kernel_magsqIiLb0ELi512ELi8ELb0E16rocblas_bfloat16PKS0_fEviT5_lT_liPT6_PT4_.uses_flat_scratch, 0
	.set _ZL24rocblas_dot_kernel_magsqIiLb0ELi512ELi8ELb0E16rocblas_bfloat16PKS0_fEviT5_lT_liPT6_PT4_.has_dyn_sized_stack, 0
	.set _ZL24rocblas_dot_kernel_magsqIiLb0ELi512ELi8ELb0E16rocblas_bfloat16PKS0_fEviT5_lT_liPT6_PT4_.has_recursion, 0
	.set _ZL24rocblas_dot_kernel_magsqIiLb0ELi512ELi8ELb0E16rocblas_bfloat16PKS0_fEviT5_lT_liPT6_PT4_.has_indirect_call, 0
	.section	.AMDGPU.csdata,"",@progbits
; Kernel info:
; codeLenInByte = 1044
; TotalNumSgprs: 30
; NumVgprs: 13
; ScratchSize: 0
; MemoryBound: 0
; FloatMode: 240
; IeeeMode: 1
; LDSByteSize: 128 bytes/workgroup (compile time only)
; SGPRBlocks: 0
; VGPRBlocks: 0
; NumSGPRsForWavesPerEU: 30
; NumVGPRsForWavesPerEU: 13
; NamedBarCnt: 0
; Occupancy: 16
; WaveLimiterHint : 0
; COMPUTE_PGM_RSRC2:SCRATCH_EN: 0
; COMPUTE_PGM_RSRC2:USER_SGPR: 2
; COMPUTE_PGM_RSRC2:TRAP_HANDLER: 0
; COMPUTE_PGM_RSRC2:TGID_X_EN: 1
; COMPUTE_PGM_RSRC2:TGID_Y_EN: 0
; COMPUTE_PGM_RSRC2:TGID_Z_EN: 1
; COMPUTE_PGM_RSRC2:TIDIG_COMP_CNT: 0
	.section	.text._ZL28rocblas_dot_batched_4_kernelIiLi32ELi4ELb0EffPKfEviT5_lT_lS2_lS3_liPT4_,"axG",@progbits,_ZL28rocblas_dot_batched_4_kernelIiLi32ELi4ELb0EffPKfEviT5_lT_lS2_lS3_liPT4_,comdat
	.globl	_ZL28rocblas_dot_batched_4_kernelIiLi32ELi4ELb0EffPKfEviT5_lT_lS2_lS3_liPT4_ ; -- Begin function _ZL28rocblas_dot_batched_4_kernelIiLi32ELi4ELb0EffPKfEviT5_lT_lS2_lS3_liPT4_
	.p2align	8
	.type	_ZL28rocblas_dot_batched_4_kernelIiLi32ELi4ELb0EffPKfEviT5_lT_lS2_lS3_liPT4_,@function
_ZL28rocblas_dot_batched_4_kernelIiLi32ELi4ELb0EffPKfEviT5_lT_lS2_lS3_liPT4_: ; @_ZL28rocblas_dot_batched_4_kernelIiLi32ELi4ELb0EffPKfEviT5_lT_lS2_lS3_liPT4_
; %bb.0:
	s_load_b32 s2, s[0:1], 0x48
	s_bfe_u32 s3, ttmp6, 0x4000c
	s_and_b32 s4, ttmp6, 15
	s_add_co_i32 s3, s3, 1
	v_bfe_u32 v1, v0, 10, 10
	s_mul_i32 s3, ttmp9, s3
	s_delay_alu instid0(SALU_CYCLE_1) | instskip(SKIP_1) | instid1(SALU_CYCLE_1)
	s_add_co_i32 s4, s4, s3
	s_getreg_b32 s3, hwreg(HW_REG_IB_STS2, 6, 4)
	s_cmp_eq_u32 s3, 0
	s_cselect_b32 s3, ttmp9, s4
	s_delay_alu instid0(SALU_CYCLE_1) | instskip(SKIP_1) | instid1(VALU_DEP_1)
	v_lshl_add_u32 v2, s3, 2, v1
	s_wait_kmcnt 0x0
	v_cmp_gt_u32_e32 vcc_lo, s2, v2
	s_and_saveexec_b32 s2, vcc_lo
	s_cbranch_execz .LBB16_7
; %bb.1:
	s_load_b32 s6, s[0:1], 0x0
	v_mov_b32_e32 v3, 0
	v_and_b32_e32 v0, 0x3ff, v0
	s_mov_b32 s7, exec_lo
	s_delay_alu instid0(VALU_DEP_2) | instskip(SKIP_1) | instid1(VALU_DEP_2)
	v_mov_b32_e32 v1, v3
	s_wait_kmcnt 0x0
	v_cmpx_gt_i32_e64 s6, v0
	s_cbranch_execz .LBB16_5
; %bb.2:
	s_clause 0x3
	s_load_b128 s[8:11], s[0:1], 0x20
	s_load_b64 s[2:3], s[0:1], 0x40
	s_load_b32 s4, s[0:1], 0x18
	s_load_b96 s[16:18], s[0:1], 0x30
	v_mov_b32_e32 v1, 0
	s_load_b128 s[12:15], s[0:1], 0x8
	s_wait_kmcnt 0x0
	v_mul_u64_e32 v[4:5], s[8:9], v[2:3]
	v_mul_u64_e32 v[6:7], s[2:3], v[2:3]
	s_ashr_i32 s5, s4, 31
	s_ashr_i32 s9, s18, 31
	v_mul_u64_e32 v[8:9], s[4:5], v[0:1]
	s_mov_b32 s8, s18
	s_lshl_b64 s[2:3], s[14:15], 2
	s_lshl_b64 s[14:15], s[16:17], 2
	s_add_nc_u64 s[2:3], s[12:13], s[2:3]
	s_add_nc_u64 s[10:11], s[10:11], s[14:15]
	s_delay_alu instid0(VALU_DEP_3) | instskip(NEXT) | instid1(VALU_DEP_3)
	v_lshlrev_b64_e32 v[4:5], 2, v[4:5]
	v_lshlrev_b64_e32 v[6:7], 2, v[6:7]
	s_delay_alu instid0(VALU_DEP_2) | instskip(SKIP_2) | instid1(VALU_DEP_3)
	v_lshl_add_u64 v[4:5], v[8:9], 2, v[4:5]
	v_mov_b32_e32 v8, v0
	v_mul_u64_e32 v[10:11], s[8:9], v[0:1]
	v_add_nc_u64_e32 v[4:5], s[2:3], v[4:5]
	s_lshl_b64 s[2:3], s[4:5], 7
	s_lshl_b64 s[4:5], s[8:9], 7
	s_mov_b32 s8, 0
	s_delay_alu instid0(VALU_DEP_2) | instskip(NEXT) | instid1(VALU_DEP_1)
	v_lshl_add_u64 v[6:7], v[10:11], 2, v[6:7]
	v_add_nc_u64_e32 v[6:7], s[10:11], v[6:7]
.LBB16_3:                               ; =>This Inner Loop Header: Depth=1
	global_load_b32 v9, v[4:5], off
	global_load_b32 v10, v[6:7], off
	v_add_nc_u32_e32 v8, 32, v8
	s_wait_xcnt 0x1
	v_add_nc_u64_e32 v[4:5], s[2:3], v[4:5]
	s_wait_xcnt 0x0
	v_add_nc_u64_e32 v[6:7], s[4:5], v[6:7]
	s_wait_loadcnt 0x0
	v_fmac_f32_e32 v1, v9, v10
	v_cmp_le_i32_e32 vcc_lo, s6, v8
	s_or_b32 s8, vcc_lo, s8
	s_delay_alu instid0(SALU_CYCLE_1)
	s_and_not1_b32 exec_lo, exec_lo, s8
	s_cbranch_execnz .LBB16_3
; %bb.4:
	s_or_b32 exec_lo, exec_lo, s8
.LBB16_5:
	s_delay_alu instid0(SALU_CYCLE_1) | instskip(SKIP_4) | instid1(VALU_DEP_1)
	s_or_b32 exec_lo, exec_lo, s7
	v_mbcnt_lo_u32_b32 v4, -1, 0
	s_load_b64 s[0:1], s[0:1], 0x50
	s_barrier_signal -1
	s_barrier_wait -1
	v_lshl_or_b32 v5, v4, 2, 64
	v_cmp_gt_u32_e32 vcc_lo, 24, v4
	ds_bpermute_b32 v5, v5, v1
	v_cndmask_b32_e64 v6, 0, 8, vcc_lo
	v_cmp_gt_u32_e32 vcc_lo, 28, v4
	s_delay_alu instid0(VALU_DEP_2)
	v_add_lshl_u32 v6, v6, v4, 2
	s_wait_dscnt 0x0
	v_add_f32_e32 v1, v1, v5
	ds_bpermute_b32 v5, v6, v1
	v_cndmask_b32_e64 v6, 0, 4, vcc_lo
	v_cmp_gt_u32_e32 vcc_lo, 30, v4
	s_delay_alu instid0(VALU_DEP_2)
	v_add_lshl_u32 v6, v6, v4, 2
	s_wait_dscnt 0x0
	v_add_f32_e32 v1, v1, v5
	ds_bpermute_b32 v5, v6, v1
	v_cndmask_b32_e64 v6, 0, 2, vcc_lo
	v_cmp_ne_u32_e32 vcc_lo, 31, v4
	s_delay_alu instid0(VALU_DEP_2) | instskip(SKIP_3) | instid1(VALU_DEP_2)
	v_add_lshl_u32 v6, v6, v4, 2
	v_add_co_ci_u32_e64 v4, null, 0, v4, vcc_lo
	v_cmp_eq_u32_e32 vcc_lo, 0, v0
	s_wait_dscnt 0x0
	v_dual_add_f32 v1, v1, v5 :: v_dual_lshlrev_b32 v4, 2, v4
	ds_bpermute_b32 v5, v6, v1
	s_wait_dscnt 0x0
	v_add_f32_e32 v1, v1, v5
	ds_bpermute_b32 v4, v4, v1
	s_and_b32 exec_lo, exec_lo, vcc_lo
	s_cbranch_execz .LBB16_7
; %bb.6:
	s_wait_kmcnt 0x0
	v_lshl_add_u64 v[2:3], v[2:3], 2, s[0:1]
	s_wait_dscnt 0x0
	v_add_f32_e32 v0, v1, v4
	global_store_b32 v[2:3], v0, off
.LBB16_7:
	s_endpgm
	.section	.rodata,"a",@progbits
	.p2align	6, 0x0
	.amdhsa_kernel _ZL28rocblas_dot_batched_4_kernelIiLi32ELi4ELb0EffPKfEviT5_lT_lS2_lS3_liPT4_
		.amdhsa_group_segment_fixed_size 0
		.amdhsa_private_segment_fixed_size 0
		.amdhsa_kernarg_size 88
		.amdhsa_user_sgpr_count 2
		.amdhsa_user_sgpr_dispatch_ptr 0
		.amdhsa_user_sgpr_queue_ptr 0
		.amdhsa_user_sgpr_kernarg_segment_ptr 1
		.amdhsa_user_sgpr_dispatch_id 0
		.amdhsa_user_sgpr_kernarg_preload_length 0
		.amdhsa_user_sgpr_kernarg_preload_offset 0
		.amdhsa_user_sgpr_private_segment_size 0
		.amdhsa_wavefront_size32 1
		.amdhsa_uses_dynamic_stack 0
		.amdhsa_enable_private_segment 0
		.amdhsa_system_sgpr_workgroup_id_x 1
		.amdhsa_system_sgpr_workgroup_id_y 0
		.amdhsa_system_sgpr_workgroup_id_z 0
		.amdhsa_system_sgpr_workgroup_info 0
		.amdhsa_system_vgpr_workitem_id 1
		.amdhsa_next_free_vgpr 12
		.amdhsa_next_free_sgpr 19
		.amdhsa_named_barrier_count 0
		.amdhsa_reserve_vcc 1
		.amdhsa_float_round_mode_32 0
		.amdhsa_float_round_mode_16_64 0
		.amdhsa_float_denorm_mode_32 3
		.amdhsa_float_denorm_mode_16_64 3
		.amdhsa_fp16_overflow 0
		.amdhsa_memory_ordered 1
		.amdhsa_forward_progress 1
		.amdhsa_inst_pref_size 5
		.amdhsa_round_robin_scheduling 0
		.amdhsa_exception_fp_ieee_invalid_op 0
		.amdhsa_exception_fp_denorm_src 0
		.amdhsa_exception_fp_ieee_div_zero 0
		.amdhsa_exception_fp_ieee_overflow 0
		.amdhsa_exception_fp_ieee_underflow 0
		.amdhsa_exception_fp_ieee_inexact 0
		.amdhsa_exception_int_div_zero 0
	.end_amdhsa_kernel
	.section	.text._ZL28rocblas_dot_batched_4_kernelIiLi32ELi4ELb0EffPKfEviT5_lT_lS2_lS3_liPT4_,"axG",@progbits,_ZL28rocblas_dot_batched_4_kernelIiLi32ELi4ELb0EffPKfEviT5_lT_lS2_lS3_liPT4_,comdat
.Lfunc_end16:
	.size	_ZL28rocblas_dot_batched_4_kernelIiLi32ELi4ELb0EffPKfEviT5_lT_lS2_lS3_liPT4_, .Lfunc_end16-_ZL28rocblas_dot_batched_4_kernelIiLi32ELi4ELb0EffPKfEviT5_lT_lS2_lS3_liPT4_
                                        ; -- End function
	.set _ZL28rocblas_dot_batched_4_kernelIiLi32ELi4ELb0EffPKfEviT5_lT_lS2_lS3_liPT4_.num_vgpr, 12
	.set _ZL28rocblas_dot_batched_4_kernelIiLi32ELi4ELb0EffPKfEviT5_lT_lS2_lS3_liPT4_.num_agpr, 0
	.set _ZL28rocblas_dot_batched_4_kernelIiLi32ELi4ELb0EffPKfEviT5_lT_lS2_lS3_liPT4_.numbered_sgpr, 19
	.set _ZL28rocblas_dot_batched_4_kernelIiLi32ELi4ELb0EffPKfEviT5_lT_lS2_lS3_liPT4_.num_named_barrier, 0
	.set _ZL28rocblas_dot_batched_4_kernelIiLi32ELi4ELb0EffPKfEviT5_lT_lS2_lS3_liPT4_.private_seg_size, 0
	.set _ZL28rocblas_dot_batched_4_kernelIiLi32ELi4ELb0EffPKfEviT5_lT_lS2_lS3_liPT4_.uses_vcc, 1
	.set _ZL28rocblas_dot_batched_4_kernelIiLi32ELi4ELb0EffPKfEviT5_lT_lS2_lS3_liPT4_.uses_flat_scratch, 0
	.set _ZL28rocblas_dot_batched_4_kernelIiLi32ELi4ELb0EffPKfEviT5_lT_lS2_lS3_liPT4_.has_dyn_sized_stack, 0
	.set _ZL28rocblas_dot_batched_4_kernelIiLi32ELi4ELb0EffPKfEviT5_lT_lS2_lS3_liPT4_.has_recursion, 0
	.set _ZL28rocblas_dot_batched_4_kernelIiLi32ELi4ELb0EffPKfEviT5_lT_lS2_lS3_liPT4_.has_indirect_call, 0
	.section	.AMDGPU.csdata,"",@progbits
; Kernel info:
; codeLenInByte = 612
; TotalNumSgprs: 21
; NumVgprs: 12
; ScratchSize: 0
; MemoryBound: 0
; FloatMode: 240
; IeeeMode: 1
; LDSByteSize: 0 bytes/workgroup (compile time only)
; SGPRBlocks: 0
; VGPRBlocks: 0
; NumSGPRsForWavesPerEU: 21
; NumVGPRsForWavesPerEU: 12
; NamedBarCnt: 0
; Occupancy: 16
; WaveLimiterHint : 0
; COMPUTE_PGM_RSRC2:SCRATCH_EN: 0
; COMPUTE_PGM_RSRC2:USER_SGPR: 2
; COMPUTE_PGM_RSRC2:TRAP_HANDLER: 0
; COMPUTE_PGM_RSRC2:TGID_X_EN: 1
; COMPUTE_PGM_RSRC2:TGID_Y_EN: 0
; COMPUTE_PGM_RSRC2:TGID_Z_EN: 0
; COMPUTE_PGM_RSRC2:TIDIG_COMP_CNT: 1
	.section	.text._ZL28rocblas_dot_batched_4_kernelIiLi64ELi4ELb0EffPKfEviT5_lT_lS2_lS3_liPT4_,"axG",@progbits,_ZL28rocblas_dot_batched_4_kernelIiLi64ELi4ELb0EffPKfEviT5_lT_lS2_lS3_liPT4_,comdat
	.globl	_ZL28rocblas_dot_batched_4_kernelIiLi64ELi4ELb0EffPKfEviT5_lT_lS2_lS3_liPT4_ ; -- Begin function _ZL28rocblas_dot_batched_4_kernelIiLi64ELi4ELb0EffPKfEviT5_lT_lS2_lS3_liPT4_
	.p2align	8
	.type	_ZL28rocblas_dot_batched_4_kernelIiLi64ELi4ELb0EffPKfEviT5_lT_lS2_lS3_liPT4_,@function
_ZL28rocblas_dot_batched_4_kernelIiLi64ELi4ELb0EffPKfEviT5_lT_lS2_lS3_liPT4_: ; @_ZL28rocblas_dot_batched_4_kernelIiLi64ELi4ELb0EffPKfEviT5_lT_lS2_lS3_liPT4_
; %bb.0:
	s_load_b32 s2, s[0:1], 0x48
	s_bfe_u32 s3, ttmp6, 0x4000c
	s_and_b32 s4, ttmp6, 15
	s_add_co_i32 s3, s3, 1
	v_bfe_u32 v1, v0, 10, 10
	s_mul_i32 s3, ttmp9, s3
	s_delay_alu instid0(SALU_CYCLE_1) | instskip(SKIP_1) | instid1(SALU_CYCLE_1)
	s_add_co_i32 s4, s4, s3
	s_getreg_b32 s3, hwreg(HW_REG_IB_STS2, 6, 4)
	s_cmp_eq_u32 s3, 0
	s_cselect_b32 s3, ttmp9, s4
	s_delay_alu instid0(SALU_CYCLE_1) | instskip(SKIP_1) | instid1(VALU_DEP_1)
	v_lshl_add_u32 v2, s3, 2, v1
	s_wait_kmcnt 0x0
	v_cmp_gt_u32_e32 vcc_lo, s2, v2
	s_and_saveexec_b32 s2, vcc_lo
	s_cbranch_execz .LBB17_7
; %bb.1:
	s_load_b32 s6, s[0:1], 0x0
	v_mov_b32_e32 v3, 0
	v_and_b32_e32 v0, 0x3ff, v0
	s_mov_b32 s7, exec_lo
	s_delay_alu instid0(VALU_DEP_2) | instskip(SKIP_1) | instid1(VALU_DEP_2)
	v_mov_b32_e32 v1, v3
	s_wait_kmcnt 0x0
	v_cmpx_gt_i32_e64 s6, v0
	s_cbranch_execz .LBB17_5
; %bb.2:
	s_clause 0x3
	s_load_b128 s[8:11], s[0:1], 0x20
	s_load_b64 s[2:3], s[0:1], 0x40
	s_load_b32 s4, s[0:1], 0x18
	s_load_b96 s[16:18], s[0:1], 0x30
	v_mov_b32_e32 v1, 0
	s_load_b128 s[12:15], s[0:1], 0x8
	s_wait_kmcnt 0x0
	v_mul_u64_e32 v[4:5], s[8:9], v[2:3]
	v_mul_u64_e32 v[6:7], s[2:3], v[2:3]
	s_ashr_i32 s5, s4, 31
	s_ashr_i32 s9, s18, 31
	v_mul_u64_e32 v[8:9], s[4:5], v[0:1]
	s_mov_b32 s8, s18
	s_lshl_b64 s[2:3], s[14:15], 2
	s_lshl_b64 s[14:15], s[16:17], 2
	s_add_nc_u64 s[2:3], s[12:13], s[2:3]
	s_add_nc_u64 s[10:11], s[10:11], s[14:15]
	s_delay_alu instid0(VALU_DEP_3) | instskip(NEXT) | instid1(VALU_DEP_3)
	v_lshlrev_b64_e32 v[4:5], 2, v[4:5]
	v_lshlrev_b64_e32 v[6:7], 2, v[6:7]
	s_delay_alu instid0(VALU_DEP_2) | instskip(SKIP_2) | instid1(VALU_DEP_3)
	v_lshl_add_u64 v[4:5], v[8:9], 2, v[4:5]
	v_mov_b32_e32 v8, v0
	v_mul_u64_e32 v[10:11], s[8:9], v[0:1]
	v_add_nc_u64_e32 v[4:5], s[2:3], v[4:5]
	s_lshl_b64 s[2:3], s[4:5], 8
	s_lshl_b64 s[4:5], s[8:9], 8
	s_mov_b32 s8, 0
	s_delay_alu instid0(VALU_DEP_2) | instskip(NEXT) | instid1(VALU_DEP_1)
	v_lshl_add_u64 v[6:7], v[10:11], 2, v[6:7]
	v_add_nc_u64_e32 v[6:7], s[10:11], v[6:7]
.LBB17_3:                               ; =>This Inner Loop Header: Depth=1
	global_load_b32 v9, v[4:5], off
	global_load_b32 v10, v[6:7], off
	v_add_nc_u32_e32 v8, 64, v8
	s_wait_xcnt 0x1
	v_add_nc_u64_e32 v[4:5], s[2:3], v[4:5]
	s_wait_xcnt 0x0
	v_add_nc_u64_e32 v[6:7], s[4:5], v[6:7]
	s_wait_loadcnt 0x0
	v_fmac_f32_e32 v1, v9, v10
	v_cmp_le_i32_e32 vcc_lo, s6, v8
	s_or_b32 s8, vcc_lo, s8
	s_delay_alu instid0(SALU_CYCLE_1)
	s_and_not1_b32 exec_lo, exec_lo, s8
	s_cbranch_execnz .LBB17_3
; %bb.4:
	s_or_b32 exec_lo, exec_lo, s8
.LBB17_5:
	s_delay_alu instid0(SALU_CYCLE_1) | instskip(SKIP_4) | instid1(VALU_DEP_1)
	s_or_b32 exec_lo, exec_lo, s7
	v_mbcnt_lo_u32_b32 v4, -1, 0
	s_load_b64 s[0:1], s[0:1], 0x50
	s_barrier_signal -1
	s_barrier_wait -1
	v_lshlrev_b32_e32 v5, 2, v4
	v_cmp_gt_u32_e32 vcc_lo, 24, v4
	ds_bpermute_b32 v6, v5, v1
	s_wait_dscnt 0x0
	v_dual_add_f32 v1, v1, v6 :: v_dual_bitop2_b32 v5, 64, v5 bitop3:0x54
	v_cndmask_b32_e64 v6, 0, 8, vcc_lo
	v_cmp_gt_u32_e32 vcc_lo, 28, v4
	ds_bpermute_b32 v5, v5, v1
	v_add_lshl_u32 v6, v6, v4, 2
	s_wait_dscnt 0x0
	v_add_f32_e32 v1, v1, v5
	ds_bpermute_b32 v5, v6, v1
	v_cndmask_b32_e64 v6, 0, 4, vcc_lo
	v_cmp_gt_u32_e32 vcc_lo, 30, v4
	s_delay_alu instid0(VALU_DEP_2)
	v_add_lshl_u32 v6, v6, v4, 2
	s_wait_dscnt 0x0
	v_add_f32_e32 v1, v1, v5
	ds_bpermute_b32 v5, v6, v1
	v_cndmask_b32_e64 v6, 0, 2, vcc_lo
	v_cmp_ne_u32_e32 vcc_lo, 31, v4
	s_delay_alu instid0(VALU_DEP_2) | instskip(SKIP_3) | instid1(VALU_DEP_2)
	v_add_lshl_u32 v6, v6, v4, 2
	v_add_co_ci_u32_e64 v4, null, 0, v4, vcc_lo
	v_cmp_eq_u32_e32 vcc_lo, 0, v0
	s_wait_dscnt 0x0
	v_dual_add_f32 v1, v1, v5 :: v_dual_lshlrev_b32 v4, 2, v4
	ds_bpermute_b32 v5, v6, v1
	s_wait_dscnt 0x0
	v_add_f32_e32 v1, v1, v5
	ds_bpermute_b32 v4, v4, v1
	s_and_b32 exec_lo, exec_lo, vcc_lo
	s_cbranch_execz .LBB17_7
; %bb.6:
	s_wait_kmcnt 0x0
	v_lshl_add_u64 v[2:3], v[2:3], 2, s[0:1]
	s_wait_dscnt 0x0
	v_add_f32_e32 v0, v1, v4
	global_store_b32 v[2:3], v0, off
.LBB17_7:
	s_endpgm
	.section	.rodata,"a",@progbits
	.p2align	6, 0x0
	.amdhsa_kernel _ZL28rocblas_dot_batched_4_kernelIiLi64ELi4ELb0EffPKfEviT5_lT_lS2_lS3_liPT4_
		.amdhsa_group_segment_fixed_size 0
		.amdhsa_private_segment_fixed_size 0
		.amdhsa_kernarg_size 88
		.amdhsa_user_sgpr_count 2
		.amdhsa_user_sgpr_dispatch_ptr 0
		.amdhsa_user_sgpr_queue_ptr 0
		.amdhsa_user_sgpr_kernarg_segment_ptr 1
		.amdhsa_user_sgpr_dispatch_id 0
		.amdhsa_user_sgpr_kernarg_preload_length 0
		.amdhsa_user_sgpr_kernarg_preload_offset 0
		.amdhsa_user_sgpr_private_segment_size 0
		.amdhsa_wavefront_size32 1
		.amdhsa_uses_dynamic_stack 0
		.amdhsa_enable_private_segment 0
		.amdhsa_system_sgpr_workgroup_id_x 1
		.amdhsa_system_sgpr_workgroup_id_y 0
		.amdhsa_system_sgpr_workgroup_id_z 0
		.amdhsa_system_sgpr_workgroup_info 0
		.amdhsa_system_vgpr_workitem_id 1
		.amdhsa_next_free_vgpr 12
		.amdhsa_next_free_sgpr 19
		.amdhsa_named_barrier_count 0
		.amdhsa_reserve_vcc 1
		.amdhsa_float_round_mode_32 0
		.amdhsa_float_round_mode_16_64 0
		.amdhsa_float_denorm_mode_32 3
		.amdhsa_float_denorm_mode_16_64 3
		.amdhsa_fp16_overflow 0
		.amdhsa_memory_ordered 1
		.amdhsa_forward_progress 1
		.amdhsa_inst_pref_size 5
		.amdhsa_round_robin_scheduling 0
		.amdhsa_exception_fp_ieee_invalid_op 0
		.amdhsa_exception_fp_denorm_src 0
		.amdhsa_exception_fp_ieee_div_zero 0
		.amdhsa_exception_fp_ieee_overflow 0
		.amdhsa_exception_fp_ieee_underflow 0
		.amdhsa_exception_fp_ieee_inexact 0
		.amdhsa_exception_int_div_zero 0
	.end_amdhsa_kernel
	.section	.text._ZL28rocblas_dot_batched_4_kernelIiLi64ELi4ELb0EffPKfEviT5_lT_lS2_lS3_liPT4_,"axG",@progbits,_ZL28rocblas_dot_batched_4_kernelIiLi64ELi4ELb0EffPKfEviT5_lT_lS2_lS3_liPT4_,comdat
.Lfunc_end17:
	.size	_ZL28rocblas_dot_batched_4_kernelIiLi64ELi4ELb0EffPKfEviT5_lT_lS2_lS3_liPT4_, .Lfunc_end17-_ZL28rocblas_dot_batched_4_kernelIiLi64ELi4ELb0EffPKfEviT5_lT_lS2_lS3_liPT4_
                                        ; -- End function
	.set _ZL28rocblas_dot_batched_4_kernelIiLi64ELi4ELb0EffPKfEviT5_lT_lS2_lS3_liPT4_.num_vgpr, 12
	.set _ZL28rocblas_dot_batched_4_kernelIiLi64ELi4ELb0EffPKfEviT5_lT_lS2_lS3_liPT4_.num_agpr, 0
	.set _ZL28rocblas_dot_batched_4_kernelIiLi64ELi4ELb0EffPKfEviT5_lT_lS2_lS3_liPT4_.numbered_sgpr, 19
	.set _ZL28rocblas_dot_batched_4_kernelIiLi64ELi4ELb0EffPKfEviT5_lT_lS2_lS3_liPT4_.num_named_barrier, 0
	.set _ZL28rocblas_dot_batched_4_kernelIiLi64ELi4ELb0EffPKfEviT5_lT_lS2_lS3_liPT4_.private_seg_size, 0
	.set _ZL28rocblas_dot_batched_4_kernelIiLi64ELi4ELb0EffPKfEviT5_lT_lS2_lS3_liPT4_.uses_vcc, 1
	.set _ZL28rocblas_dot_batched_4_kernelIiLi64ELi4ELb0EffPKfEviT5_lT_lS2_lS3_liPT4_.uses_flat_scratch, 0
	.set _ZL28rocblas_dot_batched_4_kernelIiLi64ELi4ELb0EffPKfEviT5_lT_lS2_lS3_liPT4_.has_dyn_sized_stack, 0
	.set _ZL28rocblas_dot_batched_4_kernelIiLi64ELi4ELb0EffPKfEviT5_lT_lS2_lS3_liPT4_.has_recursion, 0
	.set _ZL28rocblas_dot_batched_4_kernelIiLi64ELi4ELb0EffPKfEviT5_lT_lS2_lS3_liPT4_.has_indirect_call, 0
	.section	.AMDGPU.csdata,"",@progbits
; Kernel info:
; codeLenInByte = 628
; TotalNumSgprs: 21
; NumVgprs: 12
; ScratchSize: 0
; MemoryBound: 0
; FloatMode: 240
; IeeeMode: 1
; LDSByteSize: 0 bytes/workgroup (compile time only)
; SGPRBlocks: 0
; VGPRBlocks: 0
; NumSGPRsForWavesPerEU: 21
; NumVGPRsForWavesPerEU: 12
; NamedBarCnt: 0
; Occupancy: 16
; WaveLimiterHint : 0
; COMPUTE_PGM_RSRC2:SCRATCH_EN: 0
; COMPUTE_PGM_RSRC2:USER_SGPR: 2
; COMPUTE_PGM_RSRC2:TRAP_HANDLER: 0
; COMPUTE_PGM_RSRC2:TGID_X_EN: 1
; COMPUTE_PGM_RSRC2:TGID_Y_EN: 0
; COMPUTE_PGM_RSRC2:TGID_Z_EN: 0
; COMPUTE_PGM_RSRC2:TIDIG_COMP_CNT: 1
	.section	.text._ZL26rocblas_dot_kernel_inc1by2ILb1ELi1024ELi32ELb0EfPKffEviT4_llS2_lliPT5_PT3_,"axG",@progbits,_ZL26rocblas_dot_kernel_inc1by2ILb1ELi1024ELi32ELb0EfPKffEviT4_llS2_lliPT5_PT3_,comdat
	.globl	_ZL26rocblas_dot_kernel_inc1by2ILb1ELi1024ELi32ELb0EfPKffEviT4_llS2_lliPT5_PT3_ ; -- Begin function _ZL26rocblas_dot_kernel_inc1by2ILb1ELi1024ELi32ELb0EfPKffEviT4_llS2_lliPT5_PT3_
	.p2align	8
	.type	_ZL26rocblas_dot_kernel_inc1by2ILb1ELi1024ELi32ELb0EfPKffEviT4_llS2_lliPT5_PT3_,@function
_ZL26rocblas_dot_kernel_inc1by2ILb1ELi1024ELi32ELb0EfPKffEviT4_llS2_lliPT5_PT3_: ; @_ZL26rocblas_dot_kernel_inc1by2ILb1ELi1024ELi32ELb0EfPKffEviT4_llS2_lliPT5_PT3_
; %bb.0:
	s_load_b32 s3, s[0:1], 0x38
	s_bfe_u32 s2, ttmp6, 0x40014
	s_lshr_b32 s4, ttmp7, 16
	s_add_co_i32 s2, s2, 1
	s_bfe_u32 s5, ttmp6, 0x40008
	s_mul_i32 s2, s4, s2
	s_getreg_b32 s6, hwreg(HW_REG_IB_STS2, 6, 4)
	s_add_co_i32 s5, s5, s2
	s_cmp_eq_u32 s6, 0
	s_mov_b32 s13, 0
	s_cselect_b32 s12, s4, s5
	s_wait_kmcnt 0x0
	s_cmp_ge_u32 s12, s3
	s_cbranch_scc1 .LBB18_19
; %bb.1:
	s_clause 0x4
	s_load_b32 s20, s[0:1], 0x0
	s_load_b128 s[4:7], s[0:1], 0x10
	s_load_b128 s[8:11], s[0:1], 0x28
	s_load_b64 s[16:17], s[0:1], 0x8
	s_load_b64 s[18:19], s[0:1], 0x20
	v_mbcnt_lo_u32_b32 v2, -1, 0
	s_load_b64 s[14:15], s[0:1], 0x48
	v_dual_mov_b32 v13, 0 :: v_dual_bitop2_b32 v1, 31, v0 bitop3:0x40
	v_cmp_gt_u32_e32 vcc_lo, 32, v0
	s_wait_xcnt 0x0
	v_cmp_gt_u32_e64 s0, 24, v2
	v_lshl_or_b32 v7, v2, 2, 64
	s_delay_alu instid0(VALU_DEP_2) | instskip(SKIP_1) | instid1(VALU_DEP_2)
	v_cndmask_b32_e64 v3, 0, 8, s0
	v_cmp_gt_u32_e64 s0, 28, v2
	v_add_lshl_u32 v8, v3, v2, 2
	s_delay_alu instid0(VALU_DEP_2)
	v_cndmask_b32_e64 v4, 0, 4, s0
	s_wait_kmcnt 0x0
	s_lshl_b64 s[0:1], s[4:5], 2
	v_lshrrev_b32_e32 v3, 3, v0
	s_add_nc_u64 s[4:5], s[16:17], s[0:1]
	v_cmp_gt_u32_e64 s0, 30, v2
	s_ashr_i32 s21, s20, 31
	s_lshl_b64 s[8:9], s[8:9], 2
	s_add_co_i32 s22, s20, -1
	v_add_lshl_u32 v9, v4, v2, 2
	v_cndmask_b32_e64 v5, 0, 2, s0
	v_cmp_ne_u32_e64 s0, 31, v2
	v_and_b32_e32 v12, 0x7c, v3
	v_cmp_eq_u32_e64 s1, 0, v0
	s_bitcmp1_b32 s20, 0
	v_add_lshl_u32 v10, v5, v2, 2
	v_add_co_ci_u32_e64 v11, null, 0, v2, s0
	v_lshlrev_b32_e32 v6, 2, v1
	v_cmp_eq_u32_e64 s0, 0, v1
	s_add_nc_u64 s[8:9], s[18:19], s[8:9]
	v_lshlrev_b32_e32 v11, 2, v11
	s_cselect_b32 s23, -1, 0
	s_lshl_b64 s[16:17], s[10:11], 2
	s_lshl_b64 s[18:19], s[6:7], 2
	;; [unrolled: 1-line block ×3, first 2 shown]
	s_branch .LBB18_3
.LBB18_2:                               ;   in Loop: Header=BB18_3 Depth=1
	s_wait_xcnt 0x0
	s_or_b32 exec_lo, exec_lo, s2
	s_add_co_i32 s12, s12, 0x10000
	s_delay_alu instid0(SALU_CYCLE_1)
	s_cmp_lt_u32 s12, s3
	s_cbranch_scc0 .LBB18_19
.LBB18_3:                               ; =>This Loop Header: Depth=1
                                        ;     Child Loop BB18_5 Depth 2
	s_wait_dscnt 0x0
	v_dual_mov_b32 v1, 0 :: v_dual_lshlrev_b32 v0, 1, v0
	s_mov_b32 s24, exec_lo
	s_delay_alu instid0(VALU_DEP_1)
	v_cmpx_gt_i32_e64 s22, v0
	s_cbranch_execz .LBB18_7
; %bb.4:                                ;   in Loop: Header=BB18_3 Depth=1
	v_ashrrev_i32_e32 v1, 31, v0
	s_mul_u64 s[26:27], s[16:17], s[12:13]
	s_mul_u64 s[28:29], s[18:19], s[12:13]
	s_add_nc_u64 s[26:27], s[8:9], s[26:27]
	s_add_nc_u64 s[28:29], s[4:5], s[28:29]
	v_lshlrev_b64_e32 v[4:5], 2, v[0:1]
	v_mov_b32_e32 v1, 0
	s_mov_b32 s25, 0
	s_mov_b32 s2, 0
	s_delay_alu instid0(VALU_DEP_2)
	v_add_nc_u64_e32 v[2:3], s[26:27], v[4:5]
	v_add_nc_u64_e32 v[4:5], s[28:29], v[4:5]
.LBB18_5:                               ;   Parent Loop BB18_3 Depth=1
                                        ; =>  This Inner Loop Header: Depth=2
	global_load_b64 v[14:15], v[2:3], off
	global_load_b64 v[16:17], v[4:5], off
	s_add_co_i32 s26, s2, 1
	s_cmp_gt_u32 s2, 30
	s_wait_xcnt 0x1
	v_add_nc_u64_e32 v[2:3], 0x2000, v[2:3]
	s_cselect_b32 s27, -1, 0
	s_wait_xcnt 0x0
	v_add_nc_u64_e32 v[4:5], 0x2000, v[4:5]
	s_wait_loadcnt 0x0
	v_pk_mul_f32 v[14:15], v[14:15], v[16:17]
	s_delay_alu instid0(VALU_DEP_1) | instskip(NEXT) | instid1(VALU_DEP_1)
	v_dual_add_f32 v1, v1, v14 :: v_dual_add_nc_u32 v0, 0x800, v0
	v_cmp_le_i32_e64 s2, s22, v0
	s_delay_alu instid0(VALU_DEP_2) | instskip(SKIP_1) | instid1(SALU_CYCLE_1)
	v_add_f32_e32 v1, v1, v15
	s_or_b32 s2, s27, s2
	s_and_b32 s2, exec_lo, s2
	s_delay_alu instid0(SALU_CYCLE_1)
	s_or_b32 s25, s2, s25
	s_mov_b32 s2, s26
	s_and_not1_b32 exec_lo, exec_lo, s25
	s_cbranch_execnz .LBB18_5
; %bb.6:                                ;   in Loop: Header=BB18_3 Depth=1
	s_or_b32 exec_lo, exec_lo, s25
.LBB18_7:                               ;   in Loop: Header=BB18_3 Depth=1
	s_delay_alu instid0(SALU_CYCLE_1) | instskip(SKIP_2) | instid1(SALU_CYCLE_1)
	s_or_b32 exec_lo, exec_lo, s24
	v_cmp_eq_u32_e64 s2, s22, v0
	s_and_b32 s24, s23, s2
	s_and_saveexec_b32 s2, s24
	s_cbranch_execz .LBB18_9
; %bb.8:                                ;   in Loop: Header=BB18_3 Depth=1
	s_mul_u64 s[24:25], s[10:11], s[12:13]
	s_mul_u64 s[26:27], s[6:7], s[12:13]
	s_lshl_b64 s[24:25], s[24:25], 2
	s_lshl_b64 s[26:27], s[26:27], 2
	s_add_nc_u64 s[24:25], s[8:9], s[24:25]
	s_add_nc_u64 s[26:27], s[4:5], s[26:27]
	;; [unrolled: 1-line block ×4, first 2 shown]
	s_add_nc_u64 s[24:25], s[24:25], -4
	s_add_nc_u64 s[26:27], s[26:27], -4
	s_load_b32 s28, s[24:25], 0x0
	s_load_b32 s29, s[26:27], 0x0
	s_wait_kmcnt 0x0
	v_fmac_f32_e64 v1, s28, s29
.LBB18_9:                               ;   in Loop: Header=BB18_3 Depth=1
	s_or_b32 exec_lo, exec_lo, s2
	s_and_saveexec_b32 s2, vcc_lo
; %bb.10:                               ;   in Loop: Header=BB18_3 Depth=1
	ds_store_b32 v6, v13
; %bb.11:                               ;   in Loop: Header=BB18_3 Depth=1
	s_or_b32 exec_lo, exec_lo, s2
	ds_bpermute_b32 v2, v7, v1
	s_wait_dscnt 0x0
	s_barrier_signal -1
	s_barrier_wait -1
	v_add_f32_e32 v1, v1, v2
	ds_bpermute_b32 v2, v8, v1
	s_wait_dscnt 0x0
	v_add_f32_e32 v1, v1, v2
	ds_bpermute_b32 v2, v9, v1
	s_wait_dscnt 0x0
	;; [unrolled: 3-line block ×3, first 2 shown]
	v_add_f32_e32 v1, v1, v2
	ds_bpermute_b32 v2, v11, v1
	s_and_saveexec_b32 s2, s0
	s_cbranch_execz .LBB18_13
; %bb.12:                               ;   in Loop: Header=BB18_3 Depth=1
	s_wait_dscnt 0x0
	v_add_f32_e32 v1, v1, v2
	ds_store_b32 v12, v1
.LBB18_13:                              ;   in Loop: Header=BB18_3 Depth=1
	s_or_b32 exec_lo, exec_lo, s2
	v_mov_b32_e32 v1, 0
	s_wait_dscnt 0x0
	s_barrier_signal -1
	s_barrier_wait -1
	s_and_saveexec_b32 s2, vcc_lo
	s_cbranch_execnz .LBB18_16
; %bb.14:                               ;   in Loop: Header=BB18_3 Depth=1
	s_or_b32 exec_lo, exec_lo, s2
	s_and_saveexec_b32 s2, vcc_lo
	s_cbranch_execnz .LBB18_17
.LBB18_15:                              ;   in Loop: Header=BB18_3 Depth=1
	s_or_b32 exec_lo, exec_lo, s2
	s_and_saveexec_b32 s2, s1
	s_cbranch_execz .LBB18_2
	s_branch .LBB18_18
.LBB18_16:                              ;   in Loop: Header=BB18_3 Depth=1
	ds_load_b32 v1, v6
	s_or_b32 exec_lo, exec_lo, s2
	s_and_saveexec_b32 s2, vcc_lo
	s_cbranch_execz .LBB18_15
.LBB18_17:                              ;   in Loop: Header=BB18_3 Depth=1
	s_wait_dscnt 0x0
	ds_bpermute_b32 v2, v7, v1
	s_wait_dscnt 0x0
	v_add_f32_e32 v1, v1, v2
	ds_bpermute_b32 v2, v8, v1
	s_wait_dscnt 0x0
	v_add_f32_e32 v1, v1, v2
	ds_bpermute_b32 v2, v9, v1
	s_wait_dscnt 0x0
	v_add_f32_e32 v1, v1, v2
	ds_bpermute_b32 v2, v10, v1
	s_wait_dscnt 0x0
	v_add_f32_e32 v1, v1, v2
	ds_bpermute_b32 v2, v11, v1
	s_wait_dscnt 0x0
	v_add_f32_e32 v1, v1, v2
	s_or_b32 exec_lo, exec_lo, s2
	s_and_saveexec_b32 s2, s1
	s_cbranch_execz .LBB18_2
.LBB18_18:                              ;   in Loop: Header=BB18_3 Depth=1
	s_wait_xcnt 0x0
	s_lshl_b64 s[24:25], s[12:13], 2
	s_delay_alu instid0(SALU_CYCLE_1)
	s_add_nc_u64 s[24:25], s[14:15], s[24:25]
	s_wait_dscnt 0x0
	global_store_b32 v13, v1, s[24:25]
	s_branch .LBB18_2
.LBB18_19:
	s_endpgm
	.section	.rodata,"a",@progbits
	.p2align	6, 0x0
	.amdhsa_kernel _ZL26rocblas_dot_kernel_inc1by2ILb1ELi1024ELi32ELb0EfPKffEviT4_llS2_lliPT5_PT3_
		.amdhsa_group_segment_fixed_size 128
		.amdhsa_private_segment_fixed_size 0
		.amdhsa_kernarg_size 80
		.amdhsa_user_sgpr_count 2
		.amdhsa_user_sgpr_dispatch_ptr 0
		.amdhsa_user_sgpr_queue_ptr 0
		.amdhsa_user_sgpr_kernarg_segment_ptr 1
		.amdhsa_user_sgpr_dispatch_id 0
		.amdhsa_user_sgpr_kernarg_preload_length 0
		.amdhsa_user_sgpr_kernarg_preload_offset 0
		.amdhsa_user_sgpr_private_segment_size 0
		.amdhsa_wavefront_size32 1
		.amdhsa_uses_dynamic_stack 0
		.amdhsa_enable_private_segment 0
		.amdhsa_system_sgpr_workgroup_id_x 1
		.amdhsa_system_sgpr_workgroup_id_y 0
		.amdhsa_system_sgpr_workgroup_id_z 1
		.amdhsa_system_sgpr_workgroup_info 0
		.amdhsa_system_vgpr_workitem_id 0
		.amdhsa_next_free_vgpr 18
		.amdhsa_next_free_sgpr 30
		.amdhsa_named_barrier_count 0
		.amdhsa_reserve_vcc 1
		.amdhsa_float_round_mode_32 0
		.amdhsa_float_round_mode_16_64 0
		.amdhsa_float_denorm_mode_32 3
		.amdhsa_float_denorm_mode_16_64 3
		.amdhsa_fp16_overflow 0
		.amdhsa_memory_ordered 1
		.amdhsa_forward_progress 1
		.amdhsa_inst_pref_size 8
		.amdhsa_round_robin_scheduling 0
		.amdhsa_exception_fp_ieee_invalid_op 0
		.amdhsa_exception_fp_denorm_src 0
		.amdhsa_exception_fp_ieee_div_zero 0
		.amdhsa_exception_fp_ieee_overflow 0
		.amdhsa_exception_fp_ieee_underflow 0
		.amdhsa_exception_fp_ieee_inexact 0
		.amdhsa_exception_int_div_zero 0
	.end_amdhsa_kernel
	.section	.text._ZL26rocblas_dot_kernel_inc1by2ILb1ELi1024ELi32ELb0EfPKffEviT4_llS2_lliPT5_PT3_,"axG",@progbits,_ZL26rocblas_dot_kernel_inc1by2ILb1ELi1024ELi32ELb0EfPKffEviT4_llS2_lliPT5_PT3_,comdat
.Lfunc_end18:
	.size	_ZL26rocblas_dot_kernel_inc1by2ILb1ELi1024ELi32ELb0EfPKffEviT4_llS2_lliPT5_PT3_, .Lfunc_end18-_ZL26rocblas_dot_kernel_inc1by2ILb1ELi1024ELi32ELb0EfPKffEviT4_llS2_lliPT5_PT3_
                                        ; -- End function
	.set _ZL26rocblas_dot_kernel_inc1by2ILb1ELi1024ELi32ELb0EfPKffEviT4_llS2_lliPT5_PT3_.num_vgpr, 18
	.set _ZL26rocblas_dot_kernel_inc1by2ILb1ELi1024ELi32ELb0EfPKffEviT4_llS2_lliPT5_PT3_.num_agpr, 0
	.set _ZL26rocblas_dot_kernel_inc1by2ILb1ELi1024ELi32ELb0EfPKffEviT4_llS2_lliPT5_PT3_.numbered_sgpr, 30
	.set _ZL26rocblas_dot_kernel_inc1by2ILb1ELi1024ELi32ELb0EfPKffEviT4_llS2_lliPT5_PT3_.num_named_barrier, 0
	.set _ZL26rocblas_dot_kernel_inc1by2ILb1ELi1024ELi32ELb0EfPKffEviT4_llS2_lliPT5_PT3_.private_seg_size, 0
	.set _ZL26rocblas_dot_kernel_inc1by2ILb1ELi1024ELi32ELb0EfPKffEviT4_llS2_lliPT5_PT3_.uses_vcc, 1
	.set _ZL26rocblas_dot_kernel_inc1by2ILb1ELi1024ELi32ELb0EfPKffEviT4_llS2_lliPT5_PT3_.uses_flat_scratch, 0
	.set _ZL26rocblas_dot_kernel_inc1by2ILb1ELi1024ELi32ELb0EfPKffEviT4_llS2_lliPT5_PT3_.has_dyn_sized_stack, 0
	.set _ZL26rocblas_dot_kernel_inc1by2ILb1ELi1024ELi32ELb0EfPKffEviT4_llS2_lliPT5_PT3_.has_recursion, 0
	.set _ZL26rocblas_dot_kernel_inc1by2ILb1ELi1024ELi32ELb0EfPKffEviT4_llS2_lliPT5_PT3_.has_indirect_call, 0
	.section	.AMDGPU.csdata,"",@progbits
; Kernel info:
; codeLenInByte = 1016
; TotalNumSgprs: 32
; NumVgprs: 18
; ScratchSize: 0
; MemoryBound: 0
; FloatMode: 240
; IeeeMode: 1
; LDSByteSize: 128 bytes/workgroup (compile time only)
; SGPRBlocks: 0
; VGPRBlocks: 1
; NumSGPRsForWavesPerEU: 32
; NumVGPRsForWavesPerEU: 18
; NamedBarCnt: 0
; Occupancy: 16
; WaveLimiterHint : 0
; COMPUTE_PGM_RSRC2:SCRATCH_EN: 0
; COMPUTE_PGM_RSRC2:USER_SGPR: 2
; COMPUTE_PGM_RSRC2:TRAP_HANDLER: 0
; COMPUTE_PGM_RSRC2:TGID_X_EN: 1
; COMPUTE_PGM_RSRC2:TGID_Y_EN: 0
; COMPUTE_PGM_RSRC2:TGID_Z_EN: 1
; COMPUTE_PGM_RSRC2:TIDIG_COMP_CNT: 0
	.section	.text._ZL18rocblas_dot_kernelIiLb1ELi1024ELi32ELb0EfPKffEviT5_lT_lS2_lS3_liPT6_PT4_,"axG",@progbits,_ZL18rocblas_dot_kernelIiLb1ELi1024ELi32ELb0EfPKffEviT5_lT_lS2_lS3_liPT6_PT4_,comdat
	.globl	_ZL18rocblas_dot_kernelIiLb1ELi1024ELi32ELb0EfPKffEviT5_lT_lS2_lS3_liPT6_PT4_ ; -- Begin function _ZL18rocblas_dot_kernelIiLb1ELi1024ELi32ELb0EfPKffEviT5_lT_lS2_lS3_liPT6_PT4_
	.p2align	8
	.type	_ZL18rocblas_dot_kernelIiLb1ELi1024ELi32ELb0EfPKffEviT5_lT_lS2_lS3_liPT6_PT4_,@function
_ZL18rocblas_dot_kernelIiLb1ELi1024ELi32ELb0EfPKffEviT5_lT_lS2_lS3_liPT6_PT4_: ; @_ZL18rocblas_dot_kernelIiLb1ELi1024ELi32ELb0EfPKffEviT5_lT_lS2_lS3_liPT6_PT4_
; %bb.0:
	s_load_b32 s3, s[0:1], 0x48
	s_bfe_u32 s2, ttmp6, 0x40014
	s_lshr_b32 s4, ttmp7, 16
	s_add_co_i32 s2, s2, 1
	s_bfe_u32 s5, ttmp6, 0x40008
	s_mul_i32 s2, s4, s2
	s_getreg_b32 s6, hwreg(HW_REG_IB_STS2, 6, 4)
	s_add_co_i32 s5, s5, s2
	s_cmp_eq_u32 s6, 0
	s_mov_b32 s17, 0
	s_cselect_b32 s16, s4, s5
	s_wait_kmcnt 0x0
	s_cmp_ge_u32 s16, s3
	s_cbranch_scc1 .LBB19_17
; %bb.1:
	v_mbcnt_lo_u32_b32 v3, -1, 0
	s_clause 0x6
	s_load_b32 s24, s[0:1], 0x18
	s_load_b96 s[12:14], s[0:1], 0x30
	s_load_b96 s[8:10], s[0:1], 0x58
	s_load_b128 s[4:7], s[0:1], 0x20
	s_load_b128 s[20:23], s[0:1], 0x8
	s_load_b32 s26, s[0:1], 0x0
	s_load_b64 s[28:29], s[0:1], 0x40
	v_and_b32_e32 v2, 31, v0
	s_wait_xcnt 0x0
	v_cmp_eq_u32_e64 s1, 0, v0
	v_cmp_gt_u32_e64 s0, 24, v3
	v_lshl_or_b32 v6, v3, 2, 64
	v_cmp_gt_u32_e32 vcc_lo, 32, v0
	v_mov_b32_e32 v12, 0
	s_delay_alu instid0(VALU_DEP_4) | instskip(SKIP_1) | instid1(VALU_DEP_2)
	v_cndmask_b32_e64 v4, 0, 8, s0
	v_cmp_gt_u32_e64 s0, 28, v3
	v_add_lshl_u32 v7, v4, v3, 2
	s_delay_alu instid0(VALU_DEP_2)
	v_cndmask_b32_e64 v5, 0, 4, s0
	v_cmp_gt_u32_e64 s0, 30, v3
	v_lshrrev_b32_e32 v4, 3, v0
	s_wait_kmcnt 0x0
	s_ashr_i32 s25, s24, 31
	s_lshl_b32 s10, s10, 10
	s_ashr_i32 s31, s14, 31
	v_cndmask_b32_e64 v9, 0, 2, s0
	v_cmp_ne_u32_e64 s0, 31, v3
	s_mov_b32 s30, s14
	s_lshl_b64 s[14:15], s[22:23], 2
	s_ashr_i32 s11, s10, 31
	v_lshlrev_b32_e32 v1, 2, v2
	v_add_co_ci_u32_e64 v10, null, 0, v3, s0
	v_add_lshl_u32 v8, v5, v3, 2
	v_add_lshl_u32 v9, v9, v3, 2
	v_cmp_eq_u32_e64 s0, 0, v2
	s_delay_alu instid0(VALU_DEP_4)
	v_lshlrev_b32_e32 v10, 2, v10
	v_and_b32_e32 v11, 0x7c, v4
	s_add_nc_u64 s[14:15], s[20:21], s[14:15]
	s_lshl_b64 s[18:19], s[24:25], 2
	s_mul_u64 s[20:21], s[24:25], s[10:11]
	s_lshl_b64 s[22:23], s[12:13], 2
	s_mul_u64 s[24:25], s[30:31], s[10:11]
	s_lshl_b64 s[4:5], s[4:5], 2
	s_lshl_b64 s[12:13], s[20:21], 2
	s_add_nc_u64 s[6:7], s[6:7], s[22:23]
	s_lshl_b64 s[20:21], s[30:31], 2
	s_lshl_b64 s[22:23], s[28:29], 2
	;; [unrolled: 1-line block ×3, first 2 shown]
	s_branch .LBB19_3
.LBB19_2:                               ;   in Loop: Header=BB19_3 Depth=1
	s_wait_xcnt 0x0
	s_or_b32 exec_lo, exec_lo, s2
	s_add_co_i32 s16, s16, 0x10000
	s_delay_alu instid0(SALU_CYCLE_1)
	s_cmp_lt_u32 s16, s3
	s_cbranch_scc0 .LBB19_17
.LBB19_3:                               ; =>This Loop Header: Depth=1
                                        ;     Child Loop BB19_5 Depth 2
	v_mov_b32_e32 v13, 0
	s_mov_b32 s11, exec_lo
	v_cmpx_gt_i32_e64 s26, v0
	s_cbranch_execz .LBB19_7
; %bb.4:                                ;   in Loop: Header=BB19_3 Depth=1
	s_mul_u64 s[28:29], s[4:5], s[16:17]
	s_mul_u64 s[30:31], s[22:23], s[16:17]
	s_add_nc_u64 s[28:29], s[14:15], s[28:29]
	s_add_nc_u64 s[30:31], s[6:7], s[30:31]
	s_wait_dscnt 0x0
	v_mad_nc_u64_u32 v[2:3], s18, v0, s[28:29]
	v_mad_nc_u64_u32 v[4:5], s20, v0, s[30:31]
	v_ashrrev_i32_e32 v13, 31, v0
	s_mov_b32 s27, 0
	s_mov_b32 s28, 0
	s_delay_alu instid0(VALU_DEP_3) | instskip(NEXT) | instid1(VALU_DEP_3)
	v_mad_u32 v3, s19, v0, v3
	v_mad_u32 v5, s21, v0, v5
	s_delay_alu instid0(VALU_DEP_2) | instskip(NEXT) | instid1(VALU_DEP_2)
	v_mad_u32 v3, s18, v13, v3
	v_mad_u32 v5, s20, v13, v5
	v_mov_b32_e32 v13, 0
.LBB19_5:                               ;   Parent Loop BB19_3 Depth=1
                                        ; =>  This Inner Loop Header: Depth=2
	global_load_b32 v14, v[4:5], off
	global_load_b32 v15, v[2:3], off
	v_add_nc_u32_e32 v0, s10, v0
	s_add_co_i32 s29, s28, 1
	s_cmp_gt_u32 s28, 30
	s_wait_xcnt 0x0
	v_add_nc_u64_e32 v[2:3], s[12:13], v[2:3]
	s_cselect_b32 s28, -1, 0
	v_add_nc_u64_e32 v[4:5], s[24:25], v[4:5]
	s_wait_loadcnt 0x0
	v_fmac_f32_e32 v13, v14, v15
	v_cmp_le_i32_e64 s2, s26, v0
	s_or_b32 s2, s28, s2
	s_mov_b32 s28, s29
	s_and_b32 s2, exec_lo, s2
	s_delay_alu instid0(SALU_CYCLE_1) | instskip(NEXT) | instid1(SALU_CYCLE_1)
	s_or_b32 s27, s2, s27
	s_and_not1_b32 exec_lo, exec_lo, s27
	s_cbranch_execnz .LBB19_5
; %bb.6:                                ;   in Loop: Header=BB19_3 Depth=1
	s_or_b32 exec_lo, exec_lo, s27
.LBB19_7:                               ;   in Loop: Header=BB19_3 Depth=1
	s_delay_alu instid0(SALU_CYCLE_1)
	s_or_b32 exec_lo, exec_lo, s11
	s_and_saveexec_b32 s2, vcc_lo
; %bb.8:                                ;   in Loop: Header=BB19_3 Depth=1
	ds_store_b32 v1, v12
; %bb.9:                                ;   in Loop: Header=BB19_3 Depth=1
	s_or_b32 exec_lo, exec_lo, s2
	s_wait_dscnt 0x0
	ds_bpermute_b32 v2, v6, v13
	s_wait_dscnt 0x0
	s_barrier_signal -1
	s_barrier_wait -1
	v_add_f32_e32 v2, v13, v2
	ds_bpermute_b32 v3, v7, v2
	s_wait_dscnt 0x0
	v_add_f32_e32 v2, v2, v3
	ds_bpermute_b32 v3, v8, v2
	s_wait_dscnt 0x0
	;; [unrolled: 3-line block ×3, first 2 shown]
	v_add_f32_e32 v2, v2, v3
	ds_bpermute_b32 v3, v10, v2
	s_and_saveexec_b32 s2, s0
	s_cbranch_execz .LBB19_11
; %bb.10:                               ;   in Loop: Header=BB19_3 Depth=1
	s_wait_dscnt 0x0
	v_add_f32_e32 v2, v2, v3
	ds_store_b32 v11, v2
.LBB19_11:                              ;   in Loop: Header=BB19_3 Depth=1
	s_or_b32 exec_lo, exec_lo, s2
	v_mov_b32_e32 v2, 0
	s_wait_dscnt 0x0
	s_barrier_signal -1
	s_barrier_wait -1
	s_and_saveexec_b32 s2, vcc_lo
	s_cbranch_execnz .LBB19_14
; %bb.12:                               ;   in Loop: Header=BB19_3 Depth=1
	s_or_b32 exec_lo, exec_lo, s2
	s_and_saveexec_b32 s2, vcc_lo
	s_cbranch_execnz .LBB19_15
.LBB19_13:                              ;   in Loop: Header=BB19_3 Depth=1
	s_or_b32 exec_lo, exec_lo, s2
	s_and_saveexec_b32 s2, s1
	s_cbranch_execz .LBB19_2
	s_branch .LBB19_16
.LBB19_14:                              ;   in Loop: Header=BB19_3 Depth=1
	ds_load_b32 v2, v1
	s_or_b32 exec_lo, exec_lo, s2
	s_and_saveexec_b32 s2, vcc_lo
	s_cbranch_execz .LBB19_13
.LBB19_15:                              ;   in Loop: Header=BB19_3 Depth=1
	s_wait_dscnt 0x0
	ds_bpermute_b32 v3, v6, v2
	s_wait_dscnt 0x0
	v_add_f32_e32 v2, v2, v3
	ds_bpermute_b32 v3, v7, v2
	s_wait_dscnt 0x0
	v_add_f32_e32 v2, v2, v3
	;; [unrolled: 3-line block ×5, first 2 shown]
	s_or_b32 exec_lo, exec_lo, s2
	s_and_saveexec_b32 s2, s1
	s_cbranch_execz .LBB19_2
.LBB19_16:                              ;   in Loop: Header=BB19_3 Depth=1
	s_lshl_b64 s[28:29], s[16:17], 2
	s_delay_alu instid0(SALU_CYCLE_1)
	s_add_nc_u64 s[28:29], s[8:9], s[28:29]
	s_wait_dscnt 0x0
	global_store_b32 v12, v2, s[28:29]
	s_branch .LBB19_2
.LBB19_17:
	s_endpgm
	.section	.rodata,"a",@progbits
	.p2align	6, 0x0
	.amdhsa_kernel _ZL18rocblas_dot_kernelIiLb1ELi1024ELi32ELb0EfPKffEviT5_lT_lS2_lS3_liPT6_PT4_
		.amdhsa_group_segment_fixed_size 128
		.amdhsa_private_segment_fixed_size 0
		.amdhsa_kernarg_size 352
		.amdhsa_user_sgpr_count 2
		.amdhsa_user_sgpr_dispatch_ptr 0
		.amdhsa_user_sgpr_queue_ptr 0
		.amdhsa_user_sgpr_kernarg_segment_ptr 1
		.amdhsa_user_sgpr_dispatch_id 0
		.amdhsa_user_sgpr_kernarg_preload_length 0
		.amdhsa_user_sgpr_kernarg_preload_offset 0
		.amdhsa_user_sgpr_private_segment_size 0
		.amdhsa_wavefront_size32 1
		.amdhsa_uses_dynamic_stack 0
		.amdhsa_enable_private_segment 0
		.amdhsa_system_sgpr_workgroup_id_x 1
		.amdhsa_system_sgpr_workgroup_id_y 0
		.amdhsa_system_sgpr_workgroup_id_z 1
		.amdhsa_system_sgpr_workgroup_info 0
		.amdhsa_system_vgpr_workitem_id 0
		.amdhsa_next_free_vgpr 16
		.amdhsa_next_free_sgpr 32
		.amdhsa_named_barrier_count 0
		.amdhsa_reserve_vcc 1
		.amdhsa_float_round_mode_32 0
		.amdhsa_float_round_mode_16_64 0
		.amdhsa_float_denorm_mode_32 3
		.amdhsa_float_denorm_mode_16_64 3
		.amdhsa_fp16_overflow 0
		.amdhsa_memory_ordered 1
		.amdhsa_forward_progress 1
		.amdhsa_inst_pref_size 8
		.amdhsa_round_robin_scheduling 0
		.amdhsa_exception_fp_ieee_invalid_op 0
		.amdhsa_exception_fp_denorm_src 0
		.amdhsa_exception_fp_ieee_div_zero 0
		.amdhsa_exception_fp_ieee_overflow 0
		.amdhsa_exception_fp_ieee_underflow 0
		.amdhsa_exception_fp_ieee_inexact 0
		.amdhsa_exception_int_div_zero 0
	.end_amdhsa_kernel
	.section	.text._ZL18rocblas_dot_kernelIiLb1ELi1024ELi32ELb0EfPKffEviT5_lT_lS2_lS3_liPT6_PT4_,"axG",@progbits,_ZL18rocblas_dot_kernelIiLb1ELi1024ELi32ELb0EfPKffEviT5_lT_lS2_lS3_liPT6_PT4_,comdat
.Lfunc_end19:
	.size	_ZL18rocblas_dot_kernelIiLb1ELi1024ELi32ELb0EfPKffEviT5_lT_lS2_lS3_liPT6_PT4_, .Lfunc_end19-_ZL18rocblas_dot_kernelIiLb1ELi1024ELi32ELb0EfPKffEviT5_lT_lS2_lS3_liPT6_PT4_
                                        ; -- End function
	.set _ZL18rocblas_dot_kernelIiLb1ELi1024ELi32ELb0EfPKffEviT5_lT_lS2_lS3_liPT6_PT4_.num_vgpr, 16
	.set _ZL18rocblas_dot_kernelIiLb1ELi1024ELi32ELb0EfPKffEviT5_lT_lS2_lS3_liPT6_PT4_.num_agpr, 0
	.set _ZL18rocblas_dot_kernelIiLb1ELi1024ELi32ELb0EfPKffEviT5_lT_lS2_lS3_liPT6_PT4_.numbered_sgpr, 32
	.set _ZL18rocblas_dot_kernelIiLb1ELi1024ELi32ELb0EfPKffEviT5_lT_lS2_lS3_liPT6_PT4_.num_named_barrier, 0
	.set _ZL18rocblas_dot_kernelIiLb1ELi1024ELi32ELb0EfPKffEviT5_lT_lS2_lS3_liPT6_PT4_.private_seg_size, 0
	.set _ZL18rocblas_dot_kernelIiLb1ELi1024ELi32ELb0EfPKffEviT5_lT_lS2_lS3_liPT6_PT4_.uses_vcc, 1
	.set _ZL18rocblas_dot_kernelIiLb1ELi1024ELi32ELb0EfPKffEviT5_lT_lS2_lS3_liPT6_PT4_.uses_flat_scratch, 0
	.set _ZL18rocblas_dot_kernelIiLb1ELi1024ELi32ELb0EfPKffEviT5_lT_lS2_lS3_liPT6_PT4_.has_dyn_sized_stack, 0
	.set _ZL18rocblas_dot_kernelIiLb1ELi1024ELi32ELb0EfPKffEviT5_lT_lS2_lS3_liPT6_PT4_.has_recursion, 0
	.set _ZL18rocblas_dot_kernelIiLb1ELi1024ELi32ELb0EfPKffEviT5_lT_lS2_lS3_liPT6_PT4_.has_indirect_call, 0
	.section	.AMDGPU.csdata,"",@progbits
; Kernel info:
; codeLenInByte = 952
; TotalNumSgprs: 34
; NumVgprs: 16
; ScratchSize: 0
; MemoryBound: 0
; FloatMode: 240
; IeeeMode: 1
; LDSByteSize: 128 bytes/workgroup (compile time only)
; SGPRBlocks: 0
; VGPRBlocks: 0
; NumSGPRsForWavesPerEU: 34
; NumVGPRsForWavesPerEU: 16
; NamedBarCnt: 0
; Occupancy: 16
; WaveLimiterHint : 0
; COMPUTE_PGM_RSRC2:SCRATCH_EN: 0
; COMPUTE_PGM_RSRC2:USER_SGPR: 2
; COMPUTE_PGM_RSRC2:TRAP_HANDLER: 0
; COMPUTE_PGM_RSRC2:TGID_X_EN: 1
; COMPUTE_PGM_RSRC2:TGID_Y_EN: 0
; COMPUTE_PGM_RSRC2:TGID_Z_EN: 1
; COMPUTE_PGM_RSRC2:TIDIG_COMP_CNT: 0
	.section	.text._ZL24rocblas_dot_kernel_magsqIiLb1ELi1024ELi32ELb0EfPKffEviT5_lT_liPT6_PT4_,"axG",@progbits,_ZL24rocblas_dot_kernel_magsqIiLb1ELi1024ELi32ELb0EfPKffEviT5_lT_liPT6_PT4_,comdat
	.globl	_ZL24rocblas_dot_kernel_magsqIiLb1ELi1024ELi32ELb0EfPKffEviT5_lT_liPT6_PT4_ ; -- Begin function _ZL24rocblas_dot_kernel_magsqIiLb1ELi1024ELi32ELb0EfPKffEviT5_lT_liPT6_PT4_
	.p2align	8
	.type	_ZL24rocblas_dot_kernel_magsqIiLb1ELi1024ELi32ELb0EfPKffEviT5_lT_liPT6_PT4_,@function
_ZL24rocblas_dot_kernel_magsqIiLb1ELi1024ELi32ELb0EfPKffEviT5_lT_liPT6_PT4_: ; @_ZL24rocblas_dot_kernel_magsqIiLb1ELi1024ELi32ELb0EfPKffEviT5_lT_liPT6_PT4_
; %bb.0:
	s_load_b32 s3, s[0:1], 0x28
	s_bfe_u32 s2, ttmp6, 0x40014
	s_lshr_b32 s4, ttmp7, 16
	s_add_co_i32 s2, s2, 1
	s_bfe_u32 s5, ttmp6, 0x40008
	s_mul_i32 s2, s4, s2
	s_getreg_b32 s6, hwreg(HW_REG_IB_STS2, 6, 4)
	s_add_co_i32 s5, s5, s2
	s_cmp_eq_u32 s6, 0
	s_mov_b32 s9, 0
	s_cselect_b32 s8, s4, s5
	s_wait_kmcnt 0x0
	s_cmp_ge_u32 s8, s3
	s_cbranch_scc1 .LBB20_17
; %bb.1:
	v_mbcnt_lo_u32_b32 v3, -1, 0
	s_clause 0x4
	s_load_b32 s16, s[0:1], 0x18
	s_load_b96 s[4:6], s[0:1], 0x38
	s_load_b128 s[12:15], s[0:1], 0x8
	s_load_b64 s[20:21], s[0:1], 0x20
	s_load_b32 s18, s[0:1], 0x0
	v_dual_lshrrev_b32 v9, 3, v0 :: v_dual_bitop2_b32 v2, 31, v0 bitop3:0x40
	s_wait_xcnt 0x0
	v_cmp_gt_u32_e64 s0, 24, v3
	v_lshl_or_b32 v4, v3, 2, 64
	v_cmp_eq_u32_e64 s1, 0, v0
	v_mov_b32_e32 v10, 0
	v_and_b32_e32 v9, 0x7c, v9
	v_cndmask_b32_e64 v5, 0, 8, s0
	v_cmp_gt_u32_e64 s0, 28, v3
	v_cmp_gt_u32_e32 vcc_lo, 32, v0
	s_delay_alu instid0(VALU_DEP_3) | instskip(NEXT) | instid1(VALU_DEP_3)
	v_add_lshl_u32 v5, v5, v3, 2
	v_cndmask_b32_e64 v6, 0, 4, s0
	v_cmp_gt_u32_e64 s0, 30, v3
	s_wait_kmcnt 0x0
	s_lshl_b64 s[10:11], s[14:15], 2
	s_lshl_b32 s6, s6, 10
	v_cndmask_b32_e64 v7, 0, 2, s0
	v_cmp_ne_u32_e64 s0, 31, v3
	s_ashr_i32 s17, s16, 31
	s_ashr_i32 s7, s6, 31
	v_add_lshl_u32 v6, v6, v3, 2
	v_add_lshl_u32 v7, v7, v3, 2
	v_add_co_ci_u32_e64 v8, null, 0, v3, s0
	v_lshlrev_b32_e32 v1, 2, v2
	v_cmp_eq_u32_e64 s0, 0, v2
	s_add_nc_u64 s[10:11], s[12:13], s[10:11]
	v_lshlrev_b32_e32 v8, 2, v8
	s_lshl_b64 s[12:13], s[16:17], 2
	s_mul_u64 s[16:17], s[16:17], s[6:7]
	s_lshl_b64 s[14:15], s[20:21], 2
	s_lshl_b64 s[16:17], s[16:17], 2
	s_branch .LBB20_3
.LBB20_2:                               ;   in Loop: Header=BB20_3 Depth=1
	s_wait_xcnt 0x0
	s_or_b32 exec_lo, exec_lo, s2
	s_add_co_i32 s8, s8, 0x10000
	s_delay_alu instid0(SALU_CYCLE_1)
	s_cmp_lt_u32 s8, s3
	s_cbranch_scc0 .LBB20_17
.LBB20_3:                               ; =>This Loop Header: Depth=1
                                        ;     Child Loop BB20_5 Depth 2
	v_mov_b32_e32 v11, 0
	s_mov_b32 s7, exec_lo
	v_cmpx_gt_i32_e64 s18, v0
	s_cbranch_execz .LBB20_7
; %bb.4:                                ;   in Loop: Header=BB20_3 Depth=1
	s_mul_u64 s[20:21], s[14:15], s[8:9]
	v_ashrrev_i32_e32 v11, 31, v0
	s_add_nc_u64 s[20:21], s[10:11], s[20:21]
	s_mov_b32 s19, 0
	s_wait_dscnt 0x0
	v_mad_nc_u64_u32 v[2:3], s12, v0, s[20:21]
	s_mov_b32 s20, 0
	s_delay_alu instid0(VALU_DEP_1) | instskip(NEXT) | instid1(VALU_DEP_1)
	v_mad_u32 v3, s13, v0, v3
	v_mad_u32 v3, s12, v11, v3
	v_mov_b32_e32 v11, 0
.LBB20_5:                               ;   Parent Loop BB20_3 Depth=1
                                        ; =>  This Inner Loop Header: Depth=2
	global_load_b32 v12, v[2:3], off
	v_add_nc_u32_e32 v0, s6, v0
	s_add_co_i32 s21, s20, 1
	s_cmp_gt_u32 s20, 30
	s_wait_xcnt 0x0
	v_add_nc_u64_e32 v[2:3], s[16:17], v[2:3]
	s_cselect_b32 s20, -1, 0
	v_cmp_le_i32_e64 s2, s18, v0
	s_or_b32 s2, s20, s2
	s_mov_b32 s20, s21
	s_and_b32 s2, exec_lo, s2
	s_delay_alu instid0(SALU_CYCLE_1)
	s_or_b32 s19, s2, s19
	s_wait_loadcnt 0x0
	v_fmac_f32_e32 v11, v12, v12
	s_and_not1_b32 exec_lo, exec_lo, s19
	s_cbranch_execnz .LBB20_5
; %bb.6:                                ;   in Loop: Header=BB20_3 Depth=1
	s_or_b32 exec_lo, exec_lo, s19
.LBB20_7:                               ;   in Loop: Header=BB20_3 Depth=1
	s_delay_alu instid0(SALU_CYCLE_1)
	s_or_b32 exec_lo, exec_lo, s7
	s_and_saveexec_b32 s2, vcc_lo
; %bb.8:                                ;   in Loop: Header=BB20_3 Depth=1
	ds_store_b32 v1, v10
; %bb.9:                                ;   in Loop: Header=BB20_3 Depth=1
	s_or_b32 exec_lo, exec_lo, s2
	s_wait_dscnt 0x0
	ds_bpermute_b32 v2, v4, v11
	s_wait_dscnt 0x0
	s_barrier_signal -1
	s_barrier_wait -1
	v_add_f32_e32 v2, v11, v2
	ds_bpermute_b32 v3, v5, v2
	s_wait_dscnt 0x0
	v_add_f32_e32 v2, v2, v3
	ds_bpermute_b32 v3, v6, v2
	s_wait_dscnt 0x0
	;; [unrolled: 3-line block ×3, first 2 shown]
	v_add_f32_e32 v2, v2, v3
	ds_bpermute_b32 v3, v8, v2
	s_and_saveexec_b32 s2, s0
	s_cbranch_execz .LBB20_11
; %bb.10:                               ;   in Loop: Header=BB20_3 Depth=1
	s_wait_dscnt 0x0
	v_add_f32_e32 v2, v2, v3
	ds_store_b32 v9, v2
.LBB20_11:                              ;   in Loop: Header=BB20_3 Depth=1
	s_or_b32 exec_lo, exec_lo, s2
	v_mov_b32_e32 v2, 0
	s_wait_dscnt 0x0
	s_barrier_signal -1
	s_barrier_wait -1
	s_and_saveexec_b32 s2, vcc_lo
	s_cbranch_execnz .LBB20_14
; %bb.12:                               ;   in Loop: Header=BB20_3 Depth=1
	s_or_b32 exec_lo, exec_lo, s2
	s_and_saveexec_b32 s2, vcc_lo
	s_cbranch_execnz .LBB20_15
.LBB20_13:                              ;   in Loop: Header=BB20_3 Depth=1
	s_or_b32 exec_lo, exec_lo, s2
	s_and_saveexec_b32 s2, s1
	s_cbranch_execz .LBB20_2
	s_branch .LBB20_16
.LBB20_14:                              ;   in Loop: Header=BB20_3 Depth=1
	ds_load_b32 v2, v1
	s_or_b32 exec_lo, exec_lo, s2
	s_and_saveexec_b32 s2, vcc_lo
	s_cbranch_execz .LBB20_13
.LBB20_15:                              ;   in Loop: Header=BB20_3 Depth=1
	s_wait_dscnt 0x0
	ds_bpermute_b32 v3, v4, v2
	s_wait_dscnt 0x0
	v_add_f32_e32 v2, v2, v3
	ds_bpermute_b32 v3, v5, v2
	s_wait_dscnt 0x0
	v_add_f32_e32 v2, v2, v3
	;; [unrolled: 3-line block ×5, first 2 shown]
	s_or_b32 exec_lo, exec_lo, s2
	s_and_saveexec_b32 s2, s1
	s_cbranch_execz .LBB20_2
.LBB20_16:                              ;   in Loop: Header=BB20_3 Depth=1
	s_lshl_b64 s[20:21], s[8:9], 2
	s_delay_alu instid0(SALU_CYCLE_1)
	s_add_nc_u64 s[20:21], s[4:5], s[20:21]
	s_wait_dscnt 0x0
	global_store_b32 v10, v2, s[20:21]
	s_branch .LBB20_2
.LBB20_17:
	s_endpgm
	.section	.rodata,"a",@progbits
	.p2align	6, 0x0
	.amdhsa_kernel _ZL24rocblas_dot_kernel_magsqIiLb1ELi1024ELi32ELb0EfPKffEviT5_lT_liPT6_PT4_
		.amdhsa_group_segment_fixed_size 128
		.amdhsa_private_segment_fixed_size 0
		.amdhsa_kernarg_size 320
		.amdhsa_user_sgpr_count 2
		.amdhsa_user_sgpr_dispatch_ptr 0
		.amdhsa_user_sgpr_queue_ptr 0
		.amdhsa_user_sgpr_kernarg_segment_ptr 1
		.amdhsa_user_sgpr_dispatch_id 0
		.amdhsa_user_sgpr_kernarg_preload_length 0
		.amdhsa_user_sgpr_kernarg_preload_offset 0
		.amdhsa_user_sgpr_private_segment_size 0
		.amdhsa_wavefront_size32 1
		.amdhsa_uses_dynamic_stack 0
		.amdhsa_enable_private_segment 0
		.amdhsa_system_sgpr_workgroup_id_x 1
		.amdhsa_system_sgpr_workgroup_id_y 0
		.amdhsa_system_sgpr_workgroup_id_z 1
		.amdhsa_system_sgpr_workgroup_info 0
		.amdhsa_system_vgpr_workitem_id 0
		.amdhsa_next_free_vgpr 13
		.amdhsa_next_free_sgpr 22
		.amdhsa_named_barrier_count 0
		.amdhsa_reserve_vcc 1
		.amdhsa_float_round_mode_32 0
		.amdhsa_float_round_mode_16_64 0
		.amdhsa_float_denorm_mode_32 3
		.amdhsa_float_denorm_mode_16_64 3
		.amdhsa_fp16_overflow 0
		.amdhsa_memory_ordered 1
		.amdhsa_forward_progress 1
		.amdhsa_inst_pref_size 7
		.amdhsa_round_robin_scheduling 0
		.amdhsa_exception_fp_ieee_invalid_op 0
		.amdhsa_exception_fp_denorm_src 0
		.amdhsa_exception_fp_ieee_div_zero 0
		.amdhsa_exception_fp_ieee_overflow 0
		.amdhsa_exception_fp_ieee_underflow 0
		.amdhsa_exception_fp_ieee_inexact 0
		.amdhsa_exception_int_div_zero 0
	.end_amdhsa_kernel
	.section	.text._ZL24rocblas_dot_kernel_magsqIiLb1ELi1024ELi32ELb0EfPKffEviT5_lT_liPT6_PT4_,"axG",@progbits,_ZL24rocblas_dot_kernel_magsqIiLb1ELi1024ELi32ELb0EfPKffEviT5_lT_liPT6_PT4_,comdat
.Lfunc_end20:
	.size	_ZL24rocblas_dot_kernel_magsqIiLb1ELi1024ELi32ELb0EfPKffEviT5_lT_liPT6_PT4_, .Lfunc_end20-_ZL24rocblas_dot_kernel_magsqIiLb1ELi1024ELi32ELb0EfPKffEviT5_lT_liPT6_PT4_
                                        ; -- End function
	.set _ZL24rocblas_dot_kernel_magsqIiLb1ELi1024ELi32ELb0EfPKffEviT5_lT_liPT6_PT4_.num_vgpr, 13
	.set _ZL24rocblas_dot_kernel_magsqIiLb1ELi1024ELi32ELb0EfPKffEviT5_lT_liPT6_PT4_.num_agpr, 0
	.set _ZL24rocblas_dot_kernel_magsqIiLb1ELi1024ELi32ELb0EfPKffEviT5_lT_liPT6_PT4_.numbered_sgpr, 22
	.set _ZL24rocblas_dot_kernel_magsqIiLb1ELi1024ELi32ELb0EfPKffEviT5_lT_liPT6_PT4_.num_named_barrier, 0
	.set _ZL24rocblas_dot_kernel_magsqIiLb1ELi1024ELi32ELb0EfPKffEviT5_lT_liPT6_PT4_.private_seg_size, 0
	.set _ZL24rocblas_dot_kernel_magsqIiLb1ELi1024ELi32ELb0EfPKffEviT5_lT_liPT6_PT4_.uses_vcc, 1
	.set _ZL24rocblas_dot_kernel_magsqIiLb1ELi1024ELi32ELb0EfPKffEviT5_lT_liPT6_PT4_.uses_flat_scratch, 0
	.set _ZL24rocblas_dot_kernel_magsqIiLb1ELi1024ELi32ELb0EfPKffEviT5_lT_liPT6_PT4_.has_dyn_sized_stack, 0
	.set _ZL24rocblas_dot_kernel_magsqIiLb1ELi1024ELi32ELb0EfPKffEviT5_lT_liPT6_PT4_.has_recursion, 0
	.set _ZL24rocblas_dot_kernel_magsqIiLb1ELi1024ELi32ELb0EfPKffEviT5_lT_liPT6_PT4_.has_indirect_call, 0
	.section	.AMDGPU.csdata,"",@progbits
; Kernel info:
; codeLenInByte = 848
; TotalNumSgprs: 24
; NumVgprs: 13
; ScratchSize: 0
; MemoryBound: 0
; FloatMode: 240
; IeeeMode: 1
; LDSByteSize: 128 bytes/workgroup (compile time only)
; SGPRBlocks: 0
; VGPRBlocks: 0
; NumSGPRsForWavesPerEU: 24
; NumVGPRsForWavesPerEU: 13
; NamedBarCnt: 0
; Occupancy: 16
; WaveLimiterHint : 0
; COMPUTE_PGM_RSRC2:SCRATCH_EN: 0
; COMPUTE_PGM_RSRC2:USER_SGPR: 2
; COMPUTE_PGM_RSRC2:TRAP_HANDLER: 0
; COMPUTE_PGM_RSRC2:TGID_X_EN: 1
; COMPUTE_PGM_RSRC2:TGID_Y_EN: 0
; COMPUTE_PGM_RSRC2:TGID_Z_EN: 1
; COMPUTE_PGM_RSRC2:TIDIG_COMP_CNT: 0
	.section	.text._ZL23rocblas_dot_kernel_inc1ILb0ELi512ELi4ELb0EfPKffEviT4_llS2_lliPT5_PT3_,"axG",@progbits,_ZL23rocblas_dot_kernel_inc1ILb0ELi512ELi4ELb0EfPKffEviT4_llS2_lliPT5_PT3_,comdat
	.globl	_ZL23rocblas_dot_kernel_inc1ILb0ELi512ELi4ELb0EfPKffEviT4_llS2_lliPT5_PT3_ ; -- Begin function _ZL23rocblas_dot_kernel_inc1ILb0ELi512ELi4ELb0EfPKffEviT4_llS2_lliPT5_PT3_
	.p2align	8
	.type	_ZL23rocblas_dot_kernel_inc1ILb0ELi512ELi4ELb0EfPKffEviT4_llS2_lliPT5_PT3_,@function
_ZL23rocblas_dot_kernel_inc1ILb0ELi512ELi4ELb0EfPKffEviT4_llS2_lliPT5_PT3_: ; @_ZL23rocblas_dot_kernel_inc1ILb0ELi512ELi4ELb0EfPKffEviT4_llS2_lliPT5_PT3_
; %bb.0:
	s_load_b32 s28, s[0:1], 0x38
	s_bfe_u32 s2, ttmp6, 0x40014
	s_lshr_b32 s3, ttmp7, 16
	s_add_co_i32 s2, s2, 1
	s_bfe_u32 s5, ttmp6, 0x40008
	s_mul_i32 s4, s3, s2
	s_getreg_b32 s2, hwreg(HW_REG_IB_STS2, 6, 4)
	s_add_co_i32 s5, s5, s4
	s_cmp_eq_u32 s2, 0
	s_mov_b32 s17, 0
	s_cselect_b32 s16, s3, s5
	s_wait_kmcnt 0x0
	s_cmp_ge_u32 s16, s28
	s_cbranch_scc1 .LBB21_20
; %bb.1:
	v_mbcnt_lo_u32_b32 v3, -1, 0
	s_clause 0x6
	s_load_b32 s18, s[0:1], 0x50
	s_load_b64 s[22:23], s[0:1], 0x8
	s_load_b32 s29, s[0:1], 0x0
	s_load_b64 s[24:25], s[0:1], 0x20
	s_load_b128 s[8:11], s[0:1], 0x10
	s_load_b128 s[4:7], s[0:1], 0x40
	;; [unrolled: 1-line block ×3, first 2 shown]
	s_wait_xcnt 0x0
	s_bfe_u32 s0, ttmp6, 0x4000c
	s_and_b32 s1, ttmp6, 15
	s_add_co_i32 s3, s0, 1
	v_cmp_gt_u32_e32 vcc_lo, 24, v3
	s_mul_i32 s3, ttmp9, s3
	v_dual_lshrrev_b32 v10, 3, v0 :: v_dual_bitop2_b32 v1, 31, v0 bitop3:0x40
	s_add_co_i32 s1, s1, s3
	v_cndmask_b32_e64 v6, 0, 8, vcc_lo
	v_cmp_gt_u32_e32 vcc_lo, 28, v3
	s_cmp_eq_u32 s2, 0
	s_mov_b32 s27, s17
	s_cselect_b32 s26, ttmp9, s1
	s_wait_kmcnt 0x0
	s_cmp_lg_u32 s18, 1
	v_cndmask_b32_e64 v7, 0, 4, vcc_lo
	v_cmp_gt_u32_e32 vcc_lo, 30, v3
	s_cselect_b32 s30, -1, 0
	s_lshl_b32 s20, s18, 9
	v_cmp_gt_u32_e64 s0, 32, v0
	s_lshl_b64 s[12:13], s[12:13], 2
	v_cndmask_b32_e64 v8, 0, 2, vcc_lo
	v_cmp_ne_u32_e32 vcc_lo, 31, v3
	v_dual_lshlrev_b32 v4, 2, v1 :: v_dual_bitop2_b32 v10, 60, v10 bitop3:0x40
	v_lshl_or_b32 v2, s26, 9, v0
	v_lshl_or_b32 v5, v3, 2, 64
	v_add_co_ci_u32_e64 v9, null, 0, v3, vcc_lo
	v_add_lshl_u32 v6, v6, v3, 2
	v_add_lshl_u32 v7, v7, v3, 2
	;; [unrolled: 1-line block ×3, first 2 shown]
	s_delay_alu instid0(VALU_DEP_4)
	v_dual_lshlrev_b32 v9, 2, v9 :: v_dual_mov_b32 v11, 0
	v_cmp_eq_u32_e64 s1, 0, v1
	v_cmp_gt_u32_e64 s2, 16, v0
	v_cmp_eq_u32_e64 s3, 0, v0
	s_lshl_b64 s[26:27], s[26:27], 2
	s_add_nc_u64 s[12:13], s[24:25], s[12:13]
	s_ashr_i32 s21, s20, 31
	s_lshl_b64 s[24:25], s[8:9], 2
	s_mov_b32 s19, s17
	s_add_nc_u64 s[4:5], s[4:5], s[26:27]
	s_lshl_b64 s[14:15], s[14:15], 2
	s_lshl_b64 s[8:9], s[20:21], 2
	s_add_nc_u64 s[22:23], s[22:23], s[24:25]
	s_lshl_b64 s[10:11], s[10:11], 2
	s_branch .LBB21_3
.LBB21_2:                               ;   in Loop: Header=BB21_3 Depth=1
	s_wait_xcnt 0x0
	s_or_b32 exec_lo, exec_lo, s21
	s_add_co_i32 s16, s16, 0x10000
	s_delay_alu instid0(SALU_CYCLE_1)
	s_cmp_lt_u32 s16, s28
	s_cbranch_scc0 .LBB21_20
.LBB21_3:                               ; =>This Loop Header: Depth=1
                                        ;     Child Loop BB21_5 Depth 2
	v_mov_b32_e32 v3, 0
	s_mov_b32 s21, exec_lo
	v_cmpx_gt_i32_e64 s29, v2
	s_cbranch_execz .LBB21_7
; %bb.4:                                ;   in Loop: Header=BB21_3 Depth=1
	v_ashrrev_i32_e32 v3, 31, v2
	s_mul_u64 s[24:25], s[14:15], s[16:17]
	s_mul_u64 s[26:27], s[10:11], s[16:17]
	s_add_nc_u64 s[24:25], s[12:13], s[24:25]
	s_add_nc_u64 s[26:27], s[22:23], s[26:27]
	s_wait_dscnt 0x0
	v_lshlrev_b64_e32 v[0:1], 2, v[2:3]
	v_mov_b32_e32 v3, 0
	s_mov_b32 s31, 0
	s_mov_b32 s33, 0
.LBB21_5:                               ;   Parent Loop BB21_3 Depth=1
                                        ; =>  This Inner Loop Header: Depth=2
	s_delay_alu instid0(VALU_DEP_2)
	v_add_nc_u64_e32 v[12:13], s[24:25], v[0:1]
	v_add_nc_u64_e32 v[14:15], s[26:27], v[0:1]
	s_add_co_i32 s34, s33, 1
	s_cmp_gt_u32 s33, 2
	v_add_nc_u64_e32 v[0:1], s[8:9], v[0:1]
	s_cselect_b32 s33, -1, 0
	global_load_b32 v16, v[12:13], off
	global_load_b32 v17, v[14:15], off
	s_wait_loadcnt 0x0
	v_dual_fmac_f32 v3, v16, v17 :: v_dual_add_nc_u32 v2, s20, v2
	s_delay_alu instid0(VALU_DEP_1) | instskip(SKIP_1) | instid1(SALU_CYCLE_1)
	v_cmp_le_i32_e32 vcc_lo, s29, v2
	s_or_b32 s33, s33, vcc_lo
	s_and_b32 s33, exec_lo, s33
	s_delay_alu instid0(SALU_CYCLE_1)
	s_or_b32 s31, s33, s31
	s_mov_b32 s33, s34
	s_wait_xcnt 0x0
	s_and_not1_b32 exec_lo, exec_lo, s31
	s_cbranch_execnz .LBB21_5
; %bb.6:                                ;   in Loop: Header=BB21_3 Depth=1
	s_or_b32 exec_lo, exec_lo, s31
.LBB21_7:                               ;   in Loop: Header=BB21_3 Depth=1
	s_delay_alu instid0(SALU_CYCLE_1)
	s_or_b32 exec_lo, exec_lo, s21
	s_and_saveexec_b32 s21, s0
; %bb.8:                                ;   in Loop: Header=BB21_3 Depth=1
	ds_store_b32 v4, v11
; %bb.9:                                ;   in Loop: Header=BB21_3 Depth=1
	s_or_b32 exec_lo, exec_lo, s21
	s_wait_dscnt 0x0
	ds_bpermute_b32 v0, v5, v3
	s_wait_dscnt 0x0
	s_barrier_signal -1
	s_barrier_wait -1
	v_add_f32_e32 v0, v3, v0
	ds_bpermute_b32 v1, v6, v0
	s_wait_dscnt 0x0
	v_add_f32_e32 v0, v0, v1
	ds_bpermute_b32 v1, v7, v0
	s_wait_dscnt 0x0
	;; [unrolled: 3-line block ×3, first 2 shown]
	v_add_f32_e32 v0, v0, v1
	ds_bpermute_b32 v1, v9, v0
	s_and_saveexec_b32 s21, s1
	s_cbranch_execz .LBB21_11
; %bb.10:                               ;   in Loop: Header=BB21_3 Depth=1
	s_wait_dscnt 0x0
	v_add_f32_e32 v0, v0, v1
	ds_store_b32 v10, v0
.LBB21_11:                              ;   in Loop: Header=BB21_3 Depth=1
	s_or_b32 exec_lo, exec_lo, s21
	v_mov_b32_e32 v0, 0
	s_wait_dscnt 0x0
	s_barrier_signal -1
	s_barrier_wait -1
	s_and_saveexec_b32 s21, s2
	s_cbranch_execnz .LBB21_14
; %bb.12:                               ;   in Loop: Header=BB21_3 Depth=1
	s_or_b32 exec_lo, exec_lo, s21
	s_and_saveexec_b32 s21, s0
	s_cbranch_execnz .LBB21_15
.LBB21_13:                              ;   in Loop: Header=BB21_3 Depth=1
	s_or_b32 exec_lo, exec_lo, s21
	s_and_saveexec_b32 s21, s3
	s_cbranch_execz .LBB21_2
	s_branch .LBB21_16
.LBB21_14:                              ;   in Loop: Header=BB21_3 Depth=1
	ds_load_b32 v0, v4
	s_or_b32 exec_lo, exec_lo, s21
	s_and_saveexec_b32 s21, s0
	s_cbranch_execz .LBB21_13
.LBB21_15:                              ;   in Loop: Header=BB21_3 Depth=1
	s_wait_dscnt 0x0
	ds_bpermute_b32 v1, v6, v0
	s_wait_dscnt 0x0
	v_add_f32_e32 v0, v0, v1
	ds_bpermute_b32 v1, v7, v0
	s_wait_dscnt 0x0
	v_add_f32_e32 v0, v0, v1
	;; [unrolled: 3-line block ×4, first 2 shown]
	s_or_b32 exec_lo, exec_lo, s21
	s_and_saveexec_b32 s21, s3
	s_cbranch_execz .LBB21_2
.LBB21_16:                              ;   in Loop: Header=BB21_3 Depth=1
	s_and_b32 vcc_lo, exec_lo, s30
	s_mov_b32 s24, -1
	s_cbranch_vccz .LBB21_18
; %bb.17:                               ;   in Loop: Header=BB21_3 Depth=1
	s_mul_u64 s[24:25], s[18:19], s[16:17]
	s_delay_alu instid0(SALU_CYCLE_1) | instskip(NEXT) | instid1(SALU_CYCLE_1)
	s_lshl_b64 s[24:25], s[24:25], 2
	s_add_nc_u64 s[26:27], s[4:5], s[24:25]
	s_mov_b32 s24, 0
	s_wait_dscnt 0x0
	global_store_b32 v11, v0, s[26:27]
.LBB21_18:                              ;   in Loop: Header=BB21_3 Depth=1
	s_and_not1_b32 vcc_lo, exec_lo, s24
	s_cbranch_vccnz .LBB21_2
; %bb.19:                               ;   in Loop: Header=BB21_3 Depth=1
	s_lshl_b64 s[24:25], s[16:17], 2
	s_delay_alu instid0(SALU_CYCLE_1)
	s_add_nc_u64 s[24:25], s[6:7], s[24:25]
	s_wait_dscnt 0x0
	global_store_b32 v11, v0, s[24:25]
	s_branch .LBB21_2
.LBB21_20:
	s_endpgm
	.section	.rodata,"a",@progbits
	.p2align	6, 0x0
	.amdhsa_kernel _ZL23rocblas_dot_kernel_inc1ILb0ELi512ELi4ELb0EfPKffEviT4_llS2_lliPT5_PT3_
		.amdhsa_group_segment_fixed_size 128
		.amdhsa_private_segment_fixed_size 0
		.amdhsa_kernarg_size 336
		.amdhsa_user_sgpr_count 2
		.amdhsa_user_sgpr_dispatch_ptr 0
		.amdhsa_user_sgpr_queue_ptr 0
		.amdhsa_user_sgpr_kernarg_segment_ptr 1
		.amdhsa_user_sgpr_dispatch_id 0
		.amdhsa_user_sgpr_kernarg_preload_length 0
		.amdhsa_user_sgpr_kernarg_preload_offset 0
		.amdhsa_user_sgpr_private_segment_size 0
		.amdhsa_wavefront_size32 1
		.amdhsa_uses_dynamic_stack 0
		.amdhsa_enable_private_segment 0
		.amdhsa_system_sgpr_workgroup_id_x 1
		.amdhsa_system_sgpr_workgroup_id_y 0
		.amdhsa_system_sgpr_workgroup_id_z 1
		.amdhsa_system_sgpr_workgroup_info 0
		.amdhsa_system_vgpr_workitem_id 0
		.amdhsa_next_free_vgpr 18
		.amdhsa_next_free_sgpr 35
		.amdhsa_named_barrier_count 0
		.amdhsa_reserve_vcc 1
		.amdhsa_float_round_mode_32 0
		.amdhsa_float_round_mode_16_64 0
		.amdhsa_float_denorm_mode_32 3
		.amdhsa_float_denorm_mode_16_64 3
		.amdhsa_fp16_overflow 0
		.amdhsa_memory_ordered 1
		.amdhsa_forward_progress 1
		.amdhsa_inst_pref_size 8
		.amdhsa_round_robin_scheduling 0
		.amdhsa_exception_fp_ieee_invalid_op 0
		.amdhsa_exception_fp_denorm_src 0
		.amdhsa_exception_fp_ieee_div_zero 0
		.amdhsa_exception_fp_ieee_overflow 0
		.amdhsa_exception_fp_ieee_underflow 0
		.amdhsa_exception_fp_ieee_inexact 0
		.amdhsa_exception_int_div_zero 0
	.end_amdhsa_kernel
	.section	.text._ZL23rocblas_dot_kernel_inc1ILb0ELi512ELi4ELb0EfPKffEviT4_llS2_lliPT5_PT3_,"axG",@progbits,_ZL23rocblas_dot_kernel_inc1ILb0ELi512ELi4ELb0EfPKffEviT4_llS2_lliPT5_PT3_,comdat
.Lfunc_end21:
	.size	_ZL23rocblas_dot_kernel_inc1ILb0ELi512ELi4ELb0EfPKffEviT4_llS2_lliPT5_PT3_, .Lfunc_end21-_ZL23rocblas_dot_kernel_inc1ILb0ELi512ELi4ELb0EfPKffEviT4_llS2_lliPT5_PT3_
                                        ; -- End function
	.set _ZL23rocblas_dot_kernel_inc1ILb0ELi512ELi4ELb0EfPKffEviT4_llS2_lliPT5_PT3_.num_vgpr, 18
	.set _ZL23rocblas_dot_kernel_inc1ILb0ELi512ELi4ELb0EfPKffEviT4_llS2_lliPT5_PT3_.num_agpr, 0
	.set _ZL23rocblas_dot_kernel_inc1ILb0ELi512ELi4ELb0EfPKffEviT4_llS2_lliPT5_PT3_.numbered_sgpr, 35
	.set _ZL23rocblas_dot_kernel_inc1ILb0ELi512ELi4ELb0EfPKffEviT4_llS2_lliPT5_PT3_.num_named_barrier, 0
	.set _ZL23rocblas_dot_kernel_inc1ILb0ELi512ELi4ELb0EfPKffEviT4_llS2_lliPT5_PT3_.private_seg_size, 0
	.set _ZL23rocblas_dot_kernel_inc1ILb0ELi512ELi4ELb0EfPKffEviT4_llS2_lliPT5_PT3_.uses_vcc, 1
	.set _ZL23rocblas_dot_kernel_inc1ILb0ELi512ELi4ELb0EfPKffEviT4_llS2_lliPT5_PT3_.uses_flat_scratch, 0
	.set _ZL23rocblas_dot_kernel_inc1ILb0ELi512ELi4ELb0EfPKffEviT4_llS2_lliPT5_PT3_.has_dyn_sized_stack, 0
	.set _ZL23rocblas_dot_kernel_inc1ILb0ELi512ELi4ELb0EfPKffEviT4_llS2_lliPT5_PT3_.has_recursion, 0
	.set _ZL23rocblas_dot_kernel_inc1ILb0ELi512ELi4ELb0EfPKffEviT4_llS2_lliPT5_PT3_.has_indirect_call, 0
	.section	.AMDGPU.csdata,"",@progbits
; Kernel info:
; codeLenInByte = 976
; TotalNumSgprs: 37
; NumVgprs: 18
; ScratchSize: 0
; MemoryBound: 0
; FloatMode: 240
; IeeeMode: 1
; LDSByteSize: 128 bytes/workgroup (compile time only)
; SGPRBlocks: 0
; VGPRBlocks: 1
; NumSGPRsForWavesPerEU: 37
; NumVGPRsForWavesPerEU: 18
; NamedBarCnt: 0
; Occupancy: 16
; WaveLimiterHint : 0
; COMPUTE_PGM_RSRC2:SCRATCH_EN: 0
; COMPUTE_PGM_RSRC2:USER_SGPR: 2
; COMPUTE_PGM_RSRC2:TRAP_HANDLER: 0
; COMPUTE_PGM_RSRC2:TGID_X_EN: 1
; COMPUTE_PGM_RSRC2:TGID_Y_EN: 0
; COMPUTE_PGM_RSRC2:TGID_Z_EN: 1
; COMPUTE_PGM_RSRC2:TIDIG_COMP_CNT: 0
	.section	.text._ZL18rocblas_dot_kernelIiLb0ELi512ELi4ELb0EfPKffEviT5_lT_lS2_lS3_liPT6_PT4_,"axG",@progbits,_ZL18rocblas_dot_kernelIiLb0ELi512ELi4ELb0EfPKffEviT5_lT_lS2_lS3_liPT6_PT4_,comdat
	.globl	_ZL18rocblas_dot_kernelIiLb0ELi512ELi4ELb0EfPKffEviT5_lT_lS2_lS3_liPT6_PT4_ ; -- Begin function _ZL18rocblas_dot_kernelIiLb0ELi512ELi4ELb0EfPKffEviT5_lT_lS2_lS3_liPT6_PT4_
	.p2align	8
	.type	_ZL18rocblas_dot_kernelIiLb0ELi512ELi4ELb0EfPKffEviT5_lT_lS2_lS3_liPT6_PT4_,@function
_ZL18rocblas_dot_kernelIiLb0ELi512ELi4ELb0EfPKffEviT5_lT_lS2_lS3_liPT6_PT4_: ; @_ZL18rocblas_dot_kernelIiLb0ELi512ELi4ELb0EfPKffEviT5_lT_lS2_lS3_liPT6_PT4_
; %bb.0:
	s_load_b32 s30, s[0:1], 0x48
	s_bfe_u32 s2, ttmp6, 0x40014
	s_lshr_b32 s3, ttmp7, 16
	s_add_co_i32 s2, s2, 1
	s_bfe_u32 s5, ttmp6, 0x40008
	s_mul_i32 s4, s3, s2
	s_getreg_b32 s2, hwreg(HW_REG_IB_STS2, 6, 4)
	s_add_co_i32 s5, s5, s4
	s_cmp_eq_u32 s2, 0
	s_mov_b32 s21, 0
	s_cselect_b32 s20, s3, s5
	s_wait_kmcnt 0x0
	s_cmp_ge_u32 s20, s30
	s_cbranch_scc1 .LBB22_20
; %bb.1:
	v_mbcnt_lo_u32_b32 v2, -1, 0
	s_clause 0x7
	s_load_b32 s24, s[0:1], 0x18
	s_load_b96 s[16:18], s[0:1], 0x30
	s_load_b32 s22, s[0:1], 0x60
	s_load_b128 s[8:11], s[0:1], 0x20
	s_load_b128 s[12:15], s[0:1], 0x8
	s_load_b32 s31, s[0:1], 0x0
	s_load_b128 s[4:7], s[0:1], 0x50
	s_load_b64 s[26:27], s[0:1], 0x40
	s_wait_xcnt 0x0
	s_bfe_u32 s0, ttmp6, 0x4000c
	s_and_b32 s1, ttmp6, 15
	s_add_co_i32 s3, s0, 1
	v_cmp_gt_u32_e32 vcc_lo, 24, v2
	s_mul_i32 s3, ttmp9, s3
	v_and_b32_e32 v1, 31, v0
	s_add_co_i32 s1, s1, s3
	s_mov_b32 s35, s21
	v_cndmask_b32_e64 v3, 0, 8, vcc_lo
	v_cmp_gt_u32_e32 vcc_lo, 28, v2
	v_cmp_gt_u32_e64 s0, 32, v0
	v_lshl_or_b32 v6, v2, 2, 64
	s_wait_kmcnt 0x0
	s_ashr_i32 s25, s24, 31
	s_ashr_i32 s29, s18, 31
	v_cndmask_b32_e64 v8, 0, 4, vcc_lo
	v_cmp_gt_u32_e32 vcc_lo, 30, v2
	s_cmp_eq_u32 s2, 0
	s_mov_b32 s28, s18
	s_cselect_b32 s34, ttmp9, s1
	s_cmp_lg_u32 s22, 1
	v_cndmask_b32_e64 v9, 0, 2, vcc_lo
	v_cmp_ne_u32_e32 vcc_lo, 31, v2
	s_cselect_b32 s33, -1, 0
	s_lshl_b32 s18, s22, 9
	v_add_lshl_u32 v7, v3, v2, 2
	v_lshrrev_b32_e32 v3, 3, v0
	v_add_co_ci_u32_e64 v10, null, 0, v2, vcc_lo
	s_lshl_b64 s[14:15], s[14:15], 2
	s_ashr_i32 s19, s18, 31
	v_lshl_or_b32 v4, s34, 9, v0
	s_lshl_b64 s[34:35], s[34:35], 2
	s_add_nc_u64 s[12:13], s[12:13], s[14:15]
	s_lshl_b64 s[14:15], s[24:25], 2
	s_mul_u64 s[24:25], s[24:25], s[18:19]
	v_dual_lshlrev_b32 v5, 2, v1 :: v_dual_lshlrev_b32 v10, 2, v10
	v_add_lshl_u32 v8, v8, v2, 2
	v_add_lshl_u32 v9, v9, v2, 2
	v_cmp_eq_u32_e64 s1, 0, v1
	v_dual_mov_b32 v12, 0 :: v_dual_bitop2_b32 v11, 60, v3 bitop3:0x40
	v_cmp_gt_u32_e64 s2, 16, v0
	v_cmp_eq_u32_e64 s3, 0, v0
	s_add_nc_u64 s[4:5], s[4:5], s[34:35]
	s_lshl_b64 s[34:35], s[16:17], 2
	s_lshl_b64 s[16:17], s[24:25], 2
	;; [unrolled: 1-line block ×3, first 2 shown]
	s_mul_u64 s[28:29], s[28:29], s[18:19]
	s_mov_b32 s23, s21
	s_lshl_b64 s[8:9], s[8:9], 2
	s_add_nc_u64 s[10:11], s[10:11], s[34:35]
	s_lshl_b64 s[26:27], s[26:27], 2
	s_lshl_b64 s[28:29], s[28:29], 2
	s_branch .LBB22_3
.LBB22_2:                               ;   in Loop: Header=BB22_3 Depth=1
	s_wait_xcnt 0x0
	s_or_b32 exec_lo, exec_lo, s19
	s_add_co_i32 s20, s20, 0x10000
	s_delay_alu instid0(SALU_CYCLE_1)
	s_cmp_lt_u32 s20, s30
	s_cbranch_scc0 .LBB22_20
.LBB22_3:                               ; =>This Loop Header: Depth=1
                                        ;     Child Loop BB22_5 Depth 2
	v_mov_b32_e32 v13, 0
	s_mov_b32 s19, exec_lo
	v_cmpx_gt_i32_e64 s31, v4
	s_cbranch_execz .LBB22_7
; %bb.4:                                ;   in Loop: Header=BB22_3 Depth=1
	s_mul_u64 s[34:35], s[8:9], s[20:21]
	s_mul_u64 s[36:37], s[26:27], s[20:21]
	s_add_nc_u64 s[34:35], s[12:13], s[34:35]
	s_add_nc_u64 s[36:37], s[10:11], s[36:37]
	s_wait_dscnt 0x0
	v_mad_nc_u64_u32 v[0:1], s14, v4, s[34:35]
	v_mad_nc_u64_u32 v[2:3], s24, v4, s[36:37]
	v_ashrrev_i32_e32 v13, 31, v4
	s_mov_b32 s34, 0
	s_mov_b32 s35, 0
	s_delay_alu instid0(VALU_DEP_3) | instskip(NEXT) | instid1(VALU_DEP_3)
	v_mad_u32 v1, s15, v4, v1
	v_mad_u32 v3, s25, v4, v3
	s_delay_alu instid0(VALU_DEP_2) | instskip(NEXT) | instid1(VALU_DEP_2)
	v_mad_u32 v1, s14, v13, v1
	v_mad_u32 v3, s24, v13, v3
	v_mov_b32_e32 v13, 0
.LBB22_5:                               ;   Parent Loop BB22_3 Depth=1
                                        ; =>  This Inner Loop Header: Depth=2
	global_load_b32 v14, v[2:3], off
	global_load_b32 v15, v[0:1], off
	v_add_nc_u32_e32 v4, s18, v4
	s_add_co_i32 s36, s35, 1
	s_cmp_gt_u32 s35, 2
	s_wait_xcnt 0x0
	v_add_nc_u64_e32 v[0:1], s[16:17], v[0:1]
	s_cselect_b32 s35, -1, 0
	v_add_nc_u64_e32 v[2:3], s[28:29], v[2:3]
	s_wait_loadcnt 0x0
	v_fmac_f32_e32 v13, v14, v15
	v_cmp_le_i32_e32 vcc_lo, s31, v4
	s_or_b32 s35, s35, vcc_lo
	s_delay_alu instid0(SALU_CYCLE_1) | instskip(NEXT) | instid1(SALU_CYCLE_1)
	s_and_b32 s35, exec_lo, s35
	s_or_b32 s34, s35, s34
	s_mov_b32 s35, s36
	s_and_not1_b32 exec_lo, exec_lo, s34
	s_cbranch_execnz .LBB22_5
; %bb.6:                                ;   in Loop: Header=BB22_3 Depth=1
	s_or_b32 exec_lo, exec_lo, s34
.LBB22_7:                               ;   in Loop: Header=BB22_3 Depth=1
	s_delay_alu instid0(SALU_CYCLE_1)
	s_or_b32 exec_lo, exec_lo, s19
	s_and_saveexec_b32 s19, s0
; %bb.8:                                ;   in Loop: Header=BB22_3 Depth=1
	ds_store_b32 v5, v12
; %bb.9:                                ;   in Loop: Header=BB22_3 Depth=1
	s_or_b32 exec_lo, exec_lo, s19
	s_wait_dscnt 0x0
	ds_bpermute_b32 v0, v6, v13
	s_wait_dscnt 0x0
	s_barrier_signal -1
	s_barrier_wait -1
	v_add_f32_e32 v0, v13, v0
	ds_bpermute_b32 v1, v7, v0
	s_wait_dscnt 0x0
	v_add_f32_e32 v0, v0, v1
	ds_bpermute_b32 v1, v8, v0
	s_wait_dscnt 0x0
	v_add_f32_e32 v0, v0, v1
	ds_bpermute_b32 v1, v9, v0
	s_wait_dscnt 0x0
	v_add_f32_e32 v0, v0, v1
	ds_bpermute_b32 v1, v10, v0
	s_and_saveexec_b32 s19, s1
	s_cbranch_execz .LBB22_11
; %bb.10:                               ;   in Loop: Header=BB22_3 Depth=1
	s_wait_dscnt 0x0
	v_add_f32_e32 v0, v0, v1
	ds_store_b32 v11, v0
.LBB22_11:                              ;   in Loop: Header=BB22_3 Depth=1
	s_or_b32 exec_lo, exec_lo, s19
	v_mov_b32_e32 v0, 0
	s_wait_dscnt 0x0
	s_barrier_signal -1
	s_barrier_wait -1
	s_and_saveexec_b32 s19, s2
	s_cbranch_execnz .LBB22_14
; %bb.12:                               ;   in Loop: Header=BB22_3 Depth=1
	s_or_b32 exec_lo, exec_lo, s19
	s_and_saveexec_b32 s19, s0
	s_cbranch_execnz .LBB22_15
.LBB22_13:                              ;   in Loop: Header=BB22_3 Depth=1
	s_or_b32 exec_lo, exec_lo, s19
	s_and_saveexec_b32 s19, s3
	s_cbranch_execz .LBB22_2
	s_branch .LBB22_16
.LBB22_14:                              ;   in Loop: Header=BB22_3 Depth=1
	ds_load_b32 v0, v5
	s_or_b32 exec_lo, exec_lo, s19
	s_and_saveexec_b32 s19, s0
	s_cbranch_execz .LBB22_13
.LBB22_15:                              ;   in Loop: Header=BB22_3 Depth=1
	s_wait_dscnt 0x0
	ds_bpermute_b32 v1, v7, v0
	s_wait_dscnt 0x0
	v_add_f32_e32 v0, v0, v1
	ds_bpermute_b32 v1, v8, v0
	s_wait_dscnt 0x0
	v_add_f32_e32 v0, v0, v1
	;; [unrolled: 3-line block ×4, first 2 shown]
	s_or_b32 exec_lo, exec_lo, s19
	s_and_saveexec_b32 s19, s3
	s_cbranch_execz .LBB22_2
.LBB22_16:                              ;   in Loop: Header=BB22_3 Depth=1
	s_and_b32 vcc_lo, exec_lo, s33
	s_mov_b32 s34, -1
	s_cbranch_vccz .LBB22_18
; %bb.17:                               ;   in Loop: Header=BB22_3 Depth=1
	s_mul_u64 s[34:35], s[22:23], s[20:21]
	s_delay_alu instid0(SALU_CYCLE_1) | instskip(NEXT) | instid1(SALU_CYCLE_1)
	s_lshl_b64 s[34:35], s[34:35], 2
	s_add_nc_u64 s[36:37], s[4:5], s[34:35]
	s_mov_b32 s34, 0
	s_wait_dscnt 0x0
	global_store_b32 v12, v0, s[36:37]
.LBB22_18:                              ;   in Loop: Header=BB22_3 Depth=1
	s_and_not1_b32 vcc_lo, exec_lo, s34
	s_cbranch_vccnz .LBB22_2
; %bb.19:                               ;   in Loop: Header=BB22_3 Depth=1
	s_lshl_b64 s[34:35], s[20:21], 2
	s_delay_alu instid0(SALU_CYCLE_1)
	s_add_nc_u64 s[34:35], s[6:7], s[34:35]
	s_wait_dscnt 0x0
	global_store_b32 v12, v0, s[34:35]
	s_branch .LBB22_2
.LBB22_20:
	s_endpgm
	.section	.rodata,"a",@progbits
	.p2align	6, 0x0
	.amdhsa_kernel _ZL18rocblas_dot_kernelIiLb0ELi512ELi4ELb0EfPKffEviT5_lT_lS2_lS3_liPT6_PT4_
		.amdhsa_group_segment_fixed_size 128
		.amdhsa_private_segment_fixed_size 0
		.amdhsa_kernarg_size 352
		.amdhsa_user_sgpr_count 2
		.amdhsa_user_sgpr_dispatch_ptr 0
		.amdhsa_user_sgpr_queue_ptr 0
		.amdhsa_user_sgpr_kernarg_segment_ptr 1
		.amdhsa_user_sgpr_dispatch_id 0
		.amdhsa_user_sgpr_kernarg_preload_length 0
		.amdhsa_user_sgpr_kernarg_preload_offset 0
		.amdhsa_user_sgpr_private_segment_size 0
		.amdhsa_wavefront_size32 1
		.amdhsa_uses_dynamic_stack 0
		.amdhsa_enable_private_segment 0
		.amdhsa_system_sgpr_workgroup_id_x 1
		.amdhsa_system_sgpr_workgroup_id_y 0
		.amdhsa_system_sgpr_workgroup_id_z 1
		.amdhsa_system_sgpr_workgroup_info 0
		.amdhsa_system_vgpr_workitem_id 0
		.amdhsa_next_free_vgpr 16
		.amdhsa_next_free_sgpr 38
		.amdhsa_named_barrier_count 0
		.amdhsa_reserve_vcc 1
		.amdhsa_float_round_mode_32 0
		.amdhsa_float_round_mode_16_64 0
		.amdhsa_float_denorm_mode_32 3
		.amdhsa_float_denorm_mode_16_64 3
		.amdhsa_fp16_overflow 0
		.amdhsa_memory_ordered 1
		.amdhsa_forward_progress 1
		.amdhsa_inst_pref_size 9
		.amdhsa_round_robin_scheduling 0
		.amdhsa_exception_fp_ieee_invalid_op 0
		.amdhsa_exception_fp_denorm_src 0
		.amdhsa_exception_fp_ieee_div_zero 0
		.amdhsa_exception_fp_ieee_overflow 0
		.amdhsa_exception_fp_ieee_underflow 0
		.amdhsa_exception_fp_ieee_inexact 0
		.amdhsa_exception_int_div_zero 0
	.end_amdhsa_kernel
	.section	.text._ZL18rocblas_dot_kernelIiLb0ELi512ELi4ELb0EfPKffEviT5_lT_lS2_lS3_liPT6_PT4_,"axG",@progbits,_ZL18rocblas_dot_kernelIiLb0ELi512ELi4ELb0EfPKffEviT5_lT_lS2_lS3_liPT6_PT4_,comdat
.Lfunc_end22:
	.size	_ZL18rocblas_dot_kernelIiLb0ELi512ELi4ELb0EfPKffEviT5_lT_lS2_lS3_liPT6_PT4_, .Lfunc_end22-_ZL18rocblas_dot_kernelIiLb0ELi512ELi4ELb0EfPKffEviT5_lT_lS2_lS3_liPT6_PT4_
                                        ; -- End function
	.set _ZL18rocblas_dot_kernelIiLb0ELi512ELi4ELb0EfPKffEviT5_lT_lS2_lS3_liPT6_PT4_.num_vgpr, 16
	.set _ZL18rocblas_dot_kernelIiLb0ELi512ELi4ELb0EfPKffEviT5_lT_lS2_lS3_liPT6_PT4_.num_agpr, 0
	.set _ZL18rocblas_dot_kernelIiLb0ELi512ELi4ELb0EfPKffEviT5_lT_lS2_lS3_liPT6_PT4_.numbered_sgpr, 38
	.set _ZL18rocblas_dot_kernelIiLb0ELi512ELi4ELb0EfPKffEviT5_lT_lS2_lS3_liPT6_PT4_.num_named_barrier, 0
	.set _ZL18rocblas_dot_kernelIiLb0ELi512ELi4ELb0EfPKffEviT5_lT_lS2_lS3_liPT6_PT4_.private_seg_size, 0
	.set _ZL18rocblas_dot_kernelIiLb0ELi512ELi4ELb0EfPKffEviT5_lT_lS2_lS3_liPT6_PT4_.uses_vcc, 1
	.set _ZL18rocblas_dot_kernelIiLb0ELi512ELi4ELb0EfPKffEviT5_lT_lS2_lS3_liPT6_PT4_.uses_flat_scratch, 0
	.set _ZL18rocblas_dot_kernelIiLb0ELi512ELi4ELb0EfPKffEviT5_lT_lS2_lS3_liPT6_PT4_.has_dyn_sized_stack, 0
	.set _ZL18rocblas_dot_kernelIiLb0ELi512ELi4ELb0EfPKffEviT5_lT_lS2_lS3_liPT6_PT4_.has_recursion, 0
	.set _ZL18rocblas_dot_kernelIiLb0ELi512ELi4ELb0EfPKffEviT5_lT_lS2_lS3_liPT6_PT4_.has_indirect_call, 0
	.section	.AMDGPU.csdata,"",@progbits
; Kernel info:
; codeLenInByte = 1048
; TotalNumSgprs: 40
; NumVgprs: 16
; ScratchSize: 0
; MemoryBound: 0
; FloatMode: 240
; IeeeMode: 1
; LDSByteSize: 128 bytes/workgroup (compile time only)
; SGPRBlocks: 0
; VGPRBlocks: 0
; NumSGPRsForWavesPerEU: 40
; NumVGPRsForWavesPerEU: 16
; NamedBarCnt: 0
; Occupancy: 16
; WaveLimiterHint : 0
; COMPUTE_PGM_RSRC2:SCRATCH_EN: 0
; COMPUTE_PGM_RSRC2:USER_SGPR: 2
; COMPUTE_PGM_RSRC2:TRAP_HANDLER: 0
; COMPUTE_PGM_RSRC2:TGID_X_EN: 1
; COMPUTE_PGM_RSRC2:TGID_Y_EN: 0
; COMPUTE_PGM_RSRC2:TGID_Z_EN: 1
; COMPUTE_PGM_RSRC2:TIDIG_COMP_CNT: 0
	.section	.text._ZL24rocblas_dot_kernel_magsqIiLb0ELi512ELi4ELb0EfPKffEviT5_lT_liPT6_PT4_,"axG",@progbits,_ZL24rocblas_dot_kernel_magsqIiLb0ELi512ELi4ELb0EfPKffEviT5_lT_liPT6_PT4_,comdat
	.globl	_ZL24rocblas_dot_kernel_magsqIiLb0ELi512ELi4ELb0EfPKffEviT5_lT_liPT6_PT4_ ; -- Begin function _ZL24rocblas_dot_kernel_magsqIiLb0ELi512ELi4ELb0EfPKffEviT5_lT_liPT6_PT4_
	.p2align	8
	.type	_ZL24rocblas_dot_kernel_magsqIiLb0ELi512ELi4ELb0EfPKffEviT5_lT_liPT6_PT4_,@function
_ZL24rocblas_dot_kernel_magsqIiLb0ELi512ELi4ELb0EfPKffEviT5_lT_liPT6_PT4_: ; @_ZL24rocblas_dot_kernel_magsqIiLb0ELi512ELi4ELb0EfPKffEviT5_lT_liPT6_PT4_
; %bb.0:
	s_load_b32 s22, s[0:1], 0x28
	s_bfe_u32 s2, ttmp6, 0x40014
	s_lshr_b32 s3, ttmp7, 16
	s_add_co_i32 s2, s2, 1
	s_bfe_u32 s5, ttmp6, 0x40008
	s_mul_i32 s4, s3, s2
	s_getreg_b32 s2, hwreg(HW_REG_IB_STS2, 6, 4)
	s_add_co_i32 s5, s5, s4
	s_cmp_eq_u32 s2, 0
	s_mov_b32 s13, 0
	s_cselect_b32 s12, s3, s5
	s_wait_kmcnt 0x0
	s_cmp_ge_u32 s12, s22
	s_cbranch_scc1 .LBB23_20
; %bb.1:
	v_mbcnt_lo_u32_b32 v7, -1, 0
	s_clause 0x5
	s_load_b32 s18, s[0:1], 0x18
	s_load_b128 s[4:7], s[0:1], 0x30
	s_load_b32 s14, s[0:1], 0x40
	s_load_b128 s[8:11], s[0:1], 0x8
	s_load_b64 s[20:21], s[0:1], 0x20
	s_load_b32 s23, s[0:1], 0x0
	s_wait_xcnt 0x0
	s_bfe_u32 s0, ttmp6, 0x4000c
	s_and_b32 s1, ttmp6, 15
	s_add_co_i32 s3, s0, 1
	v_cmp_gt_u32_e32 vcc_lo, 24, v7
	s_mul_i32 s3, ttmp9, s3
	v_dual_lshrrev_b32 v10, 3, v0 :: v_dual_bitop2_b32 v1, 31, v0 bitop3:0x40
	s_add_co_i32 s1, s1, s3
	v_cndmask_b32_e64 v5, 0, 8, vcc_lo
	v_cmp_gt_u32_e32 vcc_lo, 28, v7
	s_mov_b32 s27, s13
	v_cmp_gt_u32_e64 s0, 32, v0
	v_lshlrev_b32_e32 v2, 2, v1
	v_lshl_or_b32 v3, v7, 2, 64
	v_cndmask_b32_e64 v6, 0, 4, vcc_lo
	v_cmp_gt_u32_e32 vcc_lo, 30, v7
	s_wait_kmcnt 0x0
	s_ashr_i32 s19, s18, 31
	s_cmp_eq_u32 s2, 0
	v_add_lshl_u32 v5, v5, v7, 2
	s_cselect_b32 s26, ttmp9, s1
	v_cndmask_b32_e64 v8, 0, 2, vcc_lo
	v_cmp_ne_u32_e32 vcc_lo, 31, v7
	s_cmp_lg_u32 s14, 1
	v_lshl_or_b32 v4, s26, 9, v0
	s_cselect_b32 s24, -1, 0
	s_lshl_b32 s16, s14, 9
	v_add_co_ci_u32_e64 v9, null, 0, v7, vcc_lo
	s_lshl_b64 s[26:27], s[26:27], 2
	s_ashr_i32 s17, s16, 31
	v_add_lshl_u32 v6, v6, v7, 2
	v_add_lshl_u32 v7, v8, v7, 2
	v_lshlrev_b32_e32 v8, 2, v9
	v_cmp_eq_u32_e64 s1, 0, v1
	v_and_b32_e32 v9, 60, v10
	v_cmp_gt_u32_e64 s2, 16, v0
	v_cmp_eq_u32_e64 s3, 0, v0
	v_mov_b32_e32 v10, 0
	s_lshl_b64 s[10:11], s[10:11], 2
	s_add_nc_u64 s[4:5], s[4:5], s[26:27]
	s_mul_u64 s[26:27], s[18:19], s[16:17]
	s_mov_b32 s15, s13
	s_add_nc_u64 s[8:9], s[8:9], s[10:11]
	s_lshl_b64 s[10:11], s[18:19], 2
	s_lshl_b64 s[18:19], s[20:21], 2
	;; [unrolled: 1-line block ×3, first 2 shown]
	s_branch .LBB23_3
.LBB23_2:                               ;   in Loop: Header=BB23_3 Depth=1
	s_wait_xcnt 0x0
	s_or_b32 exec_lo, exec_lo, s17
	s_add_co_i32 s12, s12, 0x10000
	s_delay_alu instid0(SALU_CYCLE_1)
	s_cmp_lt_u32 s12, s22
	s_cbranch_scc0 .LBB23_20
.LBB23_3:                               ; =>This Loop Header: Depth=1
                                        ;     Child Loop BB23_5 Depth 2
	v_mov_b32_e32 v11, 0
	s_mov_b32 s17, exec_lo
	v_cmpx_gt_i32_e64 s23, v4
	s_cbranch_execz .LBB23_7
; %bb.4:                                ;   in Loop: Header=BB23_3 Depth=1
	s_mul_u64 s[26:27], s[18:19], s[12:13]
	v_ashrrev_i32_e32 v11, 31, v4
	s_add_nc_u64 s[26:27], s[8:9], s[26:27]
	s_mov_b32 s25, 0
	s_wait_dscnt 0x0
	v_mad_nc_u64_u32 v[0:1], s10, v4, s[26:27]
	s_mov_b32 s26, 0
	s_delay_alu instid0(VALU_DEP_1) | instskip(NEXT) | instid1(VALU_DEP_1)
	v_mad_u32 v1, s11, v4, v1
	v_mad_u32 v1, s10, v11, v1
	v_mov_b32_e32 v11, 0
.LBB23_5:                               ;   Parent Loop BB23_3 Depth=1
                                        ; =>  This Inner Loop Header: Depth=2
	global_load_b32 v12, v[0:1], off
	v_add_nc_u32_e32 v4, s16, v4
	s_add_co_i32 s27, s26, 1
	s_cmp_gt_u32 s26, 2
	s_wait_xcnt 0x0
	v_add_nc_u64_e32 v[0:1], s[20:21], v[0:1]
	s_cselect_b32 s26, -1, 0
	v_cmp_le_i32_e32 vcc_lo, s23, v4
	s_or_b32 s26, s26, vcc_lo
	s_delay_alu instid0(SALU_CYCLE_1) | instskip(NEXT) | instid1(SALU_CYCLE_1)
	s_and_b32 s26, exec_lo, s26
	s_or_b32 s25, s26, s25
	s_mov_b32 s26, s27
	s_wait_loadcnt 0x0
	v_fmac_f32_e32 v11, v12, v12
	s_and_not1_b32 exec_lo, exec_lo, s25
	s_cbranch_execnz .LBB23_5
; %bb.6:                                ;   in Loop: Header=BB23_3 Depth=1
	s_or_b32 exec_lo, exec_lo, s25
.LBB23_7:                               ;   in Loop: Header=BB23_3 Depth=1
	s_delay_alu instid0(SALU_CYCLE_1)
	s_or_b32 exec_lo, exec_lo, s17
	s_and_saveexec_b32 s17, s0
; %bb.8:                                ;   in Loop: Header=BB23_3 Depth=1
	ds_store_b32 v2, v10
; %bb.9:                                ;   in Loop: Header=BB23_3 Depth=1
	s_or_b32 exec_lo, exec_lo, s17
	s_wait_dscnt 0x0
	ds_bpermute_b32 v0, v3, v11
	s_wait_dscnt 0x0
	s_barrier_signal -1
	s_barrier_wait -1
	v_add_f32_e32 v0, v11, v0
	ds_bpermute_b32 v1, v5, v0
	s_wait_dscnt 0x0
	v_add_f32_e32 v0, v0, v1
	ds_bpermute_b32 v1, v6, v0
	s_wait_dscnt 0x0
	;; [unrolled: 3-line block ×3, first 2 shown]
	v_add_f32_e32 v0, v0, v1
	ds_bpermute_b32 v1, v8, v0
	s_and_saveexec_b32 s17, s1
	s_cbranch_execz .LBB23_11
; %bb.10:                               ;   in Loop: Header=BB23_3 Depth=1
	s_wait_dscnt 0x0
	v_add_f32_e32 v0, v0, v1
	ds_store_b32 v9, v0
.LBB23_11:                              ;   in Loop: Header=BB23_3 Depth=1
	s_or_b32 exec_lo, exec_lo, s17
	v_mov_b32_e32 v0, 0
	s_wait_dscnt 0x0
	s_barrier_signal -1
	s_barrier_wait -1
	s_and_saveexec_b32 s17, s2
	s_cbranch_execnz .LBB23_14
; %bb.12:                               ;   in Loop: Header=BB23_3 Depth=1
	s_or_b32 exec_lo, exec_lo, s17
	s_and_saveexec_b32 s17, s0
	s_cbranch_execnz .LBB23_15
.LBB23_13:                              ;   in Loop: Header=BB23_3 Depth=1
	s_or_b32 exec_lo, exec_lo, s17
	s_and_saveexec_b32 s17, s3
	s_cbranch_execz .LBB23_2
	s_branch .LBB23_16
.LBB23_14:                              ;   in Loop: Header=BB23_3 Depth=1
	ds_load_b32 v0, v2
	s_or_b32 exec_lo, exec_lo, s17
	s_and_saveexec_b32 s17, s0
	s_cbranch_execz .LBB23_13
.LBB23_15:                              ;   in Loop: Header=BB23_3 Depth=1
	s_wait_dscnt 0x0
	ds_bpermute_b32 v1, v5, v0
	s_wait_dscnt 0x0
	v_add_f32_e32 v0, v0, v1
	ds_bpermute_b32 v1, v6, v0
	s_wait_dscnt 0x0
	v_add_f32_e32 v0, v0, v1
	ds_bpermute_b32 v1, v7, v0
	s_wait_dscnt 0x0
	v_add_f32_e32 v0, v0, v1
	ds_bpermute_b32 v1, v8, v0
	s_wait_dscnt 0x0
	v_add_f32_e32 v0, v0, v1
	s_or_b32 exec_lo, exec_lo, s17
	s_and_saveexec_b32 s17, s3
	s_cbranch_execz .LBB23_2
.LBB23_16:                              ;   in Loop: Header=BB23_3 Depth=1
	s_and_b32 vcc_lo, exec_lo, s24
	s_mov_b32 s25, -1
	s_cbranch_vccz .LBB23_18
; %bb.17:                               ;   in Loop: Header=BB23_3 Depth=1
	s_mul_u64 s[26:27], s[14:15], s[12:13]
	s_mov_b32 s25, 0
	s_lshl_b64 s[26:27], s[26:27], 2
	s_delay_alu instid0(SALU_CYCLE_1)
	s_add_nc_u64 s[26:27], s[4:5], s[26:27]
	s_wait_dscnt 0x0
	global_store_b32 v10, v0, s[26:27]
.LBB23_18:                              ;   in Loop: Header=BB23_3 Depth=1
	s_and_not1_b32 vcc_lo, exec_lo, s25
	s_cbranch_vccnz .LBB23_2
; %bb.19:                               ;   in Loop: Header=BB23_3 Depth=1
	s_wait_xcnt 0x0
	s_lshl_b64 s[26:27], s[12:13], 2
	s_delay_alu instid0(SALU_CYCLE_1)
	s_add_nc_u64 s[26:27], s[6:7], s[26:27]
	s_wait_dscnt 0x0
	global_store_b32 v10, v0, s[26:27]
	s_branch .LBB23_2
.LBB23_20:
	s_endpgm
	.section	.rodata,"a",@progbits
	.p2align	6, 0x0
	.amdhsa_kernel _ZL24rocblas_dot_kernel_magsqIiLb0ELi512ELi4ELb0EfPKffEviT5_lT_liPT6_PT4_
		.amdhsa_group_segment_fixed_size 128
		.amdhsa_private_segment_fixed_size 0
		.amdhsa_kernarg_size 320
		.amdhsa_user_sgpr_count 2
		.amdhsa_user_sgpr_dispatch_ptr 0
		.amdhsa_user_sgpr_queue_ptr 0
		.amdhsa_user_sgpr_kernarg_segment_ptr 1
		.amdhsa_user_sgpr_dispatch_id 0
		.amdhsa_user_sgpr_kernarg_preload_length 0
		.amdhsa_user_sgpr_kernarg_preload_offset 0
		.amdhsa_user_sgpr_private_segment_size 0
		.amdhsa_wavefront_size32 1
		.amdhsa_uses_dynamic_stack 0
		.amdhsa_enable_private_segment 0
		.amdhsa_system_sgpr_workgroup_id_x 1
		.amdhsa_system_sgpr_workgroup_id_y 0
		.amdhsa_system_sgpr_workgroup_id_z 1
		.amdhsa_system_sgpr_workgroup_info 0
		.amdhsa_system_vgpr_workitem_id 0
		.amdhsa_next_free_vgpr 13
		.amdhsa_next_free_sgpr 28
		.amdhsa_named_barrier_count 0
		.amdhsa_reserve_vcc 1
		.amdhsa_float_round_mode_32 0
		.amdhsa_float_round_mode_16_64 0
		.amdhsa_float_denorm_mode_32 3
		.amdhsa_float_denorm_mode_16_64 3
		.amdhsa_fp16_overflow 0
		.amdhsa_memory_ordered 1
		.amdhsa_forward_progress 1
		.amdhsa_inst_pref_size 8
		.amdhsa_round_robin_scheduling 0
		.amdhsa_exception_fp_ieee_invalid_op 0
		.amdhsa_exception_fp_denorm_src 0
		.amdhsa_exception_fp_ieee_div_zero 0
		.amdhsa_exception_fp_ieee_overflow 0
		.amdhsa_exception_fp_ieee_underflow 0
		.amdhsa_exception_fp_ieee_inexact 0
		.amdhsa_exception_int_div_zero 0
	.end_amdhsa_kernel
	.section	.text._ZL24rocblas_dot_kernel_magsqIiLb0ELi512ELi4ELb0EfPKffEviT5_lT_liPT6_PT4_,"axG",@progbits,_ZL24rocblas_dot_kernel_magsqIiLb0ELi512ELi4ELb0EfPKffEviT5_lT_liPT6_PT4_,comdat
.Lfunc_end23:
	.size	_ZL24rocblas_dot_kernel_magsqIiLb0ELi512ELi4ELb0EfPKffEviT5_lT_liPT6_PT4_, .Lfunc_end23-_ZL24rocblas_dot_kernel_magsqIiLb0ELi512ELi4ELb0EfPKffEviT5_lT_liPT6_PT4_
                                        ; -- End function
	.set _ZL24rocblas_dot_kernel_magsqIiLb0ELi512ELi4ELb0EfPKffEviT5_lT_liPT6_PT4_.num_vgpr, 13
	.set _ZL24rocblas_dot_kernel_magsqIiLb0ELi512ELi4ELb0EfPKffEviT5_lT_liPT6_PT4_.num_agpr, 0
	.set _ZL24rocblas_dot_kernel_magsqIiLb0ELi512ELi4ELb0EfPKffEviT5_lT_liPT6_PT4_.numbered_sgpr, 28
	.set _ZL24rocblas_dot_kernel_magsqIiLb0ELi512ELi4ELb0EfPKffEviT5_lT_liPT6_PT4_.num_named_barrier, 0
	.set _ZL24rocblas_dot_kernel_magsqIiLb0ELi512ELi4ELb0EfPKffEviT5_lT_liPT6_PT4_.private_seg_size, 0
	.set _ZL24rocblas_dot_kernel_magsqIiLb0ELi512ELi4ELb0EfPKffEviT5_lT_liPT6_PT4_.uses_vcc, 1
	.set _ZL24rocblas_dot_kernel_magsqIiLb0ELi512ELi4ELb0EfPKffEviT5_lT_liPT6_PT4_.uses_flat_scratch, 0
	.set _ZL24rocblas_dot_kernel_magsqIiLb0ELi512ELi4ELb0EfPKffEviT5_lT_liPT6_PT4_.has_dyn_sized_stack, 0
	.set _ZL24rocblas_dot_kernel_magsqIiLb0ELi512ELi4ELb0EfPKffEviT5_lT_liPT6_PT4_.has_recursion, 0
	.set _ZL24rocblas_dot_kernel_magsqIiLb0ELi512ELi4ELb0EfPKffEviT5_lT_liPT6_PT4_.has_indirect_call, 0
	.section	.AMDGPU.csdata,"",@progbits
; Kernel info:
; codeLenInByte = 948
; TotalNumSgprs: 30
; NumVgprs: 13
; ScratchSize: 0
; MemoryBound: 0
; FloatMode: 240
; IeeeMode: 1
; LDSByteSize: 128 bytes/workgroup (compile time only)
; SGPRBlocks: 0
; VGPRBlocks: 0
; NumSGPRsForWavesPerEU: 30
; NumVGPRsForWavesPerEU: 13
; NamedBarCnt: 0
; Occupancy: 16
; WaveLimiterHint : 0
; COMPUTE_PGM_RSRC2:SCRATCH_EN: 0
; COMPUTE_PGM_RSRC2:USER_SGPR: 2
; COMPUTE_PGM_RSRC2:TRAP_HANDLER: 0
; COMPUTE_PGM_RSRC2:TGID_X_EN: 1
; COMPUTE_PGM_RSRC2:TGID_Y_EN: 0
; COMPUTE_PGM_RSRC2:TGID_Z_EN: 1
; COMPUTE_PGM_RSRC2:TIDIG_COMP_CNT: 0
	.section	.text._ZL28rocblas_dot_batched_4_kernelIiLi32ELi4ELb0EddPKdEviT5_lT_lS2_lS3_liPT4_,"axG",@progbits,_ZL28rocblas_dot_batched_4_kernelIiLi32ELi4ELb0EddPKdEviT5_lT_lS2_lS3_liPT4_,comdat
	.globl	_ZL28rocblas_dot_batched_4_kernelIiLi32ELi4ELb0EddPKdEviT5_lT_lS2_lS3_liPT4_ ; -- Begin function _ZL28rocblas_dot_batched_4_kernelIiLi32ELi4ELb0EddPKdEviT5_lT_lS2_lS3_liPT4_
	.p2align	8
	.type	_ZL28rocblas_dot_batched_4_kernelIiLi32ELi4ELb0EddPKdEviT5_lT_lS2_lS3_liPT4_,@function
_ZL28rocblas_dot_batched_4_kernelIiLi32ELi4ELb0EddPKdEviT5_lT_lS2_lS3_liPT4_: ; @_ZL28rocblas_dot_batched_4_kernelIiLi32ELi4ELb0EddPKdEviT5_lT_lS2_lS3_liPT4_
; %bb.0:
	s_load_b32 s2, s[0:1], 0x48
	s_bfe_u32 s3, ttmp6, 0x4000c
	s_and_b32 s4, ttmp6, 15
	s_add_co_i32 s3, s3, 1
	v_bfe_u32 v1, v0, 10, 10
	s_mul_i32 s3, ttmp9, s3
	s_delay_alu instid0(SALU_CYCLE_1) | instskip(SKIP_1) | instid1(SALU_CYCLE_1)
	s_add_co_i32 s4, s4, s3
	s_getreg_b32 s3, hwreg(HW_REG_IB_STS2, 6, 4)
	s_cmp_eq_u32 s3, 0
	s_cselect_b32 s3, ttmp9, s4
	s_delay_alu instid0(SALU_CYCLE_1) | instskip(SKIP_1) | instid1(VALU_DEP_1)
	v_lshl_add_u32 v2, s3, 2, v1
	s_wait_kmcnt 0x0
	v_cmp_gt_u32_e32 vcc_lo, s2, v2
	s_and_saveexec_b32 s2, vcc_lo
	s_cbranch_execz .LBB24_7
; %bb.1:
	s_load_b32 s6, s[0:1], 0x0
	v_mov_b64_e32 v[4:5], 0
	v_and_b32_e32 v0, 0x3ff, v0
	v_mov_b32_e32 v3, 0
	s_mov_b32 s7, exec_lo
	s_wait_kmcnt 0x0
	s_delay_alu instid0(VALU_DEP_2)
	v_cmpx_gt_i32_e64 s6, v0
	s_cbranch_execz .LBB24_5
; %bb.2:
	s_clause 0x3
	s_load_b128 s[8:11], s[0:1], 0x20
	s_load_b64 s[2:3], s[0:1], 0x40
	s_load_b32 s4, s[0:1], 0x18
	s_load_b96 s[16:18], s[0:1], 0x30
	v_mov_b32_e32 v1, v3
	s_load_b128 s[12:15], s[0:1], 0x8
	s_wait_kmcnt 0x0
	v_mul_u64_e32 v[4:5], s[8:9], v[2:3]
	v_mul_u64_e32 v[6:7], s[2:3], v[2:3]
	s_ashr_i32 s5, s4, 31
	s_ashr_i32 s9, s18, 31
	s_mov_b32 s8, s18
	v_mul_u64_e32 v[8:9], s[4:5], v[0:1]
	v_mul_u64_e32 v[10:11], s[8:9], v[0:1]
	s_lshl_b64 s[2:3], s[14:15], 3
	s_lshl_b64 s[14:15], s[16:17], 3
	s_add_nc_u64 s[2:3], s[12:13], s[2:3]
	s_add_nc_u64 s[10:11], s[10:11], s[14:15]
	v_mov_b32_e32 v1, v0
	v_lshlrev_b64_e32 v[4:5], 3, v[4:5]
	v_lshlrev_b64_e32 v[6:7], 3, v[6:7]
	s_delay_alu instid0(VALU_DEP_2) | instskip(NEXT) | instid1(VALU_DEP_2)
	v_lshl_add_u64 v[4:5], v[8:9], 3, v[4:5]
	v_lshl_add_u64 v[8:9], v[10:11], 3, v[6:7]
	s_delay_alu instid0(VALU_DEP_2) | instskip(NEXT) | instid1(VALU_DEP_2)
	v_add_nc_u64_e32 v[6:7], s[2:3], v[4:5]
	v_add_nc_u64_e32 v[8:9], s[10:11], v[8:9]
	v_mov_b64_e32 v[4:5], 0
	s_lshl_b64 s[2:3], s[4:5], 8
	s_lshl_b64 s[4:5], s[8:9], 8
	s_mov_b32 s8, 0
.LBB24_3:                               ; =>This Inner Loop Header: Depth=1
	global_load_b64 v[10:11], v[6:7], off
	global_load_b64 v[12:13], v[8:9], off
	v_add_nc_u32_e32 v1, 32, v1
	s_wait_xcnt 0x1
	v_add_nc_u64_e32 v[6:7], s[2:3], v[6:7]
	s_wait_xcnt 0x0
	v_add_nc_u64_e32 v[8:9], s[4:5], v[8:9]
	v_cmp_le_i32_e32 vcc_lo, s6, v1
	s_or_b32 s8, vcc_lo, s8
	s_wait_loadcnt 0x0
	v_fmac_f64_e32 v[4:5], v[10:11], v[12:13]
	s_and_not1_b32 exec_lo, exec_lo, s8
	s_cbranch_execnz .LBB24_3
; %bb.4:
	s_or_b32 exec_lo, exec_lo, s8
.LBB24_5:
	s_delay_alu instid0(SALU_CYCLE_1) | instskip(SKIP_4) | instid1(VALU_DEP_1)
	s_or_b32 exec_lo, exec_lo, s7
	v_mbcnt_lo_u32_b32 v1, -1, 0
	s_load_b64 s[0:1], s[0:1], 0x50
	s_barrier_signal -1
	s_barrier_wait -1
	v_lshl_or_b32 v7, v1, 2, 64
	v_cmp_gt_u32_e32 vcc_lo, 24, v1
	ds_bpermute_b32 v6, v7, v4
	ds_bpermute_b32 v7, v7, v5
	s_wait_dscnt 0x0
	v_add_f64_e32 v[4:5], v[4:5], v[6:7]
	v_cndmask_b32_e64 v6, 0, 8, vcc_lo
	v_cmp_gt_u32_e32 vcc_lo, 28, v1
	s_delay_alu instid0(VALU_DEP_2)
	v_add_lshl_u32 v7, v6, v1, 2
	ds_bpermute_b32 v6, v7, v4
	ds_bpermute_b32 v7, v7, v5
	s_wait_dscnt 0x0
	v_add_f64_e32 v[4:5], v[4:5], v[6:7]
	v_cndmask_b32_e64 v6, 0, 4, vcc_lo
	v_cmp_gt_u32_e32 vcc_lo, 30, v1
	s_delay_alu instid0(VALU_DEP_2)
	v_add_lshl_u32 v7, v6, v1, 2
	ds_bpermute_b32 v6, v7, v4
	ds_bpermute_b32 v7, v7, v5
	s_wait_dscnt 0x0
	v_add_f64_e32 v[4:5], v[4:5], v[6:7]
	v_cndmask_b32_e64 v6, 0, 2, vcc_lo
	v_cmp_ne_u32_e32 vcc_lo, 31, v1
	s_delay_alu instid0(VALU_DEP_2) | instskip(SKIP_2) | instid1(VALU_DEP_2)
	v_add_lshl_u32 v7, v6, v1, 2
	v_add_co_ci_u32_e64 v1, null, 0, v1, vcc_lo
	v_cmp_eq_u32_e32 vcc_lo, 0, v0
	v_lshlrev_b32_e32 v1, 2, v1
	ds_bpermute_b32 v6, v7, v4
	ds_bpermute_b32 v7, v7, v5
	s_wait_dscnt 0x0
	v_add_f64_e32 v[4:5], v[4:5], v[6:7]
	ds_bpermute_b32 v6, v1, v4
	ds_bpermute_b32 v7, v1, v5
	s_and_b32 exec_lo, exec_lo, vcc_lo
	s_cbranch_execz .LBB24_7
; %bb.6:
	s_wait_dscnt 0x0
	v_add_f64_e32 v[0:1], v[4:5], v[6:7]
	s_wait_kmcnt 0x0
	v_lshl_add_u64 v[2:3], v[2:3], 3, s[0:1]
	global_store_b64 v[2:3], v[0:1], off
.LBB24_7:
	s_endpgm
	.section	.rodata,"a",@progbits
	.p2align	6, 0x0
	.amdhsa_kernel _ZL28rocblas_dot_batched_4_kernelIiLi32ELi4ELb0EddPKdEviT5_lT_lS2_lS3_liPT4_
		.amdhsa_group_segment_fixed_size 0
		.amdhsa_private_segment_fixed_size 0
		.amdhsa_kernarg_size 88
		.amdhsa_user_sgpr_count 2
		.amdhsa_user_sgpr_dispatch_ptr 0
		.amdhsa_user_sgpr_queue_ptr 0
		.amdhsa_user_sgpr_kernarg_segment_ptr 1
		.amdhsa_user_sgpr_dispatch_id 0
		.amdhsa_user_sgpr_kernarg_preload_length 0
		.amdhsa_user_sgpr_kernarg_preload_offset 0
		.amdhsa_user_sgpr_private_segment_size 0
		.amdhsa_wavefront_size32 1
		.amdhsa_uses_dynamic_stack 0
		.amdhsa_enable_private_segment 0
		.amdhsa_system_sgpr_workgroup_id_x 1
		.amdhsa_system_sgpr_workgroup_id_y 0
		.amdhsa_system_sgpr_workgroup_id_z 0
		.amdhsa_system_sgpr_workgroup_info 0
		.amdhsa_system_vgpr_workitem_id 1
		.amdhsa_next_free_vgpr 14
		.amdhsa_next_free_sgpr 19
		.amdhsa_named_barrier_count 0
		.amdhsa_reserve_vcc 1
		.amdhsa_float_round_mode_32 0
		.amdhsa_float_round_mode_16_64 0
		.amdhsa_float_denorm_mode_32 3
		.amdhsa_float_denorm_mode_16_64 3
		.amdhsa_fp16_overflow 0
		.amdhsa_memory_ordered 1
		.amdhsa_forward_progress 1
		.amdhsa_inst_pref_size 6
		.amdhsa_round_robin_scheduling 0
		.amdhsa_exception_fp_ieee_invalid_op 0
		.amdhsa_exception_fp_denorm_src 0
		.amdhsa_exception_fp_ieee_div_zero 0
		.amdhsa_exception_fp_ieee_overflow 0
		.amdhsa_exception_fp_ieee_underflow 0
		.amdhsa_exception_fp_ieee_inexact 0
		.amdhsa_exception_int_div_zero 0
	.end_amdhsa_kernel
	.section	.text._ZL28rocblas_dot_batched_4_kernelIiLi32ELi4ELb0EddPKdEviT5_lT_lS2_lS3_liPT4_,"axG",@progbits,_ZL28rocblas_dot_batched_4_kernelIiLi32ELi4ELb0EddPKdEviT5_lT_lS2_lS3_liPT4_,comdat
.Lfunc_end24:
	.size	_ZL28rocblas_dot_batched_4_kernelIiLi32ELi4ELb0EddPKdEviT5_lT_lS2_lS3_liPT4_, .Lfunc_end24-_ZL28rocblas_dot_batched_4_kernelIiLi32ELi4ELb0EddPKdEviT5_lT_lS2_lS3_liPT4_
                                        ; -- End function
	.set _ZL28rocblas_dot_batched_4_kernelIiLi32ELi4ELb0EddPKdEviT5_lT_lS2_lS3_liPT4_.num_vgpr, 14
	.set _ZL28rocblas_dot_batched_4_kernelIiLi32ELi4ELb0EddPKdEviT5_lT_lS2_lS3_liPT4_.num_agpr, 0
	.set _ZL28rocblas_dot_batched_4_kernelIiLi32ELi4ELb0EddPKdEviT5_lT_lS2_lS3_liPT4_.numbered_sgpr, 19
	.set _ZL28rocblas_dot_batched_4_kernelIiLi32ELi4ELb0EddPKdEviT5_lT_lS2_lS3_liPT4_.num_named_barrier, 0
	.set _ZL28rocblas_dot_batched_4_kernelIiLi32ELi4ELb0EddPKdEviT5_lT_lS2_lS3_liPT4_.private_seg_size, 0
	.set _ZL28rocblas_dot_batched_4_kernelIiLi32ELi4ELb0EddPKdEviT5_lT_lS2_lS3_liPT4_.uses_vcc, 1
	.set _ZL28rocblas_dot_batched_4_kernelIiLi32ELi4ELb0EddPKdEviT5_lT_lS2_lS3_liPT4_.uses_flat_scratch, 0
	.set _ZL28rocblas_dot_batched_4_kernelIiLi32ELi4ELb0EddPKdEviT5_lT_lS2_lS3_liPT4_.has_dyn_sized_stack, 0
	.set _ZL28rocblas_dot_batched_4_kernelIiLi32ELi4ELb0EddPKdEviT5_lT_lS2_lS3_liPT4_.has_recursion, 0
	.set _ZL28rocblas_dot_batched_4_kernelIiLi32ELi4ELb0EddPKdEviT5_lT_lS2_lS3_liPT4_.has_indirect_call, 0
	.section	.AMDGPU.csdata,"",@progbits
; Kernel info:
; codeLenInByte = 648
; TotalNumSgprs: 21
; NumVgprs: 14
; ScratchSize: 0
; MemoryBound: 0
; FloatMode: 240
; IeeeMode: 1
; LDSByteSize: 0 bytes/workgroup (compile time only)
; SGPRBlocks: 0
; VGPRBlocks: 0
; NumSGPRsForWavesPerEU: 21
; NumVGPRsForWavesPerEU: 14
; NamedBarCnt: 0
; Occupancy: 16
; WaveLimiterHint : 0
; COMPUTE_PGM_RSRC2:SCRATCH_EN: 0
; COMPUTE_PGM_RSRC2:USER_SGPR: 2
; COMPUTE_PGM_RSRC2:TRAP_HANDLER: 0
; COMPUTE_PGM_RSRC2:TGID_X_EN: 1
; COMPUTE_PGM_RSRC2:TGID_Y_EN: 0
; COMPUTE_PGM_RSRC2:TGID_Z_EN: 0
; COMPUTE_PGM_RSRC2:TIDIG_COMP_CNT: 1
	.section	.text._ZL28rocblas_dot_batched_4_kernelIiLi64ELi4ELb0EddPKdEviT5_lT_lS2_lS3_liPT4_,"axG",@progbits,_ZL28rocblas_dot_batched_4_kernelIiLi64ELi4ELb0EddPKdEviT5_lT_lS2_lS3_liPT4_,comdat
	.globl	_ZL28rocblas_dot_batched_4_kernelIiLi64ELi4ELb0EddPKdEviT5_lT_lS2_lS3_liPT4_ ; -- Begin function _ZL28rocblas_dot_batched_4_kernelIiLi64ELi4ELb0EddPKdEviT5_lT_lS2_lS3_liPT4_
	.p2align	8
	.type	_ZL28rocblas_dot_batched_4_kernelIiLi64ELi4ELb0EddPKdEviT5_lT_lS2_lS3_liPT4_,@function
_ZL28rocblas_dot_batched_4_kernelIiLi64ELi4ELb0EddPKdEviT5_lT_lS2_lS3_liPT4_: ; @_ZL28rocblas_dot_batched_4_kernelIiLi64ELi4ELb0EddPKdEviT5_lT_lS2_lS3_liPT4_
; %bb.0:
	s_load_b32 s2, s[0:1], 0x48
	s_bfe_u32 s3, ttmp6, 0x4000c
	s_and_b32 s4, ttmp6, 15
	s_add_co_i32 s3, s3, 1
	v_bfe_u32 v1, v0, 10, 10
	s_mul_i32 s3, ttmp9, s3
	s_delay_alu instid0(SALU_CYCLE_1) | instskip(SKIP_1) | instid1(SALU_CYCLE_1)
	s_add_co_i32 s4, s4, s3
	s_getreg_b32 s3, hwreg(HW_REG_IB_STS2, 6, 4)
	s_cmp_eq_u32 s3, 0
	s_cselect_b32 s3, ttmp9, s4
	s_delay_alu instid0(SALU_CYCLE_1) | instskip(SKIP_1) | instid1(VALU_DEP_1)
	v_lshl_add_u32 v2, s3, 2, v1
	s_wait_kmcnt 0x0
	v_cmp_gt_u32_e32 vcc_lo, s2, v2
	s_and_saveexec_b32 s2, vcc_lo
	s_cbranch_execz .LBB25_7
; %bb.1:
	s_load_b32 s6, s[0:1], 0x0
	v_mov_b64_e32 v[4:5], 0
	v_and_b32_e32 v0, 0x3ff, v0
	v_mov_b32_e32 v3, 0
	s_mov_b32 s7, exec_lo
	s_wait_kmcnt 0x0
	s_delay_alu instid0(VALU_DEP_2)
	v_cmpx_gt_i32_e64 s6, v0
	s_cbranch_execz .LBB25_5
; %bb.2:
	s_clause 0x3
	s_load_b128 s[8:11], s[0:1], 0x20
	s_load_b64 s[2:3], s[0:1], 0x40
	s_load_b32 s4, s[0:1], 0x18
	s_load_b96 s[16:18], s[0:1], 0x30
	v_mov_b32_e32 v1, v3
	s_load_b128 s[12:15], s[0:1], 0x8
	s_wait_kmcnt 0x0
	v_mul_u64_e32 v[4:5], s[8:9], v[2:3]
	v_mul_u64_e32 v[6:7], s[2:3], v[2:3]
	s_ashr_i32 s5, s4, 31
	s_ashr_i32 s9, s18, 31
	s_mov_b32 s8, s18
	v_mul_u64_e32 v[8:9], s[4:5], v[0:1]
	v_mul_u64_e32 v[10:11], s[8:9], v[0:1]
	s_lshl_b64 s[2:3], s[14:15], 3
	s_lshl_b64 s[14:15], s[16:17], 3
	s_add_nc_u64 s[2:3], s[12:13], s[2:3]
	s_add_nc_u64 s[10:11], s[10:11], s[14:15]
	v_mov_b32_e32 v1, v0
	v_lshlrev_b64_e32 v[4:5], 3, v[4:5]
	v_lshlrev_b64_e32 v[6:7], 3, v[6:7]
	s_delay_alu instid0(VALU_DEP_2) | instskip(NEXT) | instid1(VALU_DEP_2)
	v_lshl_add_u64 v[4:5], v[8:9], 3, v[4:5]
	v_lshl_add_u64 v[8:9], v[10:11], 3, v[6:7]
	s_delay_alu instid0(VALU_DEP_2) | instskip(NEXT) | instid1(VALU_DEP_2)
	v_add_nc_u64_e32 v[6:7], s[2:3], v[4:5]
	v_add_nc_u64_e32 v[8:9], s[10:11], v[8:9]
	v_mov_b64_e32 v[4:5], 0
	s_lshl_b64 s[2:3], s[4:5], 9
	s_lshl_b64 s[4:5], s[8:9], 9
	s_mov_b32 s8, 0
.LBB25_3:                               ; =>This Inner Loop Header: Depth=1
	global_load_b64 v[10:11], v[6:7], off
	global_load_b64 v[12:13], v[8:9], off
	v_add_nc_u32_e32 v1, 64, v1
	s_wait_xcnt 0x1
	v_add_nc_u64_e32 v[6:7], s[2:3], v[6:7]
	s_wait_xcnt 0x0
	v_add_nc_u64_e32 v[8:9], s[4:5], v[8:9]
	v_cmp_le_i32_e32 vcc_lo, s6, v1
	s_or_b32 s8, vcc_lo, s8
	s_wait_loadcnt 0x0
	v_fmac_f64_e32 v[4:5], v[10:11], v[12:13]
	s_and_not1_b32 exec_lo, exec_lo, s8
	s_cbranch_execnz .LBB25_3
; %bb.4:
	s_or_b32 exec_lo, exec_lo, s8
.LBB25_5:
	s_delay_alu instid0(SALU_CYCLE_1) | instskip(SKIP_4) | instid1(VALU_DEP_1)
	s_or_b32 exec_lo, exec_lo, s7
	v_mbcnt_lo_u32_b32 v1, -1, 0
	s_load_b64 s[0:1], s[0:1], 0x50
	s_barrier_signal -1
	s_barrier_wait -1
	v_lshlrev_b32_e32 v8, 2, v1
	v_cmp_gt_u32_e32 vcc_lo, 24, v1
	ds_bpermute_b32 v6, v8, v4
	ds_bpermute_b32 v7, v8, v5
	s_wait_dscnt 0x0
	v_dual_add_f64 v[4:5], v[4:5], v[6:7] :: v_dual_bitop2_b32 v7, 64, v8 bitop3:0x54
	ds_bpermute_b32 v6, v7, v4
	ds_bpermute_b32 v7, v7, v5
	s_wait_dscnt 0x0
	v_add_f64_e32 v[4:5], v[4:5], v[6:7]
	v_cndmask_b32_e64 v6, 0, 8, vcc_lo
	v_cmp_gt_u32_e32 vcc_lo, 28, v1
	s_delay_alu instid0(VALU_DEP_2)
	v_add_lshl_u32 v7, v6, v1, 2
	ds_bpermute_b32 v6, v7, v4
	ds_bpermute_b32 v7, v7, v5
	s_wait_dscnt 0x0
	v_add_f64_e32 v[4:5], v[4:5], v[6:7]
	v_cndmask_b32_e64 v6, 0, 4, vcc_lo
	v_cmp_gt_u32_e32 vcc_lo, 30, v1
	s_delay_alu instid0(VALU_DEP_2)
	v_add_lshl_u32 v7, v6, v1, 2
	ds_bpermute_b32 v6, v7, v4
	ds_bpermute_b32 v7, v7, v5
	s_wait_dscnt 0x0
	v_add_f64_e32 v[4:5], v[4:5], v[6:7]
	v_cndmask_b32_e64 v6, 0, 2, vcc_lo
	v_cmp_ne_u32_e32 vcc_lo, 31, v1
	s_delay_alu instid0(VALU_DEP_2) | instskip(SKIP_2) | instid1(VALU_DEP_2)
	v_add_lshl_u32 v7, v6, v1, 2
	v_add_co_ci_u32_e64 v1, null, 0, v1, vcc_lo
	v_cmp_eq_u32_e32 vcc_lo, 0, v0
	v_lshlrev_b32_e32 v1, 2, v1
	ds_bpermute_b32 v6, v7, v4
	ds_bpermute_b32 v7, v7, v5
	s_wait_dscnt 0x0
	v_add_f64_e32 v[4:5], v[4:5], v[6:7]
	ds_bpermute_b32 v6, v1, v4
	ds_bpermute_b32 v7, v1, v5
	s_and_b32 exec_lo, exec_lo, vcc_lo
	s_cbranch_execz .LBB25_7
; %bb.6:
	s_wait_dscnt 0x0
	v_add_f64_e32 v[0:1], v[4:5], v[6:7]
	s_wait_kmcnt 0x0
	v_lshl_add_u64 v[2:3], v[2:3], 3, s[0:1]
	global_store_b64 v[2:3], v[0:1], off
.LBB25_7:
	s_endpgm
	.section	.rodata,"a",@progbits
	.p2align	6, 0x0
	.amdhsa_kernel _ZL28rocblas_dot_batched_4_kernelIiLi64ELi4ELb0EddPKdEviT5_lT_lS2_lS3_liPT4_
		.amdhsa_group_segment_fixed_size 0
		.amdhsa_private_segment_fixed_size 0
		.amdhsa_kernarg_size 88
		.amdhsa_user_sgpr_count 2
		.amdhsa_user_sgpr_dispatch_ptr 0
		.amdhsa_user_sgpr_queue_ptr 0
		.amdhsa_user_sgpr_kernarg_segment_ptr 1
		.amdhsa_user_sgpr_dispatch_id 0
		.amdhsa_user_sgpr_kernarg_preload_length 0
		.amdhsa_user_sgpr_kernarg_preload_offset 0
		.amdhsa_user_sgpr_private_segment_size 0
		.amdhsa_wavefront_size32 1
		.amdhsa_uses_dynamic_stack 0
		.amdhsa_enable_private_segment 0
		.amdhsa_system_sgpr_workgroup_id_x 1
		.amdhsa_system_sgpr_workgroup_id_y 0
		.amdhsa_system_sgpr_workgroup_id_z 0
		.amdhsa_system_sgpr_workgroup_info 0
		.amdhsa_system_vgpr_workitem_id 1
		.amdhsa_next_free_vgpr 14
		.amdhsa_next_free_sgpr 19
		.amdhsa_named_barrier_count 0
		.amdhsa_reserve_vcc 1
		.amdhsa_float_round_mode_32 0
		.amdhsa_float_round_mode_16_64 0
		.amdhsa_float_denorm_mode_32 3
		.amdhsa_float_denorm_mode_16_64 3
		.amdhsa_fp16_overflow 0
		.amdhsa_memory_ordered 1
		.amdhsa_forward_progress 1
		.amdhsa_inst_pref_size 6
		.amdhsa_round_robin_scheduling 0
		.amdhsa_exception_fp_ieee_invalid_op 0
		.amdhsa_exception_fp_denorm_src 0
		.amdhsa_exception_fp_ieee_div_zero 0
		.amdhsa_exception_fp_ieee_overflow 0
		.amdhsa_exception_fp_ieee_underflow 0
		.amdhsa_exception_fp_ieee_inexact 0
		.amdhsa_exception_int_div_zero 0
	.end_amdhsa_kernel
	.section	.text._ZL28rocblas_dot_batched_4_kernelIiLi64ELi4ELb0EddPKdEviT5_lT_lS2_lS3_liPT4_,"axG",@progbits,_ZL28rocblas_dot_batched_4_kernelIiLi64ELi4ELb0EddPKdEviT5_lT_lS2_lS3_liPT4_,comdat
.Lfunc_end25:
	.size	_ZL28rocblas_dot_batched_4_kernelIiLi64ELi4ELb0EddPKdEviT5_lT_lS2_lS3_liPT4_, .Lfunc_end25-_ZL28rocblas_dot_batched_4_kernelIiLi64ELi4ELb0EddPKdEviT5_lT_lS2_lS3_liPT4_
                                        ; -- End function
	.set _ZL28rocblas_dot_batched_4_kernelIiLi64ELi4ELb0EddPKdEviT5_lT_lS2_lS3_liPT4_.num_vgpr, 14
	.set _ZL28rocblas_dot_batched_4_kernelIiLi64ELi4ELb0EddPKdEviT5_lT_lS2_lS3_liPT4_.num_agpr, 0
	.set _ZL28rocblas_dot_batched_4_kernelIiLi64ELi4ELb0EddPKdEviT5_lT_lS2_lS3_liPT4_.numbered_sgpr, 19
	.set _ZL28rocblas_dot_batched_4_kernelIiLi64ELi4ELb0EddPKdEviT5_lT_lS2_lS3_liPT4_.num_named_barrier, 0
	.set _ZL28rocblas_dot_batched_4_kernelIiLi64ELi4ELb0EddPKdEviT5_lT_lS2_lS3_liPT4_.private_seg_size, 0
	.set _ZL28rocblas_dot_batched_4_kernelIiLi64ELi4ELb0EddPKdEviT5_lT_lS2_lS3_liPT4_.uses_vcc, 1
	.set _ZL28rocblas_dot_batched_4_kernelIiLi64ELi4ELb0EddPKdEviT5_lT_lS2_lS3_liPT4_.uses_flat_scratch, 0
	.set _ZL28rocblas_dot_batched_4_kernelIiLi64ELi4ELb0EddPKdEviT5_lT_lS2_lS3_liPT4_.has_dyn_sized_stack, 0
	.set _ZL28rocblas_dot_batched_4_kernelIiLi64ELi4ELb0EddPKdEviT5_lT_lS2_lS3_liPT4_.has_recursion, 0
	.set _ZL28rocblas_dot_batched_4_kernelIiLi64ELi4ELb0EddPKdEviT5_lT_lS2_lS3_liPT4_.has_indirect_call, 0
	.section	.AMDGPU.csdata,"",@progbits
; Kernel info:
; codeLenInByte = 676
; TotalNumSgprs: 21
; NumVgprs: 14
; ScratchSize: 0
; MemoryBound: 0
; FloatMode: 240
; IeeeMode: 1
; LDSByteSize: 0 bytes/workgroup (compile time only)
; SGPRBlocks: 0
; VGPRBlocks: 0
; NumSGPRsForWavesPerEU: 21
; NumVGPRsForWavesPerEU: 14
; NamedBarCnt: 0
; Occupancy: 16
; WaveLimiterHint : 0
; COMPUTE_PGM_RSRC2:SCRATCH_EN: 0
; COMPUTE_PGM_RSRC2:USER_SGPR: 2
; COMPUTE_PGM_RSRC2:TRAP_HANDLER: 0
; COMPUTE_PGM_RSRC2:TGID_X_EN: 1
; COMPUTE_PGM_RSRC2:TGID_Y_EN: 0
; COMPUTE_PGM_RSRC2:TGID_Z_EN: 0
; COMPUTE_PGM_RSRC2:TIDIG_COMP_CNT: 1
	.section	.text._ZL26rocblas_dot_kernel_inc1by2ILb1ELi1024ELi32ELb0EdPKddEviT4_llS2_lliPT5_PT3_,"axG",@progbits,_ZL26rocblas_dot_kernel_inc1by2ILb1ELi1024ELi32ELb0EdPKddEviT4_llS2_lliPT5_PT3_,comdat
	.globl	_ZL26rocblas_dot_kernel_inc1by2ILb1ELi1024ELi32ELb0EdPKddEviT4_llS2_lliPT5_PT3_ ; -- Begin function _ZL26rocblas_dot_kernel_inc1by2ILb1ELi1024ELi32ELb0EdPKddEviT4_llS2_lliPT5_PT3_
	.p2align	8
	.type	_ZL26rocblas_dot_kernel_inc1by2ILb1ELi1024ELi32ELb0EdPKddEviT4_llS2_lliPT5_PT3_,@function
_ZL26rocblas_dot_kernel_inc1by2ILb1ELi1024ELi32ELb0EdPKddEviT4_llS2_lliPT5_PT3_: ; @_ZL26rocblas_dot_kernel_inc1by2ILb1ELi1024ELi32ELb0EdPKddEviT4_llS2_lliPT5_PT3_
; %bb.0:
	s_load_b32 s3, s[0:1], 0x38
	s_bfe_u32 s2, ttmp6, 0x40014
	s_lshr_b32 s4, ttmp7, 16
	s_add_co_i32 s2, s2, 1
	s_bfe_u32 s5, ttmp6, 0x40008
	s_mul_i32 s2, s4, s2
	s_getreg_b32 s6, hwreg(HW_REG_IB_STS2, 6, 4)
	s_add_co_i32 s5, s5, s2
	s_cmp_eq_u32 s6, 0
	s_mov_b32 s9, 0
	s_cselect_b32 s8, s4, s5
	s_wait_kmcnt 0x0
	s_cmp_ge_u32 s8, s3
	s_cbranch_scc1 .LBB26_17
; %bb.1:
	v_mbcnt_lo_u32_b32 v2, -1, 0
	s_clause 0x5
	s_load_b64 s[18:19], s[0:1], 0x8
	s_load_b32 s16, s[0:1], 0x0
	s_load_b64 s[20:21], s[0:1], 0x20
	s_load_b128 s[4:7], s[0:1], 0x10
	s_load_b64 s[10:11], s[0:1], 0x48
	s_load_b128 s[12:15], s[0:1], 0x28
	v_and_b32_e32 v1, 31, v0
	s_wait_xcnt 0x0
	v_cmp_eq_u32_e64 s1, 0, v0
	v_cmp_gt_u32_e64 s0, 24, v2
	v_lshl_or_b32 v11, v2, 2, 64
	v_mov_b32_e32 v17, 0
	v_cmp_gt_u32_e32 vcc_lo, 32, v0
	s_delay_alu instid0(VALU_DEP_4) | instskip(SKIP_1) | instid1(VALU_DEP_2)
	v_cndmask_b32_e64 v3, 0, 8, s0
	v_cmp_gt_u32_e64 s0, 28, v2
	v_add_lshl_u32 v12, v3, v2, 2
	s_delay_alu instid0(VALU_DEP_2) | instskip(SKIP_2) | instid1(VALU_DEP_3)
	v_cndmask_b32_e64 v4, 0, 4, s0
	v_cmp_gt_u32_e64 s0, 30, v2
	v_lshrrev_b32_e32 v3, 2, v0
	v_add_lshl_u32 v13, v4, v2, 2
	s_delay_alu instid0(VALU_DEP_3) | instskip(SKIP_1) | instid1(VALU_DEP_4)
	v_cndmask_b32_e64 v5, 0, 2, s0
	v_cmp_ne_u32_e64 s0, 31, v2
	v_and_b32_e32 v16, 0xf8, v3
	s_wait_kmcnt 0x0
	s_lshl_b64 s[12:13], s[12:13], 3
	s_lshl_b64 s[6:7], s[6:7], 3
	v_add_lshl_u32 v14, v5, v2, 2
	v_add_co_ci_u32_e64 v6, null, 0, v2, s0
	v_mov_b64_e32 v[2:3], 0
	v_lshlrev_b32_e32 v10, 3, v1
	v_cmp_eq_u32_e64 s0, 0, v1
	s_delay_alu instid0(VALU_DEP_4)
	v_lshlrev_b32_e32 v15, 2, v6
	s_add_nc_u64 s[12:13], s[20:21], s[12:13]
	s_lshl_b64 s[20:21], s[4:5], 3
	s_lshl_b64 s[4:5], s[14:15], 3
	s_add_nc_u64 s[14:15], s[18:19], s[20:21]
	s_branch .LBB26_3
.LBB26_2:                               ;   in Loop: Header=BB26_3 Depth=1
	s_wait_xcnt 0x0
	s_or_b32 exec_lo, exec_lo, s2
	s_add_co_i32 s8, s8, 0x10000
	s_delay_alu instid0(SALU_CYCLE_1)
	s_cmp_lt_u32 s8, s3
	s_cbranch_scc0 .LBB26_17
.LBB26_3:                               ; =>This Loop Header: Depth=1
                                        ;     Child Loop BB26_5 Depth 2
	s_wait_dscnt 0x0
	v_mov_b64_e32 v[4:5], 0
	s_mov_b32 s17, exec_lo
	v_cmpx_gt_i32_e64 s16, v0
	s_cbranch_execz .LBB26_7
; %bb.4:                                ;   in Loop: Header=BB26_3 Depth=1
	v_ashrrev_i32_e32 v1, 31, v0
	s_mul_u64 s[18:19], s[4:5], s[8:9]
	s_mul_u64 s[20:21], s[6:7], s[8:9]
	s_add_nc_u64 s[18:19], s[12:13], s[18:19]
	s_add_nc_u64 s[20:21], s[14:15], s[20:21]
	v_lshlrev_b64_e32 v[4:5], 3, v[0:1]
	s_delay_alu instid0(VALU_DEP_1)
	v_add_nc_u64_e32 v[6:7], s[18:19], v[4:5]
	v_add_nc_u64_e32 v[8:9], s[20:21], v[4:5]
	v_mov_b64_e32 v[4:5], 0
	s_mov_b32 s18, 0
	s_mov_b32 s19, 0
.LBB26_5:                               ;   Parent Loop BB26_3 Depth=1
                                        ; =>  This Inner Loop Header: Depth=2
	global_load_b64 v[18:19], v[6:7], off
	global_load_b64 v[20:21], v[8:9], off
	v_add_nc_u32_e32 v0, 0x400, v0
	s_add_co_i32 s20, s19, 1
	s_cmp_gt_u32 s19, 30
	s_wait_xcnt 0x1
	v_add_nc_u64_e32 v[6:7], 0x2000, v[6:7]
	s_cselect_b32 s19, -1, 0
	v_cmp_le_i32_e64 s2, s16, v0
	s_wait_xcnt 0x0
	v_add_nc_u64_e32 v[8:9], 0x2000, v[8:9]
	s_or_b32 s2, s19, s2
	s_mov_b32 s19, s20
	s_and_b32 s2, exec_lo, s2
	s_delay_alu instid0(SALU_CYCLE_1)
	s_or_b32 s18, s2, s18
	s_wait_loadcnt 0x0
	v_fmac_f64_e32 v[4:5], v[18:19], v[20:21]
	s_and_not1_b32 exec_lo, exec_lo, s18
	s_cbranch_execnz .LBB26_5
; %bb.6:                                ;   in Loop: Header=BB26_3 Depth=1
	s_or_b32 exec_lo, exec_lo, s18
.LBB26_7:                               ;   in Loop: Header=BB26_3 Depth=1
	s_delay_alu instid0(SALU_CYCLE_1)
	s_or_b32 exec_lo, exec_lo, s17
	s_and_saveexec_b32 s2, vcc_lo
; %bb.8:                                ;   in Loop: Header=BB26_3 Depth=1
	ds_store_b64 v10, v[2:3]
; %bb.9:                                ;   in Loop: Header=BB26_3 Depth=1
	s_or_b32 exec_lo, exec_lo, s2
	ds_bpermute_b32 v6, v11, v4
	ds_bpermute_b32 v7, v11, v5
	s_wait_dscnt 0x0
	s_barrier_signal -1
	s_barrier_wait -1
	v_add_f64_e32 v[4:5], v[4:5], v[6:7]
	ds_bpermute_b32 v6, v12, v4
	ds_bpermute_b32 v7, v12, v5
	s_wait_dscnt 0x0
	v_add_f64_e32 v[4:5], v[4:5], v[6:7]
	ds_bpermute_b32 v6, v13, v4
	ds_bpermute_b32 v7, v13, v5
	s_wait_dscnt 0x0
	;; [unrolled: 4-line block ×3, first 2 shown]
	v_add_f64_e32 v[4:5], v[4:5], v[6:7]
	ds_bpermute_b32 v6, v15, v4
	ds_bpermute_b32 v7, v15, v5
	s_and_saveexec_b32 s2, s0
	s_cbranch_execz .LBB26_11
; %bb.10:                               ;   in Loop: Header=BB26_3 Depth=1
	s_wait_dscnt 0x0
	v_add_f64_e32 v[4:5], v[4:5], v[6:7]
	ds_store_b64 v16, v[4:5]
.LBB26_11:                              ;   in Loop: Header=BB26_3 Depth=1
	s_or_b32 exec_lo, exec_lo, s2
	v_mov_b64_e32 v[4:5], 0
	s_wait_dscnt 0x0
	s_barrier_signal -1
	s_barrier_wait -1
	s_and_saveexec_b32 s2, vcc_lo
	s_cbranch_execnz .LBB26_14
; %bb.12:                               ;   in Loop: Header=BB26_3 Depth=1
	s_or_b32 exec_lo, exec_lo, s2
	s_and_saveexec_b32 s2, vcc_lo
	s_cbranch_execnz .LBB26_15
.LBB26_13:                              ;   in Loop: Header=BB26_3 Depth=1
	s_or_b32 exec_lo, exec_lo, s2
	s_and_saveexec_b32 s2, s1
	s_cbranch_execz .LBB26_2
	s_branch .LBB26_16
.LBB26_14:                              ;   in Loop: Header=BB26_3 Depth=1
	ds_load_b64 v[4:5], v10
	s_or_b32 exec_lo, exec_lo, s2
	s_and_saveexec_b32 s2, vcc_lo
	s_cbranch_execz .LBB26_13
.LBB26_15:                              ;   in Loop: Header=BB26_3 Depth=1
	s_wait_dscnt 0x0
	ds_bpermute_b32 v6, v11, v4
	ds_bpermute_b32 v7, v11, v5
	s_wait_dscnt 0x0
	v_add_f64_e32 v[4:5], v[4:5], v[6:7]
	ds_bpermute_b32 v6, v12, v4
	ds_bpermute_b32 v7, v12, v5
	s_wait_dscnt 0x0
	v_add_f64_e32 v[4:5], v[4:5], v[6:7]
	;; [unrolled: 4-line block ×5, first 2 shown]
	s_or_b32 exec_lo, exec_lo, s2
	s_and_saveexec_b32 s2, s1
	s_cbranch_execz .LBB26_2
.LBB26_16:                              ;   in Loop: Header=BB26_3 Depth=1
	s_lshl_b64 s[18:19], s[8:9], 3
	s_delay_alu instid0(SALU_CYCLE_1)
	s_add_nc_u64 s[18:19], s[10:11], s[18:19]
	s_wait_dscnt 0x0
	global_store_b64 v17, v[4:5], s[18:19]
	s_branch .LBB26_2
.LBB26_17:
	s_endpgm
	.section	.rodata,"a",@progbits
	.p2align	6, 0x0
	.amdhsa_kernel _ZL26rocblas_dot_kernel_inc1by2ILb1ELi1024ELi32ELb0EdPKddEviT4_llS2_lliPT5_PT3_
		.amdhsa_group_segment_fixed_size 256
		.amdhsa_private_segment_fixed_size 0
		.amdhsa_kernarg_size 80
		.amdhsa_user_sgpr_count 2
		.amdhsa_user_sgpr_dispatch_ptr 0
		.amdhsa_user_sgpr_queue_ptr 0
		.amdhsa_user_sgpr_kernarg_segment_ptr 1
		.amdhsa_user_sgpr_dispatch_id 0
		.amdhsa_user_sgpr_kernarg_preload_length 0
		.amdhsa_user_sgpr_kernarg_preload_offset 0
		.amdhsa_user_sgpr_private_segment_size 0
		.amdhsa_wavefront_size32 1
		.amdhsa_uses_dynamic_stack 0
		.amdhsa_enable_private_segment 0
		.amdhsa_system_sgpr_workgroup_id_x 1
		.amdhsa_system_sgpr_workgroup_id_y 0
		.amdhsa_system_sgpr_workgroup_id_z 1
		.amdhsa_system_sgpr_workgroup_info 0
		.amdhsa_system_vgpr_workitem_id 0
		.amdhsa_next_free_vgpr 22
		.amdhsa_next_free_sgpr 22
		.amdhsa_named_barrier_count 0
		.amdhsa_reserve_vcc 1
		.amdhsa_float_round_mode_32 0
		.amdhsa_float_round_mode_16_64 0
		.amdhsa_float_denorm_mode_32 3
		.amdhsa_float_denorm_mode_16_64 3
		.amdhsa_fp16_overflow 0
		.amdhsa_memory_ordered 1
		.amdhsa_forward_progress 1
		.amdhsa_inst_pref_size 8
		.amdhsa_round_robin_scheduling 0
		.amdhsa_exception_fp_ieee_invalid_op 0
		.amdhsa_exception_fp_denorm_src 0
		.amdhsa_exception_fp_ieee_div_zero 0
		.amdhsa_exception_fp_ieee_overflow 0
		.amdhsa_exception_fp_ieee_underflow 0
		.amdhsa_exception_fp_ieee_inexact 0
		.amdhsa_exception_int_div_zero 0
	.end_amdhsa_kernel
	.section	.text._ZL26rocblas_dot_kernel_inc1by2ILb1ELi1024ELi32ELb0EdPKddEviT4_llS2_lliPT5_PT3_,"axG",@progbits,_ZL26rocblas_dot_kernel_inc1by2ILb1ELi1024ELi32ELb0EdPKddEviT4_llS2_lliPT5_PT3_,comdat
.Lfunc_end26:
	.size	_ZL26rocblas_dot_kernel_inc1by2ILb1ELi1024ELi32ELb0EdPKddEviT4_llS2_lliPT5_PT3_, .Lfunc_end26-_ZL26rocblas_dot_kernel_inc1by2ILb1ELi1024ELi32ELb0EdPKddEviT4_llS2_lliPT5_PT3_
                                        ; -- End function
	.set _ZL26rocblas_dot_kernel_inc1by2ILb1ELi1024ELi32ELb0EdPKddEviT4_llS2_lliPT5_PT3_.num_vgpr, 22
	.set _ZL26rocblas_dot_kernel_inc1by2ILb1ELi1024ELi32ELb0EdPKddEviT4_llS2_lliPT5_PT3_.num_agpr, 0
	.set _ZL26rocblas_dot_kernel_inc1by2ILb1ELi1024ELi32ELb0EdPKddEviT4_llS2_lliPT5_PT3_.numbered_sgpr, 22
	.set _ZL26rocblas_dot_kernel_inc1by2ILb1ELi1024ELi32ELb0EdPKddEviT4_llS2_lliPT5_PT3_.num_named_barrier, 0
	.set _ZL26rocblas_dot_kernel_inc1by2ILb1ELi1024ELi32ELb0EdPKddEviT4_llS2_lliPT5_PT3_.private_seg_size, 0
	.set _ZL26rocblas_dot_kernel_inc1by2ILb1ELi1024ELi32ELb0EdPKddEviT4_llS2_lliPT5_PT3_.uses_vcc, 1
	.set _ZL26rocblas_dot_kernel_inc1by2ILb1ELi1024ELi32ELb0EdPKddEviT4_llS2_lliPT5_PT3_.uses_flat_scratch, 0
	.set _ZL26rocblas_dot_kernel_inc1by2ILb1ELi1024ELi32ELb0EdPKddEviT4_llS2_lliPT5_PT3_.has_dyn_sized_stack, 0
	.set _ZL26rocblas_dot_kernel_inc1by2ILb1ELi1024ELi32ELb0EdPKddEviT4_llS2_lliPT5_PT3_.has_recursion, 0
	.set _ZL26rocblas_dot_kernel_inc1by2ILb1ELi1024ELi32ELb0EdPKddEviT4_llS2_lliPT5_PT3_.has_indirect_call, 0
	.section	.AMDGPU.csdata,"",@progbits
; Kernel info:
; codeLenInByte = 960
; TotalNumSgprs: 24
; NumVgprs: 22
; ScratchSize: 0
; MemoryBound: 0
; FloatMode: 240
; IeeeMode: 1
; LDSByteSize: 256 bytes/workgroup (compile time only)
; SGPRBlocks: 0
; VGPRBlocks: 1
; NumSGPRsForWavesPerEU: 24
; NumVGPRsForWavesPerEU: 22
; NamedBarCnt: 0
; Occupancy: 16
; WaveLimiterHint : 0
; COMPUTE_PGM_RSRC2:SCRATCH_EN: 0
; COMPUTE_PGM_RSRC2:USER_SGPR: 2
; COMPUTE_PGM_RSRC2:TRAP_HANDLER: 0
; COMPUTE_PGM_RSRC2:TGID_X_EN: 1
; COMPUTE_PGM_RSRC2:TGID_Y_EN: 0
; COMPUTE_PGM_RSRC2:TGID_Z_EN: 1
; COMPUTE_PGM_RSRC2:TIDIG_COMP_CNT: 0
	.section	.text._ZL18rocblas_dot_kernelIiLb1ELi1024ELi32ELb0EdPKddEviT5_lT_lS2_lS3_liPT6_PT4_,"axG",@progbits,_ZL18rocblas_dot_kernelIiLb1ELi1024ELi32ELb0EdPKddEviT5_lT_lS2_lS3_liPT6_PT4_,comdat
	.globl	_ZL18rocblas_dot_kernelIiLb1ELi1024ELi32ELb0EdPKddEviT5_lT_lS2_lS3_liPT6_PT4_ ; -- Begin function _ZL18rocblas_dot_kernelIiLb1ELi1024ELi32ELb0EdPKddEviT5_lT_lS2_lS3_liPT6_PT4_
	.p2align	8
	.type	_ZL18rocblas_dot_kernelIiLb1ELi1024ELi32ELb0EdPKddEviT5_lT_lS2_lS3_liPT6_PT4_,@function
_ZL18rocblas_dot_kernelIiLb1ELi1024ELi32ELb0EdPKddEviT5_lT_lS2_lS3_liPT6_PT4_: ; @_ZL18rocblas_dot_kernelIiLb1ELi1024ELi32ELb0EdPKddEviT5_lT_lS2_lS3_liPT6_PT4_
; %bb.0:
	s_load_b32 s3, s[0:1], 0x48
	s_bfe_u32 s2, ttmp6, 0x40014
	s_lshr_b32 s4, ttmp7, 16
	s_add_co_i32 s2, s2, 1
	s_bfe_u32 s5, ttmp6, 0x40008
	s_mul_i32 s2, s4, s2
	s_getreg_b32 s6, hwreg(HW_REG_IB_STS2, 6, 4)
	s_add_co_i32 s5, s5, s2
	s_cmp_eq_u32 s6, 0
	s_mov_b32 s17, 0
	s_cselect_b32 s16, s4, s5
	s_wait_kmcnt 0x0
	s_cmp_ge_u32 s16, s3
	s_cbranch_scc1 .LBB27_17
; %bb.1:
	v_mbcnt_lo_u32_b32 v3, -1, 0
	s_clause 0x6
	s_load_b32 s24, s[0:1], 0x18
	s_load_b96 s[12:14], s[0:1], 0x30
	s_load_b96 s[8:10], s[0:1], 0x58
	s_load_b128 s[4:7], s[0:1], 0x20
	s_load_b128 s[20:23], s[0:1], 0x8
	s_load_b32 s26, s[0:1], 0x0
	s_load_b64 s[28:29], s[0:1], 0x40
	v_and_b32_e32 v2, 31, v0
	s_wait_xcnt 0x0
	v_cmp_eq_u32_e64 s1, 0, v0
	v_cmp_gt_u32_e64 s0, 24, v3
	v_lshl_or_b32 v10, v3, 2, 64
	v_mov_b32_e32 v16, 0
	v_cmp_gt_u32_e32 vcc_lo, 32, v0
	s_delay_alu instid0(VALU_DEP_4) | instskip(SKIP_1) | instid1(VALU_DEP_2)
	v_cndmask_b32_e64 v4, 0, 8, s0
	v_cmp_gt_u32_e64 s0, 28, v3
	v_add_lshl_u32 v11, v4, v3, 2
	s_delay_alu instid0(VALU_DEP_2)
	v_cndmask_b32_e64 v5, 0, 4, s0
	v_cmp_gt_u32_e64 s0, 30, v3
	v_lshrrev_b32_e32 v4, 2, v0
	s_wait_kmcnt 0x0
	s_ashr_i32 s25, s24, 31
	s_lshl_b32 s10, s10, 10
	v_add_lshl_u32 v12, v5, v3, 2
	v_cndmask_b32_e64 v6, 0, 2, s0
	v_cmp_ne_u32_e64 s0, 31, v3
	s_ashr_i32 s31, s14, 31
	s_mov_b32 s30, s14
	s_lshl_b64 s[14:15], s[22:23], 3
	v_add_lshl_u32 v13, v6, v3, 2
	v_add_co_ci_u32_e64 v7, null, 0, v3, s0
	v_lshlrev_b32_e32 v1, 3, v2
	v_cmp_eq_u32_e64 s0, 0, v2
	v_mov_b64_e32 v[2:3], 0
	s_ashr_i32 s11, s10, 31
	v_lshlrev_b32_e32 v14, 2, v7
	v_and_b32_e32 v15, 0xf8, v4
	s_add_nc_u64 s[14:15], s[20:21], s[14:15]
	s_lshl_b64 s[18:19], s[24:25], 3
	s_mul_u64 s[20:21], s[24:25], s[10:11]
	s_lshl_b64 s[22:23], s[12:13], 3
	s_mul_u64 s[24:25], s[30:31], s[10:11]
	s_lshl_b64 s[4:5], s[4:5], 3
	s_lshl_b64 s[12:13], s[20:21], 3
	s_add_nc_u64 s[6:7], s[6:7], s[22:23]
	s_lshl_b64 s[20:21], s[30:31], 3
	s_lshl_b64 s[22:23], s[28:29], 3
	;; [unrolled: 1-line block ×3, first 2 shown]
	s_branch .LBB27_3
.LBB27_2:                               ;   in Loop: Header=BB27_3 Depth=1
	s_wait_xcnt 0x0
	s_or_b32 exec_lo, exec_lo, s2
	s_add_co_i32 s16, s16, 0x10000
	s_delay_alu instid0(SALU_CYCLE_1)
	s_cmp_lt_u32 s16, s3
	s_cbranch_scc0 .LBB27_17
.LBB27_3:                               ; =>This Loop Header: Depth=1
                                        ;     Child Loop BB27_5 Depth 2
	s_wait_dscnt 0x0
	v_mov_b64_e32 v[4:5], 0
	s_mov_b32 s11, exec_lo
	v_cmpx_gt_i32_e64 s26, v0
	s_cbranch_execz .LBB27_7
; %bb.4:                                ;   in Loop: Header=BB27_3 Depth=1
	s_mul_u64 s[28:29], s[4:5], s[16:17]
	s_mul_u64 s[30:31], s[22:23], s[16:17]
	s_add_nc_u64 s[28:29], s[14:15], s[28:29]
	s_add_nc_u64 s[30:31], s[6:7], s[30:31]
	v_mad_nc_u64_u32 v[6:7], s18, v0, s[28:29]
	v_mad_nc_u64_u32 v[8:9], s20, v0, s[30:31]
	s_mov_b32 s27, 0
	s_mov_b32 s28, 0
	s_delay_alu instid0(VALU_DEP_2) | instskip(NEXT) | instid1(VALU_DEP_2)
	v_mad_u32 v4, s19, v0, v7
	v_mad_u32 v5, s21, v0, v9
	v_ashrrev_i32_e32 v9, 31, v0
	s_delay_alu instid0(VALU_DEP_1) | instskip(NEXT) | instid1(VALU_DEP_3)
	v_mad_u32 v7, s18, v9, v4
	v_mad_u32 v9, s20, v9, v5
	v_mov_b64_e32 v[4:5], 0
.LBB27_5:                               ;   Parent Loop BB27_3 Depth=1
                                        ; =>  This Inner Loop Header: Depth=2
	global_load_b64 v[18:19], v[8:9], off
	global_load_b64 v[20:21], v[6:7], off
	v_add_nc_u32_e32 v0, s10, v0
	s_add_co_i32 s29, s28, 1
	s_cmp_gt_u32 s28, 30
	s_wait_xcnt 0x0
	v_add_nc_u64_e32 v[6:7], s[12:13], v[6:7]
	s_cselect_b32 s28, -1, 0
	v_cmp_le_i32_e64 s2, s26, v0
	v_add_nc_u64_e32 v[8:9], s[24:25], v[8:9]
	s_or_b32 s2, s28, s2
	s_mov_b32 s28, s29
	s_and_b32 s2, exec_lo, s2
	s_delay_alu instid0(SALU_CYCLE_1)
	s_or_b32 s27, s2, s27
	s_wait_loadcnt 0x0
	v_fmac_f64_e32 v[4:5], v[18:19], v[20:21]
	s_and_not1_b32 exec_lo, exec_lo, s27
	s_cbranch_execnz .LBB27_5
; %bb.6:                                ;   in Loop: Header=BB27_3 Depth=1
	s_or_b32 exec_lo, exec_lo, s27
.LBB27_7:                               ;   in Loop: Header=BB27_3 Depth=1
	s_delay_alu instid0(SALU_CYCLE_1)
	s_or_b32 exec_lo, exec_lo, s11
	s_and_saveexec_b32 s2, vcc_lo
; %bb.8:                                ;   in Loop: Header=BB27_3 Depth=1
	ds_store_b64 v1, v[2:3]
; %bb.9:                                ;   in Loop: Header=BB27_3 Depth=1
	s_or_b32 exec_lo, exec_lo, s2
	ds_bpermute_b32 v6, v10, v4
	ds_bpermute_b32 v7, v10, v5
	s_wait_dscnt 0x0
	s_barrier_signal -1
	s_barrier_wait -1
	v_add_f64_e32 v[4:5], v[4:5], v[6:7]
	ds_bpermute_b32 v6, v11, v4
	ds_bpermute_b32 v7, v11, v5
	s_wait_dscnt 0x0
	v_add_f64_e32 v[4:5], v[4:5], v[6:7]
	ds_bpermute_b32 v6, v12, v4
	ds_bpermute_b32 v7, v12, v5
	s_wait_dscnt 0x0
	;; [unrolled: 4-line block ×3, first 2 shown]
	v_add_f64_e32 v[4:5], v[4:5], v[6:7]
	ds_bpermute_b32 v6, v14, v4
	ds_bpermute_b32 v7, v14, v5
	s_and_saveexec_b32 s2, s0
	s_cbranch_execz .LBB27_11
; %bb.10:                               ;   in Loop: Header=BB27_3 Depth=1
	s_wait_dscnt 0x0
	v_add_f64_e32 v[4:5], v[4:5], v[6:7]
	ds_store_b64 v15, v[4:5]
.LBB27_11:                              ;   in Loop: Header=BB27_3 Depth=1
	s_or_b32 exec_lo, exec_lo, s2
	v_mov_b64_e32 v[4:5], 0
	s_wait_dscnt 0x0
	s_barrier_signal -1
	s_barrier_wait -1
	s_and_saveexec_b32 s2, vcc_lo
	s_cbranch_execnz .LBB27_14
; %bb.12:                               ;   in Loop: Header=BB27_3 Depth=1
	s_or_b32 exec_lo, exec_lo, s2
	s_and_saveexec_b32 s2, vcc_lo
	s_cbranch_execnz .LBB27_15
.LBB27_13:                              ;   in Loop: Header=BB27_3 Depth=1
	s_or_b32 exec_lo, exec_lo, s2
	s_and_saveexec_b32 s2, s1
	s_cbranch_execz .LBB27_2
	s_branch .LBB27_16
.LBB27_14:                              ;   in Loop: Header=BB27_3 Depth=1
	ds_load_b64 v[4:5], v1
	s_or_b32 exec_lo, exec_lo, s2
	s_and_saveexec_b32 s2, vcc_lo
	s_cbranch_execz .LBB27_13
.LBB27_15:                              ;   in Loop: Header=BB27_3 Depth=1
	s_wait_dscnt 0x0
	ds_bpermute_b32 v6, v10, v4
	ds_bpermute_b32 v7, v10, v5
	s_wait_dscnt 0x0
	v_add_f64_e32 v[4:5], v[4:5], v[6:7]
	ds_bpermute_b32 v6, v11, v4
	ds_bpermute_b32 v7, v11, v5
	s_wait_dscnt 0x0
	v_add_f64_e32 v[4:5], v[4:5], v[6:7]
	;; [unrolled: 4-line block ×5, first 2 shown]
	s_or_b32 exec_lo, exec_lo, s2
	s_and_saveexec_b32 s2, s1
	s_cbranch_execz .LBB27_2
.LBB27_16:                              ;   in Loop: Header=BB27_3 Depth=1
	s_lshl_b64 s[28:29], s[16:17], 3
	s_delay_alu instid0(SALU_CYCLE_1)
	s_add_nc_u64 s[28:29], s[8:9], s[28:29]
	s_wait_dscnt 0x0
	global_store_b64 v16, v[4:5], s[28:29]
	s_branch .LBB27_2
.LBB27_17:
	s_endpgm
	.section	.rodata,"a",@progbits
	.p2align	6, 0x0
	.amdhsa_kernel _ZL18rocblas_dot_kernelIiLb1ELi1024ELi32ELb0EdPKddEviT5_lT_lS2_lS3_liPT6_PT4_
		.amdhsa_group_segment_fixed_size 256
		.amdhsa_private_segment_fixed_size 0
		.amdhsa_kernarg_size 352
		.amdhsa_user_sgpr_count 2
		.amdhsa_user_sgpr_dispatch_ptr 0
		.amdhsa_user_sgpr_queue_ptr 0
		.amdhsa_user_sgpr_kernarg_segment_ptr 1
		.amdhsa_user_sgpr_dispatch_id 0
		.amdhsa_user_sgpr_kernarg_preload_length 0
		.amdhsa_user_sgpr_kernarg_preload_offset 0
		.amdhsa_user_sgpr_private_segment_size 0
		.amdhsa_wavefront_size32 1
		.amdhsa_uses_dynamic_stack 0
		.amdhsa_enable_private_segment 0
		.amdhsa_system_sgpr_workgroup_id_x 1
		.amdhsa_system_sgpr_workgroup_id_y 0
		.amdhsa_system_sgpr_workgroup_id_z 1
		.amdhsa_system_sgpr_workgroup_info 0
		.amdhsa_system_vgpr_workitem_id 0
		.amdhsa_next_free_vgpr 22
		.amdhsa_next_free_sgpr 32
		.amdhsa_named_barrier_count 0
		.amdhsa_reserve_vcc 1
		.amdhsa_float_round_mode_32 0
		.amdhsa_float_round_mode_16_64 0
		.amdhsa_float_denorm_mode_32 3
		.amdhsa_float_denorm_mode_16_64 3
		.amdhsa_fp16_overflow 0
		.amdhsa_memory_ordered 1
		.amdhsa_forward_progress 1
		.amdhsa_inst_pref_size 9
		.amdhsa_round_robin_scheduling 0
		.amdhsa_exception_fp_ieee_invalid_op 0
		.amdhsa_exception_fp_denorm_src 0
		.amdhsa_exception_fp_ieee_div_zero 0
		.amdhsa_exception_fp_ieee_overflow 0
		.amdhsa_exception_fp_ieee_underflow 0
		.amdhsa_exception_fp_ieee_inexact 0
		.amdhsa_exception_int_div_zero 0
	.end_amdhsa_kernel
	.section	.text._ZL18rocblas_dot_kernelIiLb1ELi1024ELi32ELb0EdPKddEviT5_lT_lS2_lS3_liPT6_PT4_,"axG",@progbits,_ZL18rocblas_dot_kernelIiLb1ELi1024ELi32ELb0EdPKddEviT5_lT_lS2_lS3_liPT6_PT4_,comdat
.Lfunc_end27:
	.size	_ZL18rocblas_dot_kernelIiLb1ELi1024ELi32ELb0EdPKddEviT5_lT_lS2_lS3_liPT6_PT4_, .Lfunc_end27-_ZL18rocblas_dot_kernelIiLb1ELi1024ELi32ELb0EdPKddEviT5_lT_lS2_lS3_liPT6_PT4_
                                        ; -- End function
	.set _ZL18rocblas_dot_kernelIiLb1ELi1024ELi32ELb0EdPKddEviT5_lT_lS2_lS3_liPT6_PT4_.num_vgpr, 22
	.set _ZL18rocblas_dot_kernelIiLb1ELi1024ELi32ELb0EdPKddEviT5_lT_lS2_lS3_liPT6_PT4_.num_agpr, 0
	.set _ZL18rocblas_dot_kernelIiLb1ELi1024ELi32ELb0EdPKddEviT5_lT_lS2_lS3_liPT6_PT4_.numbered_sgpr, 32
	.set _ZL18rocblas_dot_kernelIiLb1ELi1024ELi32ELb0EdPKddEviT5_lT_lS2_lS3_liPT6_PT4_.num_named_barrier, 0
	.set _ZL18rocblas_dot_kernelIiLb1ELi1024ELi32ELb0EdPKddEviT5_lT_lS2_lS3_liPT6_PT4_.private_seg_size, 0
	.set _ZL18rocblas_dot_kernelIiLb1ELi1024ELi32ELb0EdPKddEviT5_lT_lS2_lS3_liPT6_PT4_.uses_vcc, 1
	.set _ZL18rocblas_dot_kernelIiLb1ELi1024ELi32ELb0EdPKddEviT5_lT_lS2_lS3_liPT6_PT4_.uses_flat_scratch, 0
	.set _ZL18rocblas_dot_kernelIiLb1ELi1024ELi32ELb0EdPKddEviT5_lT_lS2_lS3_liPT6_PT4_.has_dyn_sized_stack, 0
	.set _ZL18rocblas_dot_kernelIiLb1ELi1024ELi32ELb0EdPKddEviT5_lT_lS2_lS3_liPT6_PT4_.has_recursion, 0
	.set _ZL18rocblas_dot_kernelIiLb1ELi1024ELi32ELb0EdPKddEviT5_lT_lS2_lS3_liPT6_PT4_.has_indirect_call, 0
	.section	.AMDGPU.csdata,"",@progbits
; Kernel info:
; codeLenInByte = 1028
; TotalNumSgprs: 34
; NumVgprs: 22
; ScratchSize: 0
; MemoryBound: 0
; FloatMode: 240
; IeeeMode: 1
; LDSByteSize: 256 bytes/workgroup (compile time only)
; SGPRBlocks: 0
; VGPRBlocks: 1
; NumSGPRsForWavesPerEU: 34
; NumVGPRsForWavesPerEU: 22
; NamedBarCnt: 0
; Occupancy: 16
; WaveLimiterHint : 0
; COMPUTE_PGM_RSRC2:SCRATCH_EN: 0
; COMPUTE_PGM_RSRC2:USER_SGPR: 2
; COMPUTE_PGM_RSRC2:TRAP_HANDLER: 0
; COMPUTE_PGM_RSRC2:TGID_X_EN: 1
; COMPUTE_PGM_RSRC2:TGID_Y_EN: 0
; COMPUTE_PGM_RSRC2:TGID_Z_EN: 1
; COMPUTE_PGM_RSRC2:TIDIG_COMP_CNT: 0
	.section	.text._ZL24rocblas_dot_kernel_magsqIiLb1ELi1024ELi32ELb0EdPKddEviT5_lT_liPT6_PT4_,"axG",@progbits,_ZL24rocblas_dot_kernel_magsqIiLb1ELi1024ELi32ELb0EdPKddEviT5_lT_liPT6_PT4_,comdat
	.globl	_ZL24rocblas_dot_kernel_magsqIiLb1ELi1024ELi32ELb0EdPKddEviT5_lT_liPT6_PT4_ ; -- Begin function _ZL24rocblas_dot_kernel_magsqIiLb1ELi1024ELi32ELb0EdPKddEviT5_lT_liPT6_PT4_
	.p2align	8
	.type	_ZL24rocblas_dot_kernel_magsqIiLb1ELi1024ELi32ELb0EdPKddEviT5_lT_liPT6_PT4_,@function
_ZL24rocblas_dot_kernel_magsqIiLb1ELi1024ELi32ELb0EdPKddEviT5_lT_liPT6_PT4_: ; @_ZL24rocblas_dot_kernel_magsqIiLb1ELi1024ELi32ELb0EdPKddEviT5_lT_liPT6_PT4_
; %bb.0:
	s_load_b32 s3, s[0:1], 0x28
	s_bfe_u32 s2, ttmp6, 0x40014
	s_lshr_b32 s4, ttmp7, 16
	s_add_co_i32 s2, s2, 1
	s_bfe_u32 s5, ttmp6, 0x40008
	s_mul_i32 s2, s4, s2
	s_getreg_b32 s6, hwreg(HW_REG_IB_STS2, 6, 4)
	s_add_co_i32 s5, s5, s2
	s_cmp_eq_u32 s6, 0
	s_mov_b32 s9, 0
	s_cselect_b32 s8, s4, s5
	s_wait_kmcnt 0x0
	s_cmp_ge_u32 s8, s3
	s_cbranch_scc1 .LBB28_17
; %bb.1:
	v_mbcnt_lo_u32_b32 v3, -1, 0
	s_clause 0x4
	s_load_b32 s16, s[0:1], 0x18
	s_load_b96 s[4:6], s[0:1], 0x38
	s_load_b128 s[12:15], s[0:1], 0x8
	s_load_b64 s[20:21], s[0:1], 0x20
	s_load_b32 s18, s[0:1], 0x0
	v_and_b32_e32 v2, 31, v0
	s_wait_xcnt 0x0
	v_cmp_eq_u32_e64 s1, 0, v0
	v_cmp_gt_u32_e64 s0, 24, v3
	v_lshl_or_b32 v8, v3, 2, 64
	v_mov_b32_e32 v14, 0
	v_cmp_gt_u32_e32 vcc_lo, 32, v0
	s_delay_alu instid0(VALU_DEP_4) | instskip(SKIP_1) | instid1(VALU_DEP_2)
	v_cndmask_b32_e64 v4, 0, 8, s0
	v_cmp_gt_u32_e64 s0, 28, v3
	v_add_lshl_u32 v9, v4, v3, 2
	s_delay_alu instid0(VALU_DEP_2)
	v_cndmask_b32_e64 v5, 0, 4, s0
	v_cmp_gt_u32_e64 s0, 30, v3
	v_lshrrev_b32_e32 v4, 2, v0
	s_wait_kmcnt 0x0
	s_ashr_i32 s17, s16, 31
	s_lshl_b32 s6, s6, 10
	v_cndmask_b32_e64 v6, 0, 2, s0
	v_cmp_ne_u32_e64 s0, 31, v3
	v_add_lshl_u32 v10, v5, v3, 2
	s_lshl_b64 s[10:11], s[14:15], 3
	s_ashr_i32 s7, s6, 31
	v_add_lshl_u32 v11, v6, v3, 2
	v_add_co_ci_u32_e64 v7, null, 0, v3, s0
	v_lshlrev_b32_e32 v1, 3, v2
	v_cmp_eq_u32_e64 s0, 0, v2
	v_mov_b64_e32 v[2:3], 0
	s_delay_alu instid0(VALU_DEP_4)
	v_lshlrev_b32_e32 v12, 2, v7
	v_and_b32_e32 v13, 0xf8, v4
	s_add_nc_u64 s[10:11], s[12:13], s[10:11]
	s_lshl_b64 s[12:13], s[16:17], 3
	s_mul_u64 s[16:17], s[16:17], s[6:7]
	s_lshl_b64 s[14:15], s[20:21], 3
	s_lshl_b64 s[16:17], s[16:17], 3
	s_branch .LBB28_3
.LBB28_2:                               ;   in Loop: Header=BB28_3 Depth=1
	s_wait_xcnt 0x0
	s_or_b32 exec_lo, exec_lo, s2
	s_add_co_i32 s8, s8, 0x10000
	s_delay_alu instid0(SALU_CYCLE_1)
	s_cmp_lt_u32 s8, s3
	s_cbranch_scc0 .LBB28_17
.LBB28_3:                               ; =>This Loop Header: Depth=1
                                        ;     Child Loop BB28_5 Depth 2
	s_wait_dscnt 0x0
	v_mov_b64_e32 v[4:5], 0
	s_mov_b32 s7, exec_lo
	v_cmpx_gt_i32_e64 s18, v0
	s_cbranch_execz .LBB28_7
; %bb.4:                                ;   in Loop: Header=BB28_3 Depth=1
	s_mul_u64 s[20:21], s[14:15], s[8:9]
	v_ashrrev_i32_e32 v5, 31, v0
	s_add_nc_u64 s[20:21], s[10:11], s[20:21]
	s_mov_b32 s19, 0
	v_mad_nc_u64_u32 v[6:7], s12, v0, s[20:21]
	s_mov_b32 s20, 0
	s_delay_alu instid0(VALU_DEP_1) | instskip(NEXT) | instid1(VALU_DEP_1)
	v_mad_u32 v4, s13, v0, v7
	v_mad_u32 v7, s12, v5, v4
	v_mov_b64_e32 v[4:5], 0
.LBB28_5:                               ;   Parent Loop BB28_3 Depth=1
                                        ; =>  This Inner Loop Header: Depth=2
	global_load_b64 v[16:17], v[6:7], off
	v_add_nc_u32_e32 v0, s6, v0
	s_add_co_i32 s21, s20, 1
	s_cmp_gt_u32 s20, 30
	s_wait_xcnt 0x0
	v_add_nc_u64_e32 v[6:7], s[16:17], v[6:7]
	s_cselect_b32 s20, -1, 0
	v_cmp_le_i32_e64 s2, s18, v0
	s_or_b32 s2, s20, s2
	s_mov_b32 s20, s21
	s_and_b32 s2, exec_lo, s2
	s_delay_alu instid0(SALU_CYCLE_1)
	s_or_b32 s19, s2, s19
	s_wait_loadcnt 0x0
	v_fmac_f64_e32 v[4:5], v[16:17], v[16:17]
	s_and_not1_b32 exec_lo, exec_lo, s19
	s_cbranch_execnz .LBB28_5
; %bb.6:                                ;   in Loop: Header=BB28_3 Depth=1
	s_or_b32 exec_lo, exec_lo, s19
.LBB28_7:                               ;   in Loop: Header=BB28_3 Depth=1
	s_delay_alu instid0(SALU_CYCLE_1)
	s_or_b32 exec_lo, exec_lo, s7
	s_and_saveexec_b32 s2, vcc_lo
; %bb.8:                                ;   in Loop: Header=BB28_3 Depth=1
	ds_store_b64 v1, v[2:3]
; %bb.9:                                ;   in Loop: Header=BB28_3 Depth=1
	s_or_b32 exec_lo, exec_lo, s2
	ds_bpermute_b32 v6, v8, v4
	ds_bpermute_b32 v7, v8, v5
	s_wait_dscnt 0x0
	s_barrier_signal -1
	s_barrier_wait -1
	v_add_f64_e32 v[4:5], v[4:5], v[6:7]
	ds_bpermute_b32 v6, v9, v4
	ds_bpermute_b32 v7, v9, v5
	s_wait_dscnt 0x0
	v_add_f64_e32 v[4:5], v[4:5], v[6:7]
	ds_bpermute_b32 v6, v10, v4
	ds_bpermute_b32 v7, v10, v5
	s_wait_dscnt 0x0
	;; [unrolled: 4-line block ×3, first 2 shown]
	v_add_f64_e32 v[4:5], v[4:5], v[6:7]
	ds_bpermute_b32 v6, v12, v4
	ds_bpermute_b32 v7, v12, v5
	s_and_saveexec_b32 s2, s0
	s_cbranch_execz .LBB28_11
; %bb.10:                               ;   in Loop: Header=BB28_3 Depth=1
	s_wait_dscnt 0x0
	v_add_f64_e32 v[4:5], v[4:5], v[6:7]
	ds_store_b64 v13, v[4:5]
.LBB28_11:                              ;   in Loop: Header=BB28_3 Depth=1
	s_or_b32 exec_lo, exec_lo, s2
	v_mov_b64_e32 v[4:5], 0
	s_wait_dscnt 0x0
	s_barrier_signal -1
	s_barrier_wait -1
	s_and_saveexec_b32 s2, vcc_lo
	s_cbranch_execnz .LBB28_14
; %bb.12:                               ;   in Loop: Header=BB28_3 Depth=1
	s_or_b32 exec_lo, exec_lo, s2
	s_and_saveexec_b32 s2, vcc_lo
	s_cbranch_execnz .LBB28_15
.LBB28_13:                              ;   in Loop: Header=BB28_3 Depth=1
	s_or_b32 exec_lo, exec_lo, s2
	s_and_saveexec_b32 s2, s1
	s_cbranch_execz .LBB28_2
	s_branch .LBB28_16
.LBB28_14:                              ;   in Loop: Header=BB28_3 Depth=1
	ds_load_b64 v[4:5], v1
	s_or_b32 exec_lo, exec_lo, s2
	s_and_saveexec_b32 s2, vcc_lo
	s_cbranch_execz .LBB28_13
.LBB28_15:                              ;   in Loop: Header=BB28_3 Depth=1
	s_wait_dscnt 0x0
	ds_bpermute_b32 v6, v8, v4
	ds_bpermute_b32 v7, v8, v5
	s_wait_dscnt 0x0
	v_add_f64_e32 v[4:5], v[4:5], v[6:7]
	ds_bpermute_b32 v6, v9, v4
	ds_bpermute_b32 v7, v9, v5
	s_wait_dscnt 0x0
	v_add_f64_e32 v[4:5], v[4:5], v[6:7]
	;; [unrolled: 4-line block ×5, first 2 shown]
	s_or_b32 exec_lo, exec_lo, s2
	s_and_saveexec_b32 s2, s1
	s_cbranch_execz .LBB28_2
.LBB28_16:                              ;   in Loop: Header=BB28_3 Depth=1
	s_lshl_b64 s[20:21], s[8:9], 3
	s_delay_alu instid0(SALU_CYCLE_1)
	s_add_nc_u64 s[20:21], s[4:5], s[20:21]
	s_wait_dscnt 0x0
	global_store_b64 v14, v[4:5], s[20:21]
	s_branch .LBB28_2
.LBB28_17:
	s_endpgm
	.section	.rodata,"a",@progbits
	.p2align	6, 0x0
	.amdhsa_kernel _ZL24rocblas_dot_kernel_magsqIiLb1ELi1024ELi32ELb0EdPKddEviT5_lT_liPT6_PT4_
		.amdhsa_group_segment_fixed_size 256
		.amdhsa_private_segment_fixed_size 0
		.amdhsa_kernarg_size 320
		.amdhsa_user_sgpr_count 2
		.amdhsa_user_sgpr_dispatch_ptr 0
		.amdhsa_user_sgpr_queue_ptr 0
		.amdhsa_user_sgpr_kernarg_segment_ptr 1
		.amdhsa_user_sgpr_dispatch_id 0
		.amdhsa_user_sgpr_kernarg_preload_length 0
		.amdhsa_user_sgpr_kernarg_preload_offset 0
		.amdhsa_user_sgpr_private_segment_size 0
		.amdhsa_wavefront_size32 1
		.amdhsa_uses_dynamic_stack 0
		.amdhsa_enable_private_segment 0
		.amdhsa_system_sgpr_workgroup_id_x 1
		.amdhsa_system_sgpr_workgroup_id_y 0
		.amdhsa_system_sgpr_workgroup_id_z 1
		.amdhsa_system_sgpr_workgroup_info 0
		.amdhsa_system_vgpr_workitem_id 0
		.amdhsa_next_free_vgpr 18
		.amdhsa_next_free_sgpr 22
		.amdhsa_named_barrier_count 0
		.amdhsa_reserve_vcc 1
		.amdhsa_float_round_mode_32 0
		.amdhsa_float_round_mode_16_64 0
		.amdhsa_float_denorm_mode_32 3
		.amdhsa_float_denorm_mode_16_64 3
		.amdhsa_fp16_overflow 0
		.amdhsa_memory_ordered 1
		.amdhsa_forward_progress 1
		.amdhsa_inst_pref_size 8
		.amdhsa_round_robin_scheduling 0
		.amdhsa_exception_fp_ieee_invalid_op 0
		.amdhsa_exception_fp_denorm_src 0
		.amdhsa_exception_fp_ieee_div_zero 0
		.amdhsa_exception_fp_ieee_overflow 0
		.amdhsa_exception_fp_ieee_underflow 0
		.amdhsa_exception_fp_ieee_inexact 0
		.amdhsa_exception_int_div_zero 0
	.end_amdhsa_kernel
	.section	.text._ZL24rocblas_dot_kernel_magsqIiLb1ELi1024ELi32ELb0EdPKddEviT5_lT_liPT6_PT4_,"axG",@progbits,_ZL24rocblas_dot_kernel_magsqIiLb1ELi1024ELi32ELb0EdPKddEviT5_lT_liPT6_PT4_,comdat
.Lfunc_end28:
	.size	_ZL24rocblas_dot_kernel_magsqIiLb1ELi1024ELi32ELb0EdPKddEviT5_lT_liPT6_PT4_, .Lfunc_end28-_ZL24rocblas_dot_kernel_magsqIiLb1ELi1024ELi32ELb0EdPKddEviT5_lT_liPT6_PT4_
                                        ; -- End function
	.set _ZL24rocblas_dot_kernel_magsqIiLb1ELi1024ELi32ELb0EdPKddEviT5_lT_liPT6_PT4_.num_vgpr, 18
	.set _ZL24rocblas_dot_kernel_magsqIiLb1ELi1024ELi32ELb0EdPKddEviT5_lT_liPT6_PT4_.num_agpr, 0
	.set _ZL24rocblas_dot_kernel_magsqIiLb1ELi1024ELi32ELb0EdPKddEviT5_lT_liPT6_PT4_.numbered_sgpr, 22
	.set _ZL24rocblas_dot_kernel_magsqIiLb1ELi1024ELi32ELb0EdPKddEviT5_lT_liPT6_PT4_.num_named_barrier, 0
	.set _ZL24rocblas_dot_kernel_magsqIiLb1ELi1024ELi32ELb0EdPKddEviT5_lT_liPT6_PT4_.private_seg_size, 0
	.set _ZL24rocblas_dot_kernel_magsqIiLb1ELi1024ELi32ELb0EdPKddEviT5_lT_liPT6_PT4_.uses_vcc, 1
	.set _ZL24rocblas_dot_kernel_magsqIiLb1ELi1024ELi32ELb0EdPKddEviT5_lT_liPT6_PT4_.uses_flat_scratch, 0
	.set _ZL24rocblas_dot_kernel_magsqIiLb1ELi1024ELi32ELb0EdPKddEviT5_lT_liPT6_PT4_.has_dyn_sized_stack, 0
	.set _ZL24rocblas_dot_kernel_magsqIiLb1ELi1024ELi32ELb0EdPKddEviT5_lT_liPT6_PT4_.has_recursion, 0
	.set _ZL24rocblas_dot_kernel_magsqIiLb1ELi1024ELi32ELb0EdPKddEviT5_lT_liPT6_PT4_.has_indirect_call, 0
	.section	.AMDGPU.csdata,"",@progbits
; Kernel info:
; codeLenInByte = 932
; TotalNumSgprs: 24
; NumVgprs: 18
; ScratchSize: 0
; MemoryBound: 0
; FloatMode: 240
; IeeeMode: 1
; LDSByteSize: 256 bytes/workgroup (compile time only)
; SGPRBlocks: 0
; VGPRBlocks: 1
; NumSGPRsForWavesPerEU: 24
; NumVGPRsForWavesPerEU: 18
; NamedBarCnt: 0
; Occupancy: 16
; WaveLimiterHint : 0
; COMPUTE_PGM_RSRC2:SCRATCH_EN: 0
; COMPUTE_PGM_RSRC2:USER_SGPR: 2
; COMPUTE_PGM_RSRC2:TRAP_HANDLER: 0
; COMPUTE_PGM_RSRC2:TGID_X_EN: 1
; COMPUTE_PGM_RSRC2:TGID_Y_EN: 0
; COMPUTE_PGM_RSRC2:TGID_Z_EN: 1
; COMPUTE_PGM_RSRC2:TIDIG_COMP_CNT: 0
	.section	.text._ZL23rocblas_dot_kernel_inc1ILb0ELi512ELi2ELb0EdPKddEviT4_llS2_lliPT5_PT3_,"axG",@progbits,_ZL23rocblas_dot_kernel_inc1ILb0ELi512ELi2ELb0EdPKddEviT4_llS2_lliPT5_PT3_,comdat
	.globl	_ZL23rocblas_dot_kernel_inc1ILb0ELi512ELi2ELb0EdPKddEviT4_llS2_lliPT5_PT3_ ; -- Begin function _ZL23rocblas_dot_kernel_inc1ILb0ELi512ELi2ELb0EdPKddEviT4_llS2_lliPT5_PT3_
	.p2align	8
	.type	_ZL23rocblas_dot_kernel_inc1ILb0ELi512ELi2ELb0EdPKddEviT4_llS2_lliPT5_PT3_,@function
_ZL23rocblas_dot_kernel_inc1ILb0ELi512ELi2ELb0EdPKddEviT4_llS2_lliPT5_PT3_: ; @_ZL23rocblas_dot_kernel_inc1ILb0ELi512ELi2ELb0EdPKddEviT4_llS2_lliPT5_PT3_
; %bb.0:
	s_load_b32 s28, s[0:1], 0x38
	s_bfe_u32 s2, ttmp6, 0x40014
	s_lshr_b32 s3, ttmp7, 16
	s_add_co_i32 s2, s2, 1
	s_bfe_u32 s5, ttmp6, 0x40008
	s_mul_i32 s4, s3, s2
	s_getreg_b32 s2, hwreg(HW_REG_IB_STS2, 6, 4)
	s_add_co_i32 s5, s5, s4
	s_cmp_eq_u32 s2, 0
	s_mov_b32 s17, 0
	s_cselect_b32 s16, s3, s5
	s_wait_kmcnt 0x0
	s_cmp_ge_u32 s16, s28
	s_cbranch_scc1 .LBB29_20
; %bb.1:
	v_mbcnt_lo_u32_b32 v3, -1, 0
	s_clause 0x6
	s_load_b128 s[4:7], s[0:1], 0x10
	s_load_b128 s[8:11], s[0:1], 0x28
	s_load_b64 s[20:21], s[0:1], 0x8
	s_load_b64 s[22:23], s[0:1], 0x20
	s_load_b32 s18, s[0:1], 0x50
	s_load_b128 s[12:15], s[0:1], 0x40
	s_load_b32 s29, s[0:1], 0x0
	s_wait_xcnt 0x0
	s_bfe_u32 s0, ttmp6, 0x4000c
	s_and_b32 s1, ttmp6, 15
	s_add_co_i32 s3, s0, 1
	v_cmp_gt_u32_e32 vcc_lo, 24, v3
	s_mul_i32 s3, ttmp9, s3
	v_and_b32_e32 v1, 31, v0
	s_add_co_i32 s1, s1, s3
	v_cmp_gt_u32_e64 s0, 32, v0
	v_cndmask_b32_e64 v4, 0, 8, vcc_lo
	v_cmp_gt_u32_e32 vcc_lo, 28, v3
	v_cmp_eq_u32_e64 s3, 0, v0
	v_lshl_or_b32 v9, v3, 2, 64
	v_mov_b32_e32 v15, 0
	s_wait_kmcnt 0x0
	s_lshl_b64 s[4:5], s[4:5], 3
	v_cndmask_b32_e64 v5, 0, 4, vcc_lo
	v_cmp_gt_u32_e32 vcc_lo, 30, v3
	s_lshl_b64 s[8:9], s[8:9], 3
	s_cmp_eq_u32 s2, 0
	v_add_lshl_u32 v10, v4, v3, 2
	v_lshrrev_b32_e32 v4, 2, v0
	v_cndmask_b32_e64 v6, 0, 2, vcc_lo
	v_cmp_ne_u32_e32 vcc_lo, 31, v3
	s_add_nc_u64 s[8:9], s[22:23], s[8:9]
	s_cselect_b32 s22, ttmp9, s1
	s_cmp_lg_u32 s18, 1
	v_lshl_or_b32 v2, s22, 9, v0
	v_add_co_ci_u32_e64 v7, null, 0, v3, vcc_lo
	v_lshlrev_b32_e32 v8, 3, v1
	v_cmp_eq_u32_e64 s1, 0, v1
	v_cmp_gt_u32_e64 s2, 16, v0
	v_mov_b64_e32 v[0:1], 0
	s_add_nc_u64 s[4:5], s[20:21], s[4:5]
	s_cselect_b32 s30, -1, 0
	s_lshl_b32 s20, s18, 9
	s_mov_b32 s23, s17
	v_add_lshl_u32 v11, v5, v3, 2
	v_add_lshl_u32 v12, v6, v3, 2
	v_lshlrev_b32_e32 v13, 2, v7
	v_and_b32_e32 v14, 0x78, v4
	s_lshl_b64 s[22:23], s[22:23], 3
	s_ashr_i32 s21, s20, 31
	s_mov_b32 s19, s17
	s_add_nc_u64 s[12:13], s[12:13], s[22:23]
	s_lshl_b64 s[22:23], s[20:21], 3
	s_branch .LBB29_3
.LBB29_2:                               ;   in Loop: Header=BB29_3 Depth=1
	s_wait_xcnt 0x0
	s_or_b32 exec_lo, exec_lo, s21
	s_add_co_i32 s16, s16, 0x10000
	s_delay_alu instid0(SALU_CYCLE_1)
	s_cmp_lt_u32 s16, s28
	s_cbranch_scc0 .LBB29_20
.LBB29_3:                               ; =>This Inner Loop Header: Depth=1
	s_wait_dscnt 0x0
	v_mov_b64_e32 v[4:5], 0
	s_mov_b32 s21, exec_lo
	v_cmpx_gt_i32_e64 s29, v2
	s_cbranch_execz .LBB29_7
; %bb.4:                                ;   in Loop: Header=BB29_3 Depth=1
	s_mul_u64 s[24:25], s[10:11], s[16:17]
	s_mul_u64 s[26:27], s[6:7], s[16:17]
	s_lshl_b64 s[24:25], s[24:25], 3
	s_lshl_b64 s[34:35], s[26:27], 3
	s_add_nc_u64 s[26:27], s[8:9], s[24:25]
	s_add_nc_u64 s[24:25], s[4:5], s[34:35]
	s_clause 0x1
	global_load_b64 v[4:5], v2, s[26:27] scale_offset
	global_load_b64 v[6:7], v2, s[24:25] scale_offset
	s_mov_b32 s31, exec_lo
	s_wait_loadcnt 0x0
	v_fma_f64 v[4:5], v[4:5], v[6:7], 0
	v_add_nc_u32_e32 v6, s20, v2
	s_wait_xcnt 0x0
	s_delay_alu instid0(VALU_DEP_1)
	v_cmpx_gt_i32_e64 s29, v6
	s_cbranch_execz .LBB29_6
; %bb.5:                                ;   in Loop: Header=BB29_3 Depth=1
	v_ashrrev_i32_e32 v3, 31, v2
	v_add_nc_u32_e32 v6, s20, v6
	s_delay_alu instid0(VALU_DEP_2) | instskip(NEXT) | instid1(VALU_DEP_1)
	v_lshlrev_b64_e32 v[2:3], 3, v[2:3]
	v_add_nc_u64_e32 v[16:17], s[26:27], v[2:3]
	v_add_nc_u64_e32 v[2:3], s[24:25], v[2:3]
	s_delay_alu instid0(VALU_DEP_2) | instskip(NEXT) | instid1(VALU_DEP_2)
	v_add_nc_u64_e32 v[16:17], s[22:23], v[16:17]
	v_add_nc_u64_e32 v[2:3], s[22:23], v[2:3]
	global_load_b64 v[18:19], v[16:17], off
	global_load_b64 v[20:21], v[2:3], off
	s_wait_loadcnt 0x0
	v_fmac_f64_e32 v[4:5], v[18:19], v[20:21]
.LBB29_6:                               ;   in Loop: Header=BB29_3 Depth=1
	s_wait_xcnt 0x0
	s_or_b32 exec_lo, exec_lo, s31
	v_mov_b32_e32 v2, v6
.LBB29_7:                               ;   in Loop: Header=BB29_3 Depth=1
	s_or_b32 exec_lo, exec_lo, s21
	s_and_saveexec_b32 s21, s0
; %bb.8:                                ;   in Loop: Header=BB29_3 Depth=1
	ds_store_b64 v8, v[0:1]
; %bb.9:                                ;   in Loop: Header=BB29_3 Depth=1
	s_or_b32 exec_lo, exec_lo, s21
	ds_bpermute_b32 v6, v9, v4
	ds_bpermute_b32 v7, v9, v5
	s_wait_dscnt 0x0
	s_barrier_signal -1
	s_barrier_wait -1
	v_add_f64_e32 v[4:5], v[4:5], v[6:7]
	ds_bpermute_b32 v6, v10, v4
	ds_bpermute_b32 v7, v10, v5
	s_wait_dscnt 0x0
	v_add_f64_e32 v[4:5], v[4:5], v[6:7]
	ds_bpermute_b32 v6, v11, v4
	ds_bpermute_b32 v7, v11, v5
	s_wait_dscnt 0x0
	;; [unrolled: 4-line block ×3, first 2 shown]
	v_add_f64_e32 v[4:5], v[4:5], v[6:7]
	ds_bpermute_b32 v6, v13, v4
	ds_bpermute_b32 v7, v13, v5
	s_and_saveexec_b32 s21, s1
	s_cbranch_execz .LBB29_11
; %bb.10:                               ;   in Loop: Header=BB29_3 Depth=1
	s_wait_dscnt 0x0
	v_add_f64_e32 v[4:5], v[4:5], v[6:7]
	ds_store_b64 v14, v[4:5]
.LBB29_11:                              ;   in Loop: Header=BB29_3 Depth=1
	s_or_b32 exec_lo, exec_lo, s21
	v_mov_b64_e32 v[4:5], 0
	s_wait_dscnt 0x0
	s_barrier_signal -1
	s_barrier_wait -1
	s_and_saveexec_b32 s21, s2
	s_cbranch_execnz .LBB29_14
; %bb.12:                               ;   in Loop: Header=BB29_3 Depth=1
	s_or_b32 exec_lo, exec_lo, s21
	s_and_saveexec_b32 s21, s0
	s_cbranch_execnz .LBB29_15
.LBB29_13:                              ;   in Loop: Header=BB29_3 Depth=1
	s_or_b32 exec_lo, exec_lo, s21
	s_and_saveexec_b32 s21, s3
	s_cbranch_execz .LBB29_2
	s_branch .LBB29_16
.LBB29_14:                              ;   in Loop: Header=BB29_3 Depth=1
	ds_load_b64 v[4:5], v8
	s_or_b32 exec_lo, exec_lo, s21
	s_and_saveexec_b32 s21, s0
	s_cbranch_execz .LBB29_13
.LBB29_15:                              ;   in Loop: Header=BB29_3 Depth=1
	s_wait_dscnt 0x0
	ds_bpermute_b32 v6, v10, v4
	ds_bpermute_b32 v7, v10, v5
	s_wait_dscnt 0x0
	v_add_f64_e32 v[4:5], v[4:5], v[6:7]
	ds_bpermute_b32 v6, v11, v4
	ds_bpermute_b32 v7, v11, v5
	s_wait_dscnt 0x0
	v_add_f64_e32 v[4:5], v[4:5], v[6:7]
	;; [unrolled: 4-line block ×4, first 2 shown]
	s_or_b32 exec_lo, exec_lo, s21
	s_and_saveexec_b32 s21, s3
	s_cbranch_execz .LBB29_2
.LBB29_16:                              ;   in Loop: Header=BB29_3 Depth=1
	s_and_b32 vcc_lo, exec_lo, s30
	s_mov_b32 s24, -1
	s_cbranch_vccz .LBB29_18
; %bb.17:                               ;   in Loop: Header=BB29_3 Depth=1
	s_mul_u64 s[24:25], s[18:19], s[16:17]
	s_delay_alu instid0(SALU_CYCLE_1) | instskip(NEXT) | instid1(SALU_CYCLE_1)
	s_lshl_b64 s[24:25], s[24:25], 3
	s_add_nc_u64 s[26:27], s[12:13], s[24:25]
	s_mov_b32 s24, 0
	s_wait_dscnt 0x0
	global_store_b64 v15, v[4:5], s[26:27]
.LBB29_18:                              ;   in Loop: Header=BB29_3 Depth=1
	s_and_not1_b32 vcc_lo, exec_lo, s24
	s_cbranch_vccnz .LBB29_2
; %bb.19:                               ;   in Loop: Header=BB29_3 Depth=1
	s_lshl_b64 s[24:25], s[16:17], 3
	s_delay_alu instid0(SALU_CYCLE_1)
	s_add_nc_u64 s[24:25], s[14:15], s[24:25]
	s_wait_dscnt 0x0
	global_store_b64 v15, v[4:5], s[24:25]
	s_branch .LBB29_2
.LBB29_20:
	s_endpgm
	.section	.rodata,"a",@progbits
	.p2align	6, 0x0
	.amdhsa_kernel _ZL23rocblas_dot_kernel_inc1ILb0ELi512ELi2ELb0EdPKddEviT4_llS2_lliPT5_PT3_
		.amdhsa_group_segment_fixed_size 256
		.amdhsa_private_segment_fixed_size 0
		.amdhsa_kernarg_size 336
		.amdhsa_user_sgpr_count 2
		.amdhsa_user_sgpr_dispatch_ptr 0
		.amdhsa_user_sgpr_queue_ptr 0
		.amdhsa_user_sgpr_kernarg_segment_ptr 1
		.amdhsa_user_sgpr_dispatch_id 0
		.amdhsa_user_sgpr_kernarg_preload_length 0
		.amdhsa_user_sgpr_kernarg_preload_offset 0
		.amdhsa_user_sgpr_private_segment_size 0
		.amdhsa_wavefront_size32 1
		.amdhsa_uses_dynamic_stack 0
		.amdhsa_enable_private_segment 0
		.amdhsa_system_sgpr_workgroup_id_x 1
		.amdhsa_system_sgpr_workgroup_id_y 0
		.amdhsa_system_sgpr_workgroup_id_z 1
		.amdhsa_system_sgpr_workgroup_info 0
		.amdhsa_system_vgpr_workitem_id 0
		.amdhsa_next_free_vgpr 22
		.amdhsa_next_free_sgpr 36
		.amdhsa_named_barrier_count 0
		.amdhsa_reserve_vcc 1
		.amdhsa_float_round_mode_32 0
		.amdhsa_float_round_mode_16_64 0
		.amdhsa_float_denorm_mode_32 3
		.amdhsa_float_denorm_mode_16_64 3
		.amdhsa_fp16_overflow 0
		.amdhsa_memory_ordered 1
		.amdhsa_forward_progress 1
		.amdhsa_inst_pref_size 9
		.amdhsa_round_robin_scheduling 0
		.amdhsa_exception_fp_ieee_invalid_op 0
		.amdhsa_exception_fp_denorm_src 0
		.amdhsa_exception_fp_ieee_div_zero 0
		.amdhsa_exception_fp_ieee_overflow 0
		.amdhsa_exception_fp_ieee_underflow 0
		.amdhsa_exception_fp_ieee_inexact 0
		.amdhsa_exception_int_div_zero 0
	.end_amdhsa_kernel
	.section	.text._ZL23rocblas_dot_kernel_inc1ILb0ELi512ELi2ELb0EdPKddEviT4_llS2_lliPT5_PT3_,"axG",@progbits,_ZL23rocblas_dot_kernel_inc1ILb0ELi512ELi2ELb0EdPKddEviT4_llS2_lliPT5_PT3_,comdat
.Lfunc_end29:
	.size	_ZL23rocblas_dot_kernel_inc1ILb0ELi512ELi2ELb0EdPKddEviT4_llS2_lliPT5_PT3_, .Lfunc_end29-_ZL23rocblas_dot_kernel_inc1ILb0ELi512ELi2ELb0EdPKddEviT4_llS2_lliPT5_PT3_
                                        ; -- End function
	.set _ZL23rocblas_dot_kernel_inc1ILb0ELi512ELi2ELb0EdPKddEviT4_llS2_lliPT5_PT3_.num_vgpr, 22
	.set _ZL23rocblas_dot_kernel_inc1ILb0ELi512ELi2ELb0EdPKddEviT4_llS2_lliPT5_PT3_.num_agpr, 0
	.set _ZL23rocblas_dot_kernel_inc1ILb0ELi512ELi2ELb0EdPKddEviT4_llS2_lliPT5_PT3_.numbered_sgpr, 36
	.set _ZL23rocblas_dot_kernel_inc1ILb0ELi512ELi2ELb0EdPKddEviT4_llS2_lliPT5_PT3_.num_named_barrier, 0
	.set _ZL23rocblas_dot_kernel_inc1ILb0ELi512ELi2ELb0EdPKddEviT4_llS2_lliPT5_PT3_.private_seg_size, 0
	.set _ZL23rocblas_dot_kernel_inc1ILb0ELi512ELi2ELb0EdPKddEviT4_llS2_lliPT5_PT3_.uses_vcc, 1
	.set _ZL23rocblas_dot_kernel_inc1ILb0ELi512ELi2ELb0EdPKddEviT4_llS2_lliPT5_PT3_.uses_flat_scratch, 0
	.set _ZL23rocblas_dot_kernel_inc1ILb0ELi512ELi2ELb0EdPKddEviT4_llS2_lliPT5_PT3_.has_dyn_sized_stack, 0
	.set _ZL23rocblas_dot_kernel_inc1ILb0ELi512ELi2ELb0EdPKddEviT4_llS2_lliPT5_PT3_.has_recursion, 0
	.set _ZL23rocblas_dot_kernel_inc1ILb0ELi512ELi2ELb0EdPKddEviT4_llS2_lliPT5_PT3_.has_indirect_call, 0
	.section	.AMDGPU.csdata,"",@progbits
; Kernel info:
; codeLenInByte = 1052
; TotalNumSgprs: 38
; NumVgprs: 22
; ScratchSize: 0
; MemoryBound: 0
; FloatMode: 240
; IeeeMode: 1
; LDSByteSize: 256 bytes/workgroup (compile time only)
; SGPRBlocks: 0
; VGPRBlocks: 1
; NumSGPRsForWavesPerEU: 38
; NumVGPRsForWavesPerEU: 22
; NamedBarCnt: 0
; Occupancy: 16
; WaveLimiterHint : 0
; COMPUTE_PGM_RSRC2:SCRATCH_EN: 0
; COMPUTE_PGM_RSRC2:USER_SGPR: 2
; COMPUTE_PGM_RSRC2:TRAP_HANDLER: 0
; COMPUTE_PGM_RSRC2:TGID_X_EN: 1
; COMPUTE_PGM_RSRC2:TGID_Y_EN: 0
; COMPUTE_PGM_RSRC2:TGID_Z_EN: 1
; COMPUTE_PGM_RSRC2:TIDIG_COMP_CNT: 0
	.section	.text._ZL18rocblas_dot_kernelIiLb0ELi512ELi2ELb0EdPKddEviT5_lT_lS2_lS3_liPT6_PT4_,"axG",@progbits,_ZL18rocblas_dot_kernelIiLb0ELi512ELi2ELb0EdPKddEviT5_lT_lS2_lS3_liPT6_PT4_,comdat
	.globl	_ZL18rocblas_dot_kernelIiLb0ELi512ELi2ELb0EdPKddEviT5_lT_lS2_lS3_liPT6_PT4_ ; -- Begin function _ZL18rocblas_dot_kernelIiLb0ELi512ELi2ELb0EdPKddEviT5_lT_lS2_lS3_liPT6_PT4_
	.p2align	8
	.type	_ZL18rocblas_dot_kernelIiLb0ELi512ELi2ELb0EdPKddEviT5_lT_lS2_lS3_liPT6_PT4_,@function
_ZL18rocblas_dot_kernelIiLb0ELi512ELi2ELb0EdPKddEviT5_lT_lS2_lS3_liPT6_PT4_: ; @_ZL18rocblas_dot_kernelIiLb0ELi512ELi2ELb0EdPKddEviT5_lT_lS2_lS3_liPT6_PT4_
; %bb.0:
	s_load_b32 s28, s[0:1], 0x48
	s_bfe_u32 s2, ttmp6, 0x40014
	s_lshr_b32 s3, ttmp7, 16
	s_add_co_i32 s2, s2, 1
	s_bfe_u32 s5, ttmp6, 0x40008
	s_mul_i32 s4, s3, s2
	s_getreg_b32 s2, hwreg(HW_REG_IB_STS2, 6, 4)
	s_add_co_i32 s5, s5, s4
	s_cmp_eq_u32 s2, 0
	s_mov_b32 s13, 0
	s_cselect_b32 s12, s3, s5
	s_wait_kmcnt 0x0
	s_cmp_ge_u32 s12, s28
	s_cbranch_scc1 .LBB30_20
; %bb.1:
	v_mbcnt_lo_u32_b32 v3, -1, 0
	s_clause 0x7
	s_load_b32 s14, s[0:1], 0x18
	s_load_b96 s[36:38], s[0:1], 0x30
	s_load_b128 s[24:27], s[0:1], 0x8
	s_load_b128 s[4:7], s[0:1], 0x20
	s_load_b32 s16, s[0:1], 0x60
	s_load_b32 s29, s[0:1], 0x0
	s_load_b128 s[8:11], s[0:1], 0x50
	s_load_b64 s[18:19], s[0:1], 0x40
	s_wait_xcnt 0x0
	s_bfe_u32 s0, ttmp6, 0x4000c
	s_and_b32 s1, ttmp6, 15
	s_add_co_i32 s0, s0, 1
	v_cmp_gt_u32_e32 vcc_lo, 24, v3
	s_mul_i32 s0, ttmp9, s0
	v_and_b32_e32 v1, 31, v0
	s_add_co_i32 s3, s1, s0
	v_lshl_or_b32 v9, v3, 2, 64
	v_cndmask_b32_e64 v4, 0, 8, vcc_lo
	v_cmp_gt_u32_e32 vcc_lo, 28, v3
	v_mov_b32_e32 v15, 0
	s_mov_b32 s17, s13
	s_wait_kmcnt 0x0
	s_ashr_i32 s15, s14, 31
	s_ashr_i32 s21, s38, 31
	v_cndmask_b32_e64 v5, 0, 4, vcc_lo
	v_cmp_gt_u32_e32 vcc_lo, 30, v3
	s_lshl_b64 s[0:1], s[26:27], 3
	s_lshl_b64 s[26:27], s[36:37], 3
	s_cmp_eq_u32 s2, 0
	v_add_lshl_u32 v10, v4, v3, 2
	v_cndmask_b32_e64 v6, 0, 2, vcc_lo
	v_cmp_ne_u32_e32 vcc_lo, 31, v3
	v_lshrrev_b32_e32 v4, 2, v0
	s_add_nc_u64 s[22:23], s[24:25], s[0:1]
	s_cselect_b32 s24, ttmp9, s3
	v_cmp_gt_u32_e64 s0, 32, v0
	v_add_co_ci_u32_e64 v7, null, 0, v3, vcc_lo
	v_lshl_or_b32 v2, s24, 9, v0
	v_lshlrev_b32_e32 v8, 3, v1
	v_cmp_eq_u32_e64 s1, 0, v1
	v_cmp_gt_u32_e64 s2, 16, v0
	v_cmp_eq_u32_e64 s3, 0, v0
	v_mov_b64_e32 v[0:1], 0
	s_cmp_lg_u32 s16, 1
	s_mov_b32 s25, s13
	v_add_lshl_u32 v11, v5, v3, 2
	v_add_lshl_u32 v12, v6, v3, 2
	v_lshlrev_b32_e32 v13, 2, v7
	v_and_b32_e32 v14, 0x78, v4
	s_cselect_b32 s30, -1, 0
	s_lshl_b64 s[24:25], s[24:25], 3
	s_mov_b32 s20, s38
	s_add_nc_u64 s[6:7], s[6:7], s[26:27]
	s_lshl_b32 s31, s16, 9
	s_add_nc_u64 s[8:9], s[8:9], s[24:25]
	s_branch .LBB30_3
.LBB30_2:                               ;   in Loop: Header=BB30_3 Depth=1
	s_wait_xcnt 0x0
	s_or_b32 exec_lo, exec_lo, s24
	s_add_co_i32 s12, s12, 0x10000
	s_delay_alu instid0(SALU_CYCLE_1)
	s_cmp_lt_u32 s12, s28
	s_cbranch_scc0 .LBB30_20
.LBB30_3:                               ; =>This Inner Loop Header: Depth=1
	s_wait_dscnt 0x0
	v_mov_b64_e32 v[4:5], 0
	s_mov_b32 s33, exec_lo
	v_cmpx_gt_i32_e64 s29, v2
	s_cbranch_execz .LBB30_7
; %bb.4:                                ;   in Loop: Header=BB30_3 Depth=1
	v_ashrrev_i32_e32 v3, 31, v2
	s_mul_u64 s[24:25], s[18:19], s[12:13]
	s_mul_u64 s[26:27], s[4:5], s[12:13]
	s_lshl_b64 s[24:25], s[24:25], 3
	s_lshl_b64 s[34:35], s[26:27], 3
	v_mul_u64_e32 v[4:5], s[20:21], v[2:3]
	v_mul_u64_e32 v[6:7], s[14:15], v[2:3]
	s_add_nc_u64 s[26:27], s[6:7], s[24:25]
	s_add_nc_u64 s[24:25], s[22:23], s[34:35]
	v_add_nc_u32_e32 v2, s31, v2
	s_mov_b32 s34, exec_lo
	s_delay_alu instid0(VALU_DEP_3) | instskip(NEXT) | instid1(VALU_DEP_3)
	v_lshl_add_u64 v[4:5], v[4:5], 3, s[26:27]
	v_lshl_add_u64 v[6:7], v[6:7], 3, s[24:25]
	global_load_b64 v[16:17], v[4:5], off
	global_load_b64 v[18:19], v[6:7], off
	s_wait_loadcnt 0x0
	s_wait_xcnt 0x1
	v_fma_f64 v[4:5], v[16:17], v[18:19], 0
	s_wait_xcnt 0x0
	v_cmpx_gt_i32_e64 s29, v2
	s_cbranch_execz .LBB30_6
; %bb.5:                                ;   in Loop: Header=BB30_3 Depth=1
	v_ashrrev_i32_e32 v3, 31, v2
	s_delay_alu instid0(VALU_DEP_1) | instskip(SKIP_2) | instid1(VALU_DEP_3)
	v_mul_u64_e32 v[6:7], s[20:21], v[2:3]
	v_mul_u64_e32 v[16:17], s[14:15], v[2:3]
	v_add_nc_u32_e32 v2, s31, v2
	v_lshl_add_u64 v[6:7], v[6:7], 3, s[26:27]
	s_delay_alu instid0(VALU_DEP_3)
	v_lshl_add_u64 v[16:17], v[16:17], 3, s[24:25]
	global_load_b64 v[18:19], v[6:7], off
	global_load_b64 v[20:21], v[16:17], off
	s_wait_loadcnt 0x0
	v_fmac_f64_e32 v[4:5], v[18:19], v[20:21]
.LBB30_6:                               ;   in Loop: Header=BB30_3 Depth=1
	s_wait_xcnt 0x0
	s_or_b32 exec_lo, exec_lo, s34
.LBB30_7:                               ;   in Loop: Header=BB30_3 Depth=1
	s_delay_alu instid0(SALU_CYCLE_1)
	s_or_b32 exec_lo, exec_lo, s33
	s_and_saveexec_b32 s24, s0
; %bb.8:                                ;   in Loop: Header=BB30_3 Depth=1
	ds_store_b64 v8, v[0:1]
; %bb.9:                                ;   in Loop: Header=BB30_3 Depth=1
	s_or_b32 exec_lo, exec_lo, s24
	ds_bpermute_b32 v6, v9, v4
	ds_bpermute_b32 v7, v9, v5
	s_wait_dscnt 0x0
	s_barrier_signal -1
	s_barrier_wait -1
	v_add_f64_e32 v[4:5], v[4:5], v[6:7]
	ds_bpermute_b32 v6, v10, v4
	ds_bpermute_b32 v7, v10, v5
	s_wait_dscnt 0x0
	v_add_f64_e32 v[4:5], v[4:5], v[6:7]
	ds_bpermute_b32 v6, v11, v4
	ds_bpermute_b32 v7, v11, v5
	s_wait_dscnt 0x0
	;; [unrolled: 4-line block ×3, first 2 shown]
	v_add_f64_e32 v[4:5], v[4:5], v[6:7]
	ds_bpermute_b32 v6, v13, v4
	ds_bpermute_b32 v7, v13, v5
	s_and_saveexec_b32 s24, s1
	s_cbranch_execz .LBB30_11
; %bb.10:                               ;   in Loop: Header=BB30_3 Depth=1
	s_wait_dscnt 0x0
	v_add_f64_e32 v[4:5], v[4:5], v[6:7]
	ds_store_b64 v14, v[4:5]
.LBB30_11:                              ;   in Loop: Header=BB30_3 Depth=1
	s_or_b32 exec_lo, exec_lo, s24
	v_mov_b64_e32 v[4:5], 0
	s_wait_dscnt 0x0
	s_barrier_signal -1
	s_barrier_wait -1
	s_and_saveexec_b32 s24, s2
	s_cbranch_execnz .LBB30_14
; %bb.12:                               ;   in Loop: Header=BB30_3 Depth=1
	s_or_b32 exec_lo, exec_lo, s24
	s_and_saveexec_b32 s24, s0
	s_cbranch_execnz .LBB30_15
.LBB30_13:                              ;   in Loop: Header=BB30_3 Depth=1
	s_or_b32 exec_lo, exec_lo, s24
	s_and_saveexec_b32 s24, s3
	s_cbranch_execz .LBB30_2
	s_branch .LBB30_16
.LBB30_14:                              ;   in Loop: Header=BB30_3 Depth=1
	ds_load_b64 v[4:5], v8
	s_or_b32 exec_lo, exec_lo, s24
	s_and_saveexec_b32 s24, s0
	s_cbranch_execz .LBB30_13
.LBB30_15:                              ;   in Loop: Header=BB30_3 Depth=1
	s_wait_dscnt 0x0
	ds_bpermute_b32 v6, v10, v4
	ds_bpermute_b32 v7, v10, v5
	s_wait_dscnt 0x0
	v_add_f64_e32 v[4:5], v[4:5], v[6:7]
	ds_bpermute_b32 v6, v11, v4
	ds_bpermute_b32 v7, v11, v5
	s_wait_dscnt 0x0
	v_add_f64_e32 v[4:5], v[4:5], v[6:7]
	ds_bpermute_b32 v6, v12, v4
	ds_bpermute_b32 v7, v12, v5
	s_wait_dscnt 0x0
	v_add_f64_e32 v[4:5], v[4:5], v[6:7]
	ds_bpermute_b32 v6, v13, v4
	ds_bpermute_b32 v7, v13, v5
	s_wait_dscnt 0x0
	v_add_f64_e32 v[4:5], v[4:5], v[6:7]
	s_or_b32 exec_lo, exec_lo, s24
	s_and_saveexec_b32 s24, s3
	s_cbranch_execz .LBB30_2
.LBB30_16:                              ;   in Loop: Header=BB30_3 Depth=1
	s_and_b32 vcc_lo, exec_lo, s30
	s_mov_b32 s25, -1
	s_cbranch_vccz .LBB30_18
; %bb.17:                               ;   in Loop: Header=BB30_3 Depth=1
	s_mul_u64 s[26:27], s[16:17], s[12:13]
	s_mov_b32 s25, 0
	s_lshl_b64 s[26:27], s[26:27], 3
	s_delay_alu instid0(SALU_CYCLE_1)
	s_add_nc_u64 s[26:27], s[8:9], s[26:27]
	s_wait_dscnt 0x0
	global_store_b64 v15, v[4:5], s[26:27]
.LBB30_18:                              ;   in Loop: Header=BB30_3 Depth=1
	s_and_not1_b32 vcc_lo, exec_lo, s25
	s_cbranch_vccnz .LBB30_2
; %bb.19:                               ;   in Loop: Header=BB30_3 Depth=1
	s_wait_xcnt 0x0
	s_lshl_b64 s[26:27], s[12:13], 3
	s_delay_alu instid0(SALU_CYCLE_1)
	s_add_nc_u64 s[26:27], s[10:11], s[26:27]
	s_wait_dscnt 0x0
	global_store_b64 v15, v[4:5], s[26:27]
	s_branch .LBB30_2
.LBB30_20:
	s_endpgm
	.section	.rodata,"a",@progbits
	.p2align	6, 0x0
	.amdhsa_kernel _ZL18rocblas_dot_kernelIiLb0ELi512ELi2ELb0EdPKddEviT5_lT_lS2_lS3_liPT6_PT4_
		.amdhsa_group_segment_fixed_size 256
		.amdhsa_private_segment_fixed_size 0
		.amdhsa_kernarg_size 352
		.amdhsa_user_sgpr_count 2
		.amdhsa_user_sgpr_dispatch_ptr 0
		.amdhsa_user_sgpr_queue_ptr 0
		.amdhsa_user_sgpr_kernarg_segment_ptr 1
		.amdhsa_user_sgpr_dispatch_id 0
		.amdhsa_user_sgpr_kernarg_preload_length 0
		.amdhsa_user_sgpr_kernarg_preload_offset 0
		.amdhsa_user_sgpr_private_segment_size 0
		.amdhsa_wavefront_size32 1
		.amdhsa_uses_dynamic_stack 0
		.amdhsa_enable_private_segment 0
		.amdhsa_system_sgpr_workgroup_id_x 1
		.amdhsa_system_sgpr_workgroup_id_y 0
		.amdhsa_system_sgpr_workgroup_id_z 1
		.amdhsa_system_sgpr_workgroup_info 0
		.amdhsa_system_vgpr_workitem_id 0
		.amdhsa_next_free_vgpr 22
		.amdhsa_next_free_sgpr 39
		.amdhsa_named_barrier_count 0
		.amdhsa_reserve_vcc 1
		.amdhsa_float_round_mode_32 0
		.amdhsa_float_round_mode_16_64 0
		.amdhsa_float_denorm_mode_32 3
		.amdhsa_float_denorm_mode_16_64 3
		.amdhsa_fp16_overflow 0
		.amdhsa_memory_ordered 1
		.amdhsa_forward_progress 1
		.amdhsa_inst_pref_size 9
		.amdhsa_round_robin_scheduling 0
		.amdhsa_exception_fp_ieee_invalid_op 0
		.amdhsa_exception_fp_denorm_src 0
		.amdhsa_exception_fp_ieee_div_zero 0
		.amdhsa_exception_fp_ieee_overflow 0
		.amdhsa_exception_fp_ieee_underflow 0
		.amdhsa_exception_fp_ieee_inexact 0
		.amdhsa_exception_int_div_zero 0
	.end_amdhsa_kernel
	.section	.text._ZL18rocblas_dot_kernelIiLb0ELi512ELi2ELb0EdPKddEviT5_lT_lS2_lS3_liPT6_PT4_,"axG",@progbits,_ZL18rocblas_dot_kernelIiLb0ELi512ELi2ELb0EdPKddEviT5_lT_lS2_lS3_liPT6_PT4_,comdat
.Lfunc_end30:
	.size	_ZL18rocblas_dot_kernelIiLb0ELi512ELi2ELb0EdPKddEviT5_lT_lS2_lS3_liPT6_PT4_, .Lfunc_end30-_ZL18rocblas_dot_kernelIiLb0ELi512ELi2ELb0EdPKddEviT5_lT_lS2_lS3_liPT6_PT4_
                                        ; -- End function
	.set _ZL18rocblas_dot_kernelIiLb0ELi512ELi2ELb0EdPKddEviT5_lT_lS2_lS3_liPT6_PT4_.num_vgpr, 22
	.set _ZL18rocblas_dot_kernelIiLb0ELi512ELi2ELb0EdPKddEviT5_lT_lS2_lS3_liPT6_PT4_.num_agpr, 0
	.set _ZL18rocblas_dot_kernelIiLb0ELi512ELi2ELb0EdPKddEviT5_lT_lS2_lS3_liPT6_PT4_.numbered_sgpr, 39
	.set _ZL18rocblas_dot_kernelIiLb0ELi512ELi2ELb0EdPKddEviT5_lT_lS2_lS3_liPT6_PT4_.num_named_barrier, 0
	.set _ZL18rocblas_dot_kernelIiLb0ELi512ELi2ELb0EdPKddEviT5_lT_lS2_lS3_liPT6_PT4_.private_seg_size, 0
	.set _ZL18rocblas_dot_kernelIiLb0ELi512ELi2ELb0EdPKddEviT5_lT_lS2_lS3_liPT6_PT4_.uses_vcc, 1
	.set _ZL18rocblas_dot_kernelIiLb0ELi512ELi2ELb0EdPKddEviT5_lT_lS2_lS3_liPT6_PT4_.uses_flat_scratch, 0
	.set _ZL18rocblas_dot_kernelIiLb0ELi512ELi2ELb0EdPKddEviT5_lT_lS2_lS3_liPT6_PT4_.has_dyn_sized_stack, 0
	.set _ZL18rocblas_dot_kernelIiLb0ELi512ELi2ELb0EdPKddEviT5_lT_lS2_lS3_liPT6_PT4_.has_recursion, 0
	.set _ZL18rocblas_dot_kernelIiLb0ELi512ELi2ELb0EdPKddEviT5_lT_lS2_lS3_liPT6_PT4_.has_indirect_call, 0
	.section	.AMDGPU.csdata,"",@progbits
; Kernel info:
; codeLenInByte = 1100
; TotalNumSgprs: 41
; NumVgprs: 22
; ScratchSize: 0
; MemoryBound: 0
; FloatMode: 240
; IeeeMode: 1
; LDSByteSize: 256 bytes/workgroup (compile time only)
; SGPRBlocks: 0
; VGPRBlocks: 1
; NumSGPRsForWavesPerEU: 41
; NumVGPRsForWavesPerEU: 22
; NamedBarCnt: 0
; Occupancy: 16
; WaveLimiterHint : 0
; COMPUTE_PGM_RSRC2:SCRATCH_EN: 0
; COMPUTE_PGM_RSRC2:USER_SGPR: 2
; COMPUTE_PGM_RSRC2:TRAP_HANDLER: 0
; COMPUTE_PGM_RSRC2:TGID_X_EN: 1
; COMPUTE_PGM_RSRC2:TGID_Y_EN: 0
; COMPUTE_PGM_RSRC2:TGID_Z_EN: 1
; COMPUTE_PGM_RSRC2:TIDIG_COMP_CNT: 0
	.section	.text._ZL24rocblas_dot_kernel_magsqIiLb0ELi512ELi2ELb0EdPKddEviT5_lT_liPT6_PT4_,"axG",@progbits,_ZL24rocblas_dot_kernel_magsqIiLb0ELi512ELi2ELb0EdPKddEviT5_lT_liPT6_PT4_,comdat
	.globl	_ZL24rocblas_dot_kernel_magsqIiLb0ELi512ELi2ELb0EdPKddEviT5_lT_liPT6_PT4_ ; -- Begin function _ZL24rocblas_dot_kernel_magsqIiLb0ELi512ELi2ELb0EdPKddEviT5_lT_liPT6_PT4_
	.p2align	8
	.type	_ZL24rocblas_dot_kernel_magsqIiLb0ELi512ELi2ELb0EdPKddEviT5_lT_liPT6_PT4_,@function
_ZL24rocblas_dot_kernel_magsqIiLb0ELi512ELi2ELb0EdPKddEviT5_lT_liPT6_PT4_: ; @_ZL24rocblas_dot_kernel_magsqIiLb0ELi512ELi2ELb0EdPKddEviT5_lT_liPT6_PT4_
; %bb.0:
	s_load_b32 s20, s[0:1], 0x28
	s_bfe_u32 s2, ttmp6, 0x40014
	s_lshr_b32 s3, ttmp7, 16
	s_add_co_i32 s2, s2, 1
	s_bfe_u32 s5, ttmp6, 0x40008
	s_mul_i32 s4, s3, s2
	s_getreg_b32 s2, hwreg(HW_REG_IB_STS2, 6, 4)
	s_add_co_i32 s5, s5, s4
	s_cmp_eq_u32 s2, 0
	s_mov_b32 s9, 0
	s_cselect_b32 s8, s3, s5
	s_wait_kmcnt 0x0
	s_cmp_ge_u32 s8, s20
	s_cbranch_scc1 .LBB31_20
; %bb.1:
	v_mbcnt_lo_u32_b32 v3, -1, 0
	s_clause 0x5
	s_load_b32 s10, s[0:1], 0x18
	s_load_b128 s[16:19], s[0:1], 0x8
	s_load_b32 s12, s[0:1], 0x40
	s_load_b128 s[4:7], s[0:1], 0x30
	s_load_b64 s[14:15], s[0:1], 0x20
	s_load_b32 s21, s[0:1], 0x0
	s_wait_xcnt 0x0
	s_bfe_u32 s0, ttmp6, 0x4000c
	s_and_b32 s1, ttmp6, 15
	s_add_co_i32 s3, s0, 1
	v_cmp_gt_u32_e32 vcc_lo, 24, v3
	s_mul_i32 s3, ttmp9, s3
	v_and_b32_e32 v1, 31, v0
	s_add_co_i32 s1, s1, s3
	v_cmp_gt_u32_e64 s0, 32, v0
	v_cndmask_b32_e64 v4, 0, 8, vcc_lo
	v_cmp_gt_u32_e32 vcc_lo, 28, v3
	v_cmp_eq_u32_e64 s3, 0, v0
	v_lshl_or_b32 v9, v3, 2, 64
	v_mov_b32_e32 v15, 0
	v_add_lshl_u32 v10, v4, v3, 2
	v_cndmask_b32_e64 v5, 0, 4, vcc_lo
	v_cmp_gt_u32_e32 vcc_lo, 30, v3
	s_wait_kmcnt 0x0
	s_ashr_i32 s11, s10, 31
	s_lshl_b64 s[18:19], s[18:19], 3
	s_cmp_eq_u32 s2, 0
	v_lshrrev_b32_e32 v4, 2, v0
	v_cndmask_b32_e64 v6, 0, 2, vcc_lo
	v_cmp_ne_u32_e32 vcc_lo, 31, v3
	s_add_nc_u64 s[16:17], s[16:17], s[18:19]
	s_cselect_b32 s18, ttmp9, s1
	v_cmp_eq_u32_e64 s1, 0, v1
	v_lshl_or_b32 v2, s18, 9, v0
	v_add_co_ci_u32_e64 v7, null, 0, v3, vcc_lo
	v_lshlrev_b32_e32 v8, 3, v1
	v_cmp_gt_u32_e64 s2, 16, v0
	v_mov_b64_e32 v[0:1], 0
	s_cmp_lg_u32 s12, 1
	s_mov_b32 s19, s9
	v_add_lshl_u32 v11, v5, v3, 2
	v_add_lshl_u32 v12, v6, v3, 2
	v_lshlrev_b32_e32 v13, 2, v7
	v_and_b32_e32 v14, 0x78, v4
	s_cselect_b32 s22, -1, 0
	s_lshl_b64 s[18:19], s[18:19], 3
	s_mov_b32 s13, s9
	s_lshl_b32 s23, s12, 9
	s_add_nc_u64 s[4:5], s[4:5], s[18:19]
	s_branch .LBB31_3
.LBB31_2:                               ;   in Loop: Header=BB31_3 Depth=1
	s_wait_xcnt 0x0
	s_or_b32 exec_lo, exec_lo, s18
	s_add_co_i32 s8, s8, 0x10000
	s_delay_alu instid0(SALU_CYCLE_1)
	s_cmp_lt_u32 s8, s20
	s_cbranch_scc0 .LBB31_20
.LBB31_3:                               ; =>This Inner Loop Header: Depth=1
	s_wait_dscnt 0x0
	v_mov_b64_e32 v[4:5], 0
	s_mov_b32 s24, exec_lo
	v_cmpx_gt_i32_e64 s21, v2
	s_cbranch_execz .LBB31_7
; %bb.4:                                ;   in Loop: Header=BB31_3 Depth=1
	v_ashrrev_i32_e32 v3, 31, v2
	s_mul_u64 s[18:19], s[14:15], s[8:9]
	s_mov_b32 s25, exec_lo
	s_lshl_b64 s[18:19], s[18:19], 3
	s_delay_alu instid0(SALU_CYCLE_1) | instskip(SKIP_2) | instid1(VALU_DEP_2)
	s_add_nc_u64 s[18:19], s[16:17], s[18:19]
	v_mul_u64_e32 v[4:5], s[10:11], v[2:3]
	v_add_nc_u32_e32 v2, s23, v2
	v_lshl_add_u64 v[4:5], v[4:5], 3, s[18:19]
	global_load_b64 v[4:5], v[4:5], off
	s_wait_loadcnt 0x0
	s_wait_xcnt 0x0
	v_mul_f64_e32 v[4:5], v[4:5], v[4:5]
	v_cmpx_gt_i32_e64 s21, v2
	s_cbranch_execz .LBB31_6
; %bb.5:                                ;   in Loop: Header=BB31_3 Depth=1
	v_ashrrev_i32_e32 v3, 31, v2
	s_delay_alu instid0(VALU_DEP_1) | instskip(SKIP_1) | instid1(VALU_DEP_2)
	v_mul_u64_e32 v[6:7], s[10:11], v[2:3]
	v_add_nc_u32_e32 v2, s23, v2
	v_lshl_add_u64 v[6:7], v[6:7], 3, s[18:19]
	global_load_b64 v[6:7], v[6:7], off
	s_wait_loadcnt 0x0
	v_fmac_f64_e32 v[4:5], v[6:7], v[6:7]
.LBB31_6:                               ;   in Loop: Header=BB31_3 Depth=1
	s_wait_xcnt 0x0
	s_or_b32 exec_lo, exec_lo, s25
.LBB31_7:                               ;   in Loop: Header=BB31_3 Depth=1
	s_delay_alu instid0(SALU_CYCLE_1)
	s_or_b32 exec_lo, exec_lo, s24
	s_and_saveexec_b32 s18, s0
; %bb.8:                                ;   in Loop: Header=BB31_3 Depth=1
	ds_store_b64 v8, v[0:1]
; %bb.9:                                ;   in Loop: Header=BB31_3 Depth=1
	s_or_b32 exec_lo, exec_lo, s18
	ds_bpermute_b32 v6, v9, v4
	ds_bpermute_b32 v7, v9, v5
	s_wait_dscnt 0x0
	s_barrier_signal -1
	s_barrier_wait -1
	v_add_f64_e32 v[4:5], v[4:5], v[6:7]
	ds_bpermute_b32 v6, v10, v4
	ds_bpermute_b32 v7, v10, v5
	s_wait_dscnt 0x0
	v_add_f64_e32 v[4:5], v[4:5], v[6:7]
	ds_bpermute_b32 v6, v11, v4
	ds_bpermute_b32 v7, v11, v5
	s_wait_dscnt 0x0
	;; [unrolled: 4-line block ×3, first 2 shown]
	v_add_f64_e32 v[4:5], v[4:5], v[6:7]
	ds_bpermute_b32 v6, v13, v4
	ds_bpermute_b32 v7, v13, v5
	s_and_saveexec_b32 s18, s1
	s_cbranch_execz .LBB31_11
; %bb.10:                               ;   in Loop: Header=BB31_3 Depth=1
	s_wait_dscnt 0x0
	v_add_f64_e32 v[4:5], v[4:5], v[6:7]
	ds_store_b64 v14, v[4:5]
.LBB31_11:                              ;   in Loop: Header=BB31_3 Depth=1
	s_or_b32 exec_lo, exec_lo, s18
	v_mov_b64_e32 v[4:5], 0
	s_wait_dscnt 0x0
	s_barrier_signal -1
	s_barrier_wait -1
	s_and_saveexec_b32 s18, s2
	s_cbranch_execnz .LBB31_14
; %bb.12:                               ;   in Loop: Header=BB31_3 Depth=1
	s_or_b32 exec_lo, exec_lo, s18
	s_and_saveexec_b32 s18, s0
	s_cbranch_execnz .LBB31_15
.LBB31_13:                              ;   in Loop: Header=BB31_3 Depth=1
	s_or_b32 exec_lo, exec_lo, s18
	s_and_saveexec_b32 s18, s3
	s_cbranch_execz .LBB31_2
	s_branch .LBB31_16
.LBB31_14:                              ;   in Loop: Header=BB31_3 Depth=1
	ds_load_b64 v[4:5], v8
	s_or_b32 exec_lo, exec_lo, s18
	s_and_saveexec_b32 s18, s0
	s_cbranch_execz .LBB31_13
.LBB31_15:                              ;   in Loop: Header=BB31_3 Depth=1
	s_wait_dscnt 0x0
	ds_bpermute_b32 v6, v10, v4
	ds_bpermute_b32 v7, v10, v5
	s_wait_dscnt 0x0
	v_add_f64_e32 v[4:5], v[4:5], v[6:7]
	ds_bpermute_b32 v6, v11, v4
	ds_bpermute_b32 v7, v11, v5
	s_wait_dscnt 0x0
	v_add_f64_e32 v[4:5], v[4:5], v[6:7]
	;; [unrolled: 4-line block ×4, first 2 shown]
	s_or_b32 exec_lo, exec_lo, s18
	s_and_saveexec_b32 s18, s3
	s_cbranch_execz .LBB31_2
.LBB31_16:                              ;   in Loop: Header=BB31_3 Depth=1
	s_and_b32 vcc_lo, exec_lo, s22
	s_mov_b32 s19, -1
	s_cbranch_vccz .LBB31_18
; %bb.17:                               ;   in Loop: Header=BB31_3 Depth=1
	s_mul_u64 s[24:25], s[12:13], s[8:9]
	s_mov_b32 s19, 0
	s_lshl_b64 s[24:25], s[24:25], 3
	s_delay_alu instid0(SALU_CYCLE_1)
	s_add_nc_u64 s[24:25], s[4:5], s[24:25]
	s_wait_dscnt 0x0
	global_store_b64 v15, v[4:5], s[24:25]
.LBB31_18:                              ;   in Loop: Header=BB31_3 Depth=1
	s_and_not1_b32 vcc_lo, exec_lo, s19
	s_cbranch_vccnz .LBB31_2
; %bb.19:                               ;   in Loop: Header=BB31_3 Depth=1
	s_wait_xcnt 0x0
	s_lshl_b64 s[24:25], s[8:9], 3
	s_delay_alu instid0(SALU_CYCLE_1)
	s_add_nc_u64 s[24:25], s[6:7], s[24:25]
	s_wait_dscnt 0x0
	global_store_b64 v15, v[4:5], s[24:25]
	s_branch .LBB31_2
.LBB31_20:
	s_endpgm
	.section	.rodata,"a",@progbits
	.p2align	6, 0x0
	.amdhsa_kernel _ZL24rocblas_dot_kernel_magsqIiLb0ELi512ELi2ELb0EdPKddEviT5_lT_liPT6_PT4_
		.amdhsa_group_segment_fixed_size 256
		.amdhsa_private_segment_fixed_size 0
		.amdhsa_kernarg_size 320
		.amdhsa_user_sgpr_count 2
		.amdhsa_user_sgpr_dispatch_ptr 0
		.amdhsa_user_sgpr_queue_ptr 0
		.amdhsa_user_sgpr_kernarg_segment_ptr 1
		.amdhsa_user_sgpr_dispatch_id 0
		.amdhsa_user_sgpr_kernarg_preload_length 0
		.amdhsa_user_sgpr_kernarg_preload_offset 0
		.amdhsa_user_sgpr_private_segment_size 0
		.amdhsa_wavefront_size32 1
		.amdhsa_uses_dynamic_stack 0
		.amdhsa_enable_private_segment 0
		.amdhsa_system_sgpr_workgroup_id_x 1
		.amdhsa_system_sgpr_workgroup_id_y 0
		.amdhsa_system_sgpr_workgroup_id_z 1
		.amdhsa_system_sgpr_workgroup_info 0
		.amdhsa_system_vgpr_workitem_id 0
		.amdhsa_next_free_vgpr 16
		.amdhsa_next_free_sgpr 26
		.amdhsa_named_barrier_count 0
		.amdhsa_reserve_vcc 1
		.amdhsa_float_round_mode_32 0
		.amdhsa_float_round_mode_16_64 0
		.amdhsa_float_denorm_mode_32 3
		.amdhsa_float_denorm_mode_16_64 3
		.amdhsa_fp16_overflow 0
		.amdhsa_memory_ordered 1
		.amdhsa_forward_progress 1
		.amdhsa_inst_pref_size 8
		.amdhsa_round_robin_scheduling 0
		.amdhsa_exception_fp_ieee_invalid_op 0
		.amdhsa_exception_fp_denorm_src 0
		.amdhsa_exception_fp_ieee_div_zero 0
		.amdhsa_exception_fp_ieee_overflow 0
		.amdhsa_exception_fp_ieee_underflow 0
		.amdhsa_exception_fp_ieee_inexact 0
		.amdhsa_exception_int_div_zero 0
	.end_amdhsa_kernel
	.section	.text._ZL24rocblas_dot_kernel_magsqIiLb0ELi512ELi2ELb0EdPKddEviT5_lT_liPT6_PT4_,"axG",@progbits,_ZL24rocblas_dot_kernel_magsqIiLb0ELi512ELi2ELb0EdPKddEviT5_lT_liPT6_PT4_,comdat
.Lfunc_end31:
	.size	_ZL24rocblas_dot_kernel_magsqIiLb0ELi512ELi2ELb0EdPKddEviT5_lT_liPT6_PT4_, .Lfunc_end31-_ZL24rocblas_dot_kernel_magsqIiLb0ELi512ELi2ELb0EdPKddEviT5_lT_liPT6_PT4_
                                        ; -- End function
	.set _ZL24rocblas_dot_kernel_magsqIiLb0ELi512ELi2ELb0EdPKddEviT5_lT_liPT6_PT4_.num_vgpr, 16
	.set _ZL24rocblas_dot_kernel_magsqIiLb0ELi512ELi2ELb0EdPKddEviT5_lT_liPT6_PT4_.num_agpr, 0
	.set _ZL24rocblas_dot_kernel_magsqIiLb0ELi512ELi2ELb0EdPKddEviT5_lT_liPT6_PT4_.numbered_sgpr, 26
	.set _ZL24rocblas_dot_kernel_magsqIiLb0ELi512ELi2ELb0EdPKddEviT5_lT_liPT6_PT4_.num_named_barrier, 0
	.set _ZL24rocblas_dot_kernel_magsqIiLb0ELi512ELi2ELb0EdPKddEviT5_lT_liPT6_PT4_.private_seg_size, 0
	.set _ZL24rocblas_dot_kernel_magsqIiLb0ELi512ELi2ELb0EdPKddEviT5_lT_liPT6_PT4_.uses_vcc, 1
	.set _ZL24rocblas_dot_kernel_magsqIiLb0ELi512ELi2ELb0EdPKddEviT5_lT_liPT6_PT4_.uses_flat_scratch, 0
	.set _ZL24rocblas_dot_kernel_magsqIiLb0ELi512ELi2ELb0EdPKddEviT5_lT_liPT6_PT4_.has_dyn_sized_stack, 0
	.set _ZL24rocblas_dot_kernel_magsqIiLb0ELi512ELi2ELb0EdPKddEviT5_lT_liPT6_PT4_.has_recursion, 0
	.set _ZL24rocblas_dot_kernel_magsqIiLb0ELi512ELi2ELb0EdPKddEviT5_lT_liPT6_PT4_.has_indirect_call, 0
	.section	.AMDGPU.csdata,"",@progbits
; Kernel info:
; codeLenInByte = 996
; TotalNumSgprs: 28
; NumVgprs: 16
; ScratchSize: 0
; MemoryBound: 0
; FloatMode: 240
; IeeeMode: 1
; LDSByteSize: 256 bytes/workgroup (compile time only)
; SGPRBlocks: 0
; VGPRBlocks: 0
; NumSGPRsForWavesPerEU: 28
; NumVGPRsForWavesPerEU: 16
; NamedBarCnt: 0
; Occupancy: 16
; WaveLimiterHint : 0
; COMPUTE_PGM_RSRC2:SCRATCH_EN: 0
; COMPUTE_PGM_RSRC2:USER_SGPR: 2
; COMPUTE_PGM_RSRC2:TRAP_HANDLER: 0
; COMPUTE_PGM_RSRC2:TGID_X_EN: 1
; COMPUTE_PGM_RSRC2:TGID_Y_EN: 0
; COMPUTE_PGM_RSRC2:TGID_Z_EN: 1
; COMPUTE_PGM_RSRC2:TIDIG_COMP_CNT: 0
	.section	.text._ZL28rocblas_dot_batched_4_kernelIiLi32ELi4ELb0E19rocblas_complex_numIfES1_PKS1_EviT5_lT_lS4_lS5_liPT4_,"axG",@progbits,_ZL28rocblas_dot_batched_4_kernelIiLi32ELi4ELb0E19rocblas_complex_numIfES1_PKS1_EviT5_lT_lS4_lS5_liPT4_,comdat
	.globl	_ZL28rocblas_dot_batched_4_kernelIiLi32ELi4ELb0E19rocblas_complex_numIfES1_PKS1_EviT5_lT_lS4_lS5_liPT4_ ; -- Begin function _ZL28rocblas_dot_batched_4_kernelIiLi32ELi4ELb0E19rocblas_complex_numIfES1_PKS1_EviT5_lT_lS4_lS5_liPT4_
	.p2align	8
	.type	_ZL28rocblas_dot_batched_4_kernelIiLi32ELi4ELb0E19rocblas_complex_numIfES1_PKS1_EviT5_lT_lS4_lS5_liPT4_,@function
_ZL28rocblas_dot_batched_4_kernelIiLi32ELi4ELb0E19rocblas_complex_numIfES1_PKS1_EviT5_lT_lS4_lS5_liPT4_: ; @_ZL28rocblas_dot_batched_4_kernelIiLi32ELi4ELb0E19rocblas_complex_numIfES1_PKS1_EviT5_lT_lS4_lS5_liPT4_
; %bb.0:
	s_load_b32 s2, s[0:1], 0x48
	s_bfe_u32 s3, ttmp6, 0x4000c
	s_and_b32 s4, ttmp6, 15
	s_add_co_i32 s3, s3, 1
	v_bfe_u32 v1, v0, 10, 10
	s_mul_i32 s3, ttmp9, s3
	s_delay_alu instid0(SALU_CYCLE_1) | instskip(SKIP_1) | instid1(SALU_CYCLE_1)
	s_add_co_i32 s4, s4, s3
	s_getreg_b32 s3, hwreg(HW_REG_IB_STS2, 6, 4)
	s_cmp_eq_u32 s3, 0
	s_cselect_b32 s3, ttmp9, s4
	s_delay_alu instid0(SALU_CYCLE_1) | instskip(SKIP_1) | instid1(VALU_DEP_1)
	v_lshl_add_u32 v2, s3, 2, v1
	s_wait_kmcnt 0x0
	v_cmp_gt_u32_e32 vcc_lo, s2, v2
	s_and_saveexec_b32 s2, vcc_lo
	s_cbranch_execz .LBB32_7
; %bb.1:
	s_load_b32 s6, s[0:1], 0x0
	v_mov_b32_e32 v3, 0
	v_and_b32_e32 v0, 0x3ff, v0
	s_mov_b32 s7, exec_lo
	s_delay_alu instid0(VALU_DEP_2) | instskip(SKIP_1) | instid1(VALU_DEP_2)
	v_dual_mov_b32 v5, v3 :: v_dual_mov_b32 v4, v3
	s_wait_kmcnt 0x0
	v_cmpx_gt_i32_e64 s6, v0
	s_cbranch_execz .LBB32_5
; %bb.2:
	s_clause 0x3
	s_load_b64 s[2:3], s[0:1], 0x40
	s_load_b96 s[16:18], s[0:1], 0x30
	s_load_b128 s[8:11], s[0:1], 0x20
	s_load_b32 s4, s[0:1], 0x18
	v_mov_b32_e32 v1, 0
	s_load_b128 s[12:15], s[0:1], 0x8
	s_wait_kmcnt 0x0
	v_mul_u64_e32 v[4:5], s[2:3], v[2:3]
	s_ashr_i32 s19, s18, 31
	v_mul_u64_e32 v[6:7], s[8:9], v[2:3]
	s_ashr_i32 s5, s4, 31
	s_lshl_b64 s[2:3], s[16:17], 3
	v_mul_u64_e32 v[10:11], s[4:5], v[0:1]
	s_add_nc_u64 s[2:3], s[10:11], s[2:3]
	s_mov_b32 s8, 0
	s_delay_alu instid0(VALU_DEP_3) | instskip(NEXT) | instid1(VALU_DEP_3)
	v_lshlrev_b64_e32 v[4:5], 3, v[4:5]
	v_lshlrev_b64_e32 v[6:7], 3, v[6:7]
	s_delay_alu instid0(VALU_DEP_1) | instskip(SKIP_2) | instid1(VALU_DEP_1)
	v_lshl_add_u64 v[6:7], v[10:11], 3, v[6:7]
	v_mov_b32_e32 v10, v0
	v_mul_u64_e32 v[8:9], s[18:19], v[0:1]
	v_lshl_add_u64 v[4:5], v[8:9], 3, v[4:5]
	s_delay_alu instid0(VALU_DEP_1) | instskip(SKIP_1) | instid1(SALU_CYCLE_1)
	v_add_nc_u64_e32 v[4:5], s[2:3], v[4:5]
	s_lshl_b64 s[2:3], s[14:15], 3
	s_add_nc_u64 s[2:3], s[12:13], s[2:3]
	s_delay_alu instid0(SALU_CYCLE_1) | instskip(SKIP_1) | instid1(VALU_DEP_2)
	v_add_nc_u64_e32 v[6:7], s[2:3], v[6:7]
	s_lshl_b64 s[2:3], s[4:5], 8
	v_add_nc_u64_e32 v[8:9], 4, v[4:5]
	v_dual_mov_b32 v4, v1 :: v_dual_mov_b32 v5, v1
	s_lshl_b64 s[4:5], s[18:19], 8
.LBB32_3:                               ; =>This Inner Loop Header: Depth=1
	global_load_b64 v[12:13], v[8:9], off offset:-4
	global_load_b64 v[14:15], v[6:7], off
	s_wait_xcnt 0x0
	v_add_nc_u64_e32 v[6:7], s[2:3], v[6:7]
	v_add_nc_u64_e32 v[8:9], s[4:5], v[8:9]
	s_wait_loadcnt 0x0
	v_pk_mul_f32 v[16:17], v[14:15], v[12:13] op_sel:[1,1] op_sel_hi:[0,1]
	s_delay_alu instid0(VALU_DEP_1) | instskip(SKIP_2) | instid1(VALU_DEP_3)
	v_pk_fma_f32 v[18:19], v[14:15], v[12:13], v[16:17] op_sel_hi:[1,0,1]
	v_add_nc_u32_e32 v10, 32, v10
	v_pk_fma_f32 v[12:13], v[14:15], v[12:13], v[16:17] neg_lo:[0,0,1] neg_hi:[0,0,1]
	v_mov_b32_e32 v13, v19
	s_delay_alu instid0(VALU_DEP_3) | instskip(NEXT) | instid1(VALU_DEP_2)
	v_cmp_le_i32_e32 vcc_lo, s6, v10
	v_pk_add_f32 v[4:5], v[4:5], v[12:13]
	s_or_b32 s8, vcc_lo, s8
	s_delay_alu instid0(SALU_CYCLE_1)
	s_and_not1_b32 exec_lo, exec_lo, s8
	s_cbranch_execnz .LBB32_3
; %bb.4:
	s_or_b32 exec_lo, exec_lo, s8
.LBB32_5:
	s_delay_alu instid0(SALU_CYCLE_1) | instskip(SKIP_4) | instid1(VALU_DEP_1)
	s_or_b32 exec_lo, exec_lo, s7
	v_mbcnt_lo_u32_b32 v1, -1, 0
	s_load_b64 s[0:1], s[0:1], 0x50
	s_barrier_signal -1
	s_barrier_wait -1
	v_lshl_or_b32 v7, v1, 2, 64
	v_cmp_gt_u32_e32 vcc_lo, 24, v1
	ds_bpermute_b32 v6, v7, v4
	ds_bpermute_b32 v7, v7, v5
	v_cndmask_b32_e64 v8, 0, 8, vcc_lo
	v_cmp_gt_u32_e32 vcc_lo, 28, v1
	s_delay_alu instid0(VALU_DEP_2)
	v_add_lshl_u32 v8, v8, v1, 2
	s_wait_dscnt 0x0
	v_pk_add_f32 v[4:5], v[4:5], v[6:7]
	ds_bpermute_b32 v6, v8, v4
	ds_bpermute_b32 v7, v8, v5
	v_cndmask_b32_e64 v8, 0, 4, vcc_lo
	v_cmp_gt_u32_e32 vcc_lo, 30, v1
	s_delay_alu instid0(VALU_DEP_2)
	v_add_lshl_u32 v8, v8, v1, 2
	s_wait_dscnt 0x0
	v_pk_add_f32 v[4:5], v[4:5], v[6:7]
	ds_bpermute_b32 v6, v8, v4
	ds_bpermute_b32 v7, v8, v5
	v_cndmask_b32_e64 v8, 0, 2, vcc_lo
	v_cmp_ne_u32_e32 vcc_lo, 31, v1
	s_delay_alu instid0(VALU_DEP_2) | instskip(SKIP_2) | instid1(VALU_DEP_2)
	v_add_lshl_u32 v8, v8, v1, 2
	v_add_co_ci_u32_e64 v1, null, 0, v1, vcc_lo
	v_cmp_eq_u32_e32 vcc_lo, 0, v0
	v_lshlrev_b32_e32 v1, 2, v1
	s_wait_dscnt 0x0
	v_pk_add_f32 v[4:5], v[4:5], v[6:7]
	ds_bpermute_b32 v6, v8, v4
	ds_bpermute_b32 v7, v8, v5
	s_wait_dscnt 0x0
	v_pk_add_f32 v[4:5], v[4:5], v[6:7]
	ds_bpermute_b32 v6, v1, v4
	ds_bpermute_b32 v7, v1, v5
	s_and_b32 exec_lo, exec_lo, vcc_lo
	s_cbranch_execz .LBB32_7
; %bb.6:
	s_wait_kmcnt 0x0
	v_lshl_add_u64 v[0:1], v[2:3], 3, s[0:1]
	s_wait_dscnt 0x0
	v_pk_add_f32 v[2:3], v[4:5], v[6:7]
	global_store_b64 v[0:1], v[2:3], off
.LBB32_7:
	s_endpgm
	.section	.rodata,"a",@progbits
	.p2align	6, 0x0
	.amdhsa_kernel _ZL28rocblas_dot_batched_4_kernelIiLi32ELi4ELb0E19rocblas_complex_numIfES1_PKS1_EviT5_lT_lS4_lS5_liPT4_
		.amdhsa_group_segment_fixed_size 0
		.amdhsa_private_segment_fixed_size 0
		.amdhsa_kernarg_size 88
		.amdhsa_user_sgpr_count 2
		.amdhsa_user_sgpr_dispatch_ptr 0
		.amdhsa_user_sgpr_queue_ptr 0
		.amdhsa_user_sgpr_kernarg_segment_ptr 1
		.amdhsa_user_sgpr_dispatch_id 0
		.amdhsa_user_sgpr_kernarg_preload_length 0
		.amdhsa_user_sgpr_kernarg_preload_offset 0
		.amdhsa_user_sgpr_private_segment_size 0
		.amdhsa_wavefront_size32 1
		.amdhsa_uses_dynamic_stack 0
		.amdhsa_enable_private_segment 0
		.amdhsa_system_sgpr_workgroup_id_x 1
		.amdhsa_system_sgpr_workgroup_id_y 0
		.amdhsa_system_sgpr_workgroup_id_z 0
		.amdhsa_system_sgpr_workgroup_info 0
		.amdhsa_system_vgpr_workitem_id 1
		.amdhsa_next_free_vgpr 20
		.amdhsa_next_free_sgpr 20
		.amdhsa_named_barrier_count 0
		.amdhsa_reserve_vcc 1
		.amdhsa_float_round_mode_32 0
		.amdhsa_float_round_mode_16_64 0
		.amdhsa_float_denorm_mode_32 3
		.amdhsa_float_denorm_mode_16_64 3
		.amdhsa_fp16_overflow 0
		.amdhsa_memory_ordered 1
		.amdhsa_forward_progress 1
		.amdhsa_inst_pref_size 6
		.amdhsa_round_robin_scheduling 0
		.amdhsa_exception_fp_ieee_invalid_op 0
		.amdhsa_exception_fp_denorm_src 0
		.amdhsa_exception_fp_ieee_div_zero 0
		.amdhsa_exception_fp_ieee_overflow 0
		.amdhsa_exception_fp_ieee_underflow 0
		.amdhsa_exception_fp_ieee_inexact 0
		.amdhsa_exception_int_div_zero 0
	.end_amdhsa_kernel
	.section	.text._ZL28rocblas_dot_batched_4_kernelIiLi32ELi4ELb0E19rocblas_complex_numIfES1_PKS1_EviT5_lT_lS4_lS5_liPT4_,"axG",@progbits,_ZL28rocblas_dot_batched_4_kernelIiLi32ELi4ELb0E19rocblas_complex_numIfES1_PKS1_EviT5_lT_lS4_lS5_liPT4_,comdat
.Lfunc_end32:
	.size	_ZL28rocblas_dot_batched_4_kernelIiLi32ELi4ELb0E19rocblas_complex_numIfES1_PKS1_EviT5_lT_lS4_lS5_liPT4_, .Lfunc_end32-_ZL28rocblas_dot_batched_4_kernelIiLi32ELi4ELb0E19rocblas_complex_numIfES1_PKS1_EviT5_lT_lS4_lS5_liPT4_
                                        ; -- End function
	.set _ZL28rocblas_dot_batched_4_kernelIiLi32ELi4ELb0E19rocblas_complex_numIfES1_PKS1_EviT5_lT_lS4_lS5_liPT4_.num_vgpr, 20
	.set _ZL28rocblas_dot_batched_4_kernelIiLi32ELi4ELb0E19rocblas_complex_numIfES1_PKS1_EviT5_lT_lS4_lS5_liPT4_.num_agpr, 0
	.set _ZL28rocblas_dot_batched_4_kernelIiLi32ELi4ELb0E19rocblas_complex_numIfES1_PKS1_EviT5_lT_lS4_lS5_liPT4_.numbered_sgpr, 20
	.set _ZL28rocblas_dot_batched_4_kernelIiLi32ELi4ELb0E19rocblas_complex_numIfES1_PKS1_EviT5_lT_lS4_lS5_liPT4_.num_named_barrier, 0
	.set _ZL28rocblas_dot_batched_4_kernelIiLi32ELi4ELb0E19rocblas_complex_numIfES1_PKS1_EviT5_lT_lS4_lS5_liPT4_.private_seg_size, 0
	.set _ZL28rocblas_dot_batched_4_kernelIiLi32ELi4ELb0E19rocblas_complex_numIfES1_PKS1_EviT5_lT_lS4_lS5_liPT4_.uses_vcc, 1
	.set _ZL28rocblas_dot_batched_4_kernelIiLi32ELi4ELb0E19rocblas_complex_numIfES1_PKS1_EviT5_lT_lS4_lS5_liPT4_.uses_flat_scratch, 0
	.set _ZL28rocblas_dot_batched_4_kernelIiLi32ELi4ELb0E19rocblas_complex_numIfES1_PKS1_EviT5_lT_lS4_lS5_liPT4_.has_dyn_sized_stack, 0
	.set _ZL28rocblas_dot_batched_4_kernelIiLi32ELi4ELb0E19rocblas_complex_numIfES1_PKS1_EviT5_lT_lS4_lS5_liPT4_.has_recursion, 0
	.set _ZL28rocblas_dot_batched_4_kernelIiLi32ELi4ELb0E19rocblas_complex_numIfES1_PKS1_EviT5_lT_lS4_lS5_liPT4_.has_indirect_call, 0
	.section	.AMDGPU.csdata,"",@progbits
; Kernel info:
; codeLenInByte = 724
; TotalNumSgprs: 22
; NumVgprs: 20
; ScratchSize: 0
; MemoryBound: 0
; FloatMode: 240
; IeeeMode: 1
; LDSByteSize: 0 bytes/workgroup (compile time only)
; SGPRBlocks: 0
; VGPRBlocks: 1
; NumSGPRsForWavesPerEU: 22
; NumVGPRsForWavesPerEU: 20
; NamedBarCnt: 0
; Occupancy: 16
; WaveLimiterHint : 0
; COMPUTE_PGM_RSRC2:SCRATCH_EN: 0
; COMPUTE_PGM_RSRC2:USER_SGPR: 2
; COMPUTE_PGM_RSRC2:TRAP_HANDLER: 0
; COMPUTE_PGM_RSRC2:TGID_X_EN: 1
; COMPUTE_PGM_RSRC2:TGID_Y_EN: 0
; COMPUTE_PGM_RSRC2:TGID_Z_EN: 0
; COMPUTE_PGM_RSRC2:TIDIG_COMP_CNT: 1
	.section	.text._ZL28rocblas_dot_batched_4_kernelIiLi64ELi4ELb0E19rocblas_complex_numIfES1_PKS1_EviT5_lT_lS4_lS5_liPT4_,"axG",@progbits,_ZL28rocblas_dot_batched_4_kernelIiLi64ELi4ELb0E19rocblas_complex_numIfES1_PKS1_EviT5_lT_lS4_lS5_liPT4_,comdat
	.globl	_ZL28rocblas_dot_batched_4_kernelIiLi64ELi4ELb0E19rocblas_complex_numIfES1_PKS1_EviT5_lT_lS4_lS5_liPT4_ ; -- Begin function _ZL28rocblas_dot_batched_4_kernelIiLi64ELi4ELb0E19rocblas_complex_numIfES1_PKS1_EviT5_lT_lS4_lS5_liPT4_
	.p2align	8
	.type	_ZL28rocblas_dot_batched_4_kernelIiLi64ELi4ELb0E19rocblas_complex_numIfES1_PKS1_EviT5_lT_lS4_lS5_liPT4_,@function
_ZL28rocblas_dot_batched_4_kernelIiLi64ELi4ELb0E19rocblas_complex_numIfES1_PKS1_EviT5_lT_lS4_lS5_liPT4_: ; @_ZL28rocblas_dot_batched_4_kernelIiLi64ELi4ELb0E19rocblas_complex_numIfES1_PKS1_EviT5_lT_lS4_lS5_liPT4_
; %bb.0:
	s_load_b32 s2, s[0:1], 0x48
	s_bfe_u32 s3, ttmp6, 0x4000c
	s_and_b32 s4, ttmp6, 15
	s_add_co_i32 s3, s3, 1
	v_bfe_u32 v1, v0, 10, 10
	s_mul_i32 s3, ttmp9, s3
	s_delay_alu instid0(SALU_CYCLE_1) | instskip(SKIP_1) | instid1(SALU_CYCLE_1)
	s_add_co_i32 s4, s4, s3
	s_getreg_b32 s3, hwreg(HW_REG_IB_STS2, 6, 4)
	s_cmp_eq_u32 s3, 0
	s_cselect_b32 s3, ttmp9, s4
	s_delay_alu instid0(SALU_CYCLE_1) | instskip(SKIP_1) | instid1(VALU_DEP_1)
	v_lshl_add_u32 v2, s3, 2, v1
	s_wait_kmcnt 0x0
	v_cmp_gt_u32_e32 vcc_lo, s2, v2
	s_and_saveexec_b32 s2, vcc_lo
	s_cbranch_execz .LBB33_7
; %bb.1:
	s_load_b32 s6, s[0:1], 0x0
	v_mov_b32_e32 v3, 0
	v_and_b32_e32 v0, 0x3ff, v0
	s_mov_b32 s7, exec_lo
	s_delay_alu instid0(VALU_DEP_2) | instskip(SKIP_1) | instid1(VALU_DEP_2)
	v_dual_mov_b32 v5, v3 :: v_dual_mov_b32 v4, v3
	s_wait_kmcnt 0x0
	v_cmpx_gt_i32_e64 s6, v0
	s_cbranch_execz .LBB33_5
; %bb.2:
	s_clause 0x3
	s_load_b64 s[2:3], s[0:1], 0x40
	s_load_b96 s[16:18], s[0:1], 0x30
	s_load_b128 s[8:11], s[0:1], 0x20
	s_load_b32 s4, s[0:1], 0x18
	v_mov_b32_e32 v1, 0
	s_load_b128 s[12:15], s[0:1], 0x8
	s_wait_kmcnt 0x0
	v_mul_u64_e32 v[4:5], s[2:3], v[2:3]
	s_ashr_i32 s19, s18, 31
	v_mul_u64_e32 v[6:7], s[8:9], v[2:3]
	s_ashr_i32 s5, s4, 31
	s_lshl_b64 s[2:3], s[16:17], 3
	v_mul_u64_e32 v[10:11], s[4:5], v[0:1]
	s_add_nc_u64 s[2:3], s[10:11], s[2:3]
	s_mov_b32 s8, 0
	s_delay_alu instid0(VALU_DEP_3) | instskip(NEXT) | instid1(VALU_DEP_3)
	v_lshlrev_b64_e32 v[4:5], 3, v[4:5]
	v_lshlrev_b64_e32 v[6:7], 3, v[6:7]
	s_delay_alu instid0(VALU_DEP_1) | instskip(SKIP_2) | instid1(VALU_DEP_1)
	v_lshl_add_u64 v[6:7], v[10:11], 3, v[6:7]
	v_mov_b32_e32 v10, v0
	v_mul_u64_e32 v[8:9], s[18:19], v[0:1]
	v_lshl_add_u64 v[4:5], v[8:9], 3, v[4:5]
	s_delay_alu instid0(VALU_DEP_1) | instskip(SKIP_1) | instid1(SALU_CYCLE_1)
	v_add_nc_u64_e32 v[4:5], s[2:3], v[4:5]
	s_lshl_b64 s[2:3], s[14:15], 3
	s_add_nc_u64 s[2:3], s[12:13], s[2:3]
	s_delay_alu instid0(SALU_CYCLE_1) | instskip(SKIP_1) | instid1(VALU_DEP_2)
	v_add_nc_u64_e32 v[6:7], s[2:3], v[6:7]
	s_lshl_b64 s[2:3], s[4:5], 9
	v_add_nc_u64_e32 v[8:9], 4, v[4:5]
	v_dual_mov_b32 v4, v1 :: v_dual_mov_b32 v5, v1
	s_lshl_b64 s[4:5], s[18:19], 9
.LBB33_3:                               ; =>This Inner Loop Header: Depth=1
	global_load_b64 v[12:13], v[8:9], off offset:-4
	global_load_b64 v[14:15], v[6:7], off
	s_wait_xcnt 0x0
	v_add_nc_u64_e32 v[6:7], s[2:3], v[6:7]
	v_add_nc_u64_e32 v[8:9], s[4:5], v[8:9]
	s_wait_loadcnt 0x0
	v_pk_mul_f32 v[16:17], v[14:15], v[12:13] op_sel:[1,1] op_sel_hi:[0,1]
	s_delay_alu instid0(VALU_DEP_1) | instskip(SKIP_2) | instid1(VALU_DEP_3)
	v_pk_fma_f32 v[18:19], v[14:15], v[12:13], v[16:17] op_sel_hi:[1,0,1]
	v_add_nc_u32_e32 v10, 64, v10
	v_pk_fma_f32 v[12:13], v[14:15], v[12:13], v[16:17] neg_lo:[0,0,1] neg_hi:[0,0,1]
	v_mov_b32_e32 v13, v19
	s_delay_alu instid0(VALU_DEP_3) | instskip(NEXT) | instid1(VALU_DEP_2)
	v_cmp_le_i32_e32 vcc_lo, s6, v10
	v_pk_add_f32 v[4:5], v[4:5], v[12:13]
	s_or_b32 s8, vcc_lo, s8
	s_delay_alu instid0(SALU_CYCLE_1)
	s_and_not1_b32 exec_lo, exec_lo, s8
	s_cbranch_execnz .LBB33_3
; %bb.4:
	s_or_b32 exec_lo, exec_lo, s8
.LBB33_5:
	s_delay_alu instid0(SALU_CYCLE_1) | instskip(SKIP_4) | instid1(VALU_DEP_1)
	s_or_b32 exec_lo, exec_lo, s7
	v_mbcnt_lo_u32_b32 v1, -1, 0
	s_load_b64 s[0:1], s[0:1], 0x50
	s_barrier_signal -1
	s_barrier_wait -1
	v_lshlrev_b32_e32 v8, 2, v1
	v_cmp_gt_u32_e32 vcc_lo, 24, v1
	ds_bpermute_b32 v6, v8, v4
	ds_bpermute_b32 v7, v8, v5
	v_or_b32_e32 v8, 64, v8
	s_wait_dscnt 0x0
	v_pk_add_f32 v[4:5], v[4:5], v[6:7]
	ds_bpermute_b32 v6, v8, v4
	ds_bpermute_b32 v7, v8, v5
	v_cndmask_b32_e64 v8, 0, 8, vcc_lo
	v_cmp_gt_u32_e32 vcc_lo, 28, v1
	s_delay_alu instid0(VALU_DEP_2)
	v_add_lshl_u32 v8, v8, v1, 2
	s_wait_dscnt 0x0
	v_pk_add_f32 v[4:5], v[4:5], v[6:7]
	ds_bpermute_b32 v6, v8, v4
	ds_bpermute_b32 v7, v8, v5
	v_cndmask_b32_e64 v8, 0, 4, vcc_lo
	v_cmp_gt_u32_e32 vcc_lo, 30, v1
	s_delay_alu instid0(VALU_DEP_2)
	v_add_lshl_u32 v8, v8, v1, 2
	s_wait_dscnt 0x0
	v_pk_add_f32 v[4:5], v[4:5], v[6:7]
	ds_bpermute_b32 v6, v8, v4
	ds_bpermute_b32 v7, v8, v5
	v_cndmask_b32_e64 v8, 0, 2, vcc_lo
	v_cmp_ne_u32_e32 vcc_lo, 31, v1
	s_delay_alu instid0(VALU_DEP_2) | instskip(SKIP_2) | instid1(VALU_DEP_2)
	v_add_lshl_u32 v8, v8, v1, 2
	v_add_co_ci_u32_e64 v1, null, 0, v1, vcc_lo
	v_cmp_eq_u32_e32 vcc_lo, 0, v0
	v_lshlrev_b32_e32 v1, 2, v1
	s_wait_dscnt 0x0
	v_pk_add_f32 v[4:5], v[4:5], v[6:7]
	ds_bpermute_b32 v6, v8, v4
	ds_bpermute_b32 v7, v8, v5
	s_wait_dscnt 0x0
	v_pk_add_f32 v[4:5], v[4:5], v[6:7]
	ds_bpermute_b32 v6, v1, v4
	ds_bpermute_b32 v7, v1, v5
	s_and_b32 exec_lo, exec_lo, vcc_lo
	s_cbranch_execz .LBB33_7
; %bb.6:
	s_wait_kmcnt 0x0
	v_lshl_add_u64 v[0:1], v[2:3], 3, s[0:1]
	s_wait_dscnt 0x0
	v_pk_add_f32 v[2:3], v[4:5], v[6:7]
	global_store_b64 v[0:1], v[2:3], off
.LBB33_7:
	s_endpgm
	.section	.rodata,"a",@progbits
	.p2align	6, 0x0
	.amdhsa_kernel _ZL28rocblas_dot_batched_4_kernelIiLi64ELi4ELb0E19rocblas_complex_numIfES1_PKS1_EviT5_lT_lS4_lS5_liPT4_
		.amdhsa_group_segment_fixed_size 0
		.amdhsa_private_segment_fixed_size 0
		.amdhsa_kernarg_size 88
		.amdhsa_user_sgpr_count 2
		.amdhsa_user_sgpr_dispatch_ptr 0
		.amdhsa_user_sgpr_queue_ptr 0
		.amdhsa_user_sgpr_kernarg_segment_ptr 1
		.amdhsa_user_sgpr_dispatch_id 0
		.amdhsa_user_sgpr_kernarg_preload_length 0
		.amdhsa_user_sgpr_kernarg_preload_offset 0
		.amdhsa_user_sgpr_private_segment_size 0
		.amdhsa_wavefront_size32 1
		.amdhsa_uses_dynamic_stack 0
		.amdhsa_enable_private_segment 0
		.amdhsa_system_sgpr_workgroup_id_x 1
		.amdhsa_system_sgpr_workgroup_id_y 0
		.amdhsa_system_sgpr_workgroup_id_z 0
		.amdhsa_system_sgpr_workgroup_info 0
		.amdhsa_system_vgpr_workitem_id 1
		.amdhsa_next_free_vgpr 20
		.amdhsa_next_free_sgpr 20
		.amdhsa_named_barrier_count 0
		.amdhsa_reserve_vcc 1
		.amdhsa_float_round_mode_32 0
		.amdhsa_float_round_mode_16_64 0
		.amdhsa_float_denorm_mode_32 3
		.amdhsa_float_denorm_mode_16_64 3
		.amdhsa_fp16_overflow 0
		.amdhsa_memory_ordered 1
		.amdhsa_forward_progress 1
		.amdhsa_inst_pref_size 6
		.amdhsa_round_robin_scheduling 0
		.amdhsa_exception_fp_ieee_invalid_op 0
		.amdhsa_exception_fp_denorm_src 0
		.amdhsa_exception_fp_ieee_div_zero 0
		.amdhsa_exception_fp_ieee_overflow 0
		.amdhsa_exception_fp_ieee_underflow 0
		.amdhsa_exception_fp_ieee_inexact 0
		.amdhsa_exception_int_div_zero 0
	.end_amdhsa_kernel
	.section	.text._ZL28rocblas_dot_batched_4_kernelIiLi64ELi4ELb0E19rocblas_complex_numIfES1_PKS1_EviT5_lT_lS4_lS5_liPT4_,"axG",@progbits,_ZL28rocblas_dot_batched_4_kernelIiLi64ELi4ELb0E19rocblas_complex_numIfES1_PKS1_EviT5_lT_lS4_lS5_liPT4_,comdat
.Lfunc_end33:
	.size	_ZL28rocblas_dot_batched_4_kernelIiLi64ELi4ELb0E19rocblas_complex_numIfES1_PKS1_EviT5_lT_lS4_lS5_liPT4_, .Lfunc_end33-_ZL28rocblas_dot_batched_4_kernelIiLi64ELi4ELb0E19rocblas_complex_numIfES1_PKS1_EviT5_lT_lS4_lS5_liPT4_
                                        ; -- End function
	.set _ZL28rocblas_dot_batched_4_kernelIiLi64ELi4ELb0E19rocblas_complex_numIfES1_PKS1_EviT5_lT_lS4_lS5_liPT4_.num_vgpr, 20
	.set _ZL28rocblas_dot_batched_4_kernelIiLi64ELi4ELb0E19rocblas_complex_numIfES1_PKS1_EviT5_lT_lS4_lS5_liPT4_.num_agpr, 0
	.set _ZL28rocblas_dot_batched_4_kernelIiLi64ELi4ELb0E19rocblas_complex_numIfES1_PKS1_EviT5_lT_lS4_lS5_liPT4_.numbered_sgpr, 20
	.set _ZL28rocblas_dot_batched_4_kernelIiLi64ELi4ELb0E19rocblas_complex_numIfES1_PKS1_EviT5_lT_lS4_lS5_liPT4_.num_named_barrier, 0
	.set _ZL28rocblas_dot_batched_4_kernelIiLi64ELi4ELb0E19rocblas_complex_numIfES1_PKS1_EviT5_lT_lS4_lS5_liPT4_.private_seg_size, 0
	.set _ZL28rocblas_dot_batched_4_kernelIiLi64ELi4ELb0E19rocblas_complex_numIfES1_PKS1_EviT5_lT_lS4_lS5_liPT4_.uses_vcc, 1
	.set _ZL28rocblas_dot_batched_4_kernelIiLi64ELi4ELb0E19rocblas_complex_numIfES1_PKS1_EviT5_lT_lS4_lS5_liPT4_.uses_flat_scratch, 0
	.set _ZL28rocblas_dot_batched_4_kernelIiLi64ELi4ELb0E19rocblas_complex_numIfES1_PKS1_EviT5_lT_lS4_lS5_liPT4_.has_dyn_sized_stack, 0
	.set _ZL28rocblas_dot_batched_4_kernelIiLi64ELi4ELb0E19rocblas_complex_numIfES1_PKS1_EviT5_lT_lS4_lS5_liPT4_.has_recursion, 0
	.set _ZL28rocblas_dot_batched_4_kernelIiLi64ELi4ELb0E19rocblas_complex_numIfES1_PKS1_EviT5_lT_lS4_lS5_liPT4_.has_indirect_call, 0
	.section	.AMDGPU.csdata,"",@progbits
; Kernel info:
; codeLenInByte = 752
; TotalNumSgprs: 22
; NumVgprs: 20
; ScratchSize: 0
; MemoryBound: 0
; FloatMode: 240
; IeeeMode: 1
; LDSByteSize: 0 bytes/workgroup (compile time only)
; SGPRBlocks: 0
; VGPRBlocks: 1
; NumSGPRsForWavesPerEU: 22
; NumVGPRsForWavesPerEU: 20
; NamedBarCnt: 0
; Occupancy: 16
; WaveLimiterHint : 0
; COMPUTE_PGM_RSRC2:SCRATCH_EN: 0
; COMPUTE_PGM_RSRC2:USER_SGPR: 2
; COMPUTE_PGM_RSRC2:TRAP_HANDLER: 0
; COMPUTE_PGM_RSRC2:TGID_X_EN: 1
; COMPUTE_PGM_RSRC2:TGID_Y_EN: 0
; COMPUTE_PGM_RSRC2:TGID_Z_EN: 0
; COMPUTE_PGM_RSRC2:TIDIG_COMP_CNT: 1
	.section	.text._ZL26rocblas_dot_kernel_inc1by2ILb1ELi1024ELi32ELb0E19rocblas_complex_numIfEPKS1_S1_EviT4_llS4_lliPT5_PT3_,"axG",@progbits,_ZL26rocblas_dot_kernel_inc1by2ILb1ELi1024ELi32ELb0E19rocblas_complex_numIfEPKS1_S1_EviT4_llS4_lliPT5_PT3_,comdat
	.globl	_ZL26rocblas_dot_kernel_inc1by2ILb1ELi1024ELi32ELb0E19rocblas_complex_numIfEPKS1_S1_EviT4_llS4_lliPT5_PT3_ ; -- Begin function _ZL26rocblas_dot_kernel_inc1by2ILb1ELi1024ELi32ELb0E19rocblas_complex_numIfEPKS1_S1_EviT4_llS4_lliPT5_PT3_
	.p2align	8
	.type	_ZL26rocblas_dot_kernel_inc1by2ILb1ELi1024ELi32ELb0E19rocblas_complex_numIfEPKS1_S1_EviT4_llS4_lliPT5_PT3_,@function
_ZL26rocblas_dot_kernel_inc1by2ILb1ELi1024ELi32ELb0E19rocblas_complex_numIfEPKS1_S1_EviT4_llS4_lliPT5_PT3_: ; @_ZL26rocblas_dot_kernel_inc1by2ILb1ELi1024ELi32ELb0E19rocblas_complex_numIfEPKS1_S1_EviT4_llS4_lliPT5_PT3_
; %bb.0:
	s_load_b32 s3, s[0:1], 0x38
	s_bfe_u32 s2, ttmp6, 0x40014
	s_lshr_b32 s4, ttmp7, 16
	s_add_co_i32 s2, s2, 1
	s_bfe_u32 s5, ttmp6, 0x40008
	s_mul_i32 s2, s4, s2
	s_getreg_b32 s6, hwreg(HW_REG_IB_STS2, 6, 4)
	s_add_co_i32 s5, s5, s2
	s_cmp_eq_u32 s6, 0
	s_mov_b32 s9, 0
	s_cselect_b32 s8, s4, s5
	s_wait_kmcnt 0x0
	s_cmp_ge_u32 s8, s3
	s_cbranch_scc1 .LBB34_17
; %bb.1:
	v_mbcnt_lo_u32_b32 v2, -1, 0
	s_clause 0x5
	s_load_b64 s[18:19], s[0:1], 0x8
	s_load_b32 s16, s[0:1], 0x0
	s_load_b64 s[20:21], s[0:1], 0x20
	s_load_b128 s[4:7], s[0:1], 0x10
	s_load_b64 s[10:11], s[0:1], 0x48
	s_load_b128 s[12:15], s[0:1], 0x28
	v_and_b32_e32 v1, 31, v0
	s_wait_xcnt 0x0
	v_cmp_eq_u32_e64 s1, 0, v0
	v_cmp_gt_u32_e64 s0, 24, v2
	v_lshl_or_b32 v11, v2, 2, 64
	v_mov_b32_e32 v17, 0
	v_cmp_gt_u32_e32 vcc_lo, 32, v0
	s_delay_alu instid0(VALU_DEP_4) | instskip(SKIP_1) | instid1(VALU_DEP_2)
	v_cndmask_b32_e64 v3, 0, 8, s0
	v_cmp_gt_u32_e64 s0, 28, v2
	v_add_lshl_u32 v12, v3, v2, 2
	s_delay_alu instid0(VALU_DEP_2) | instskip(SKIP_2) | instid1(VALU_DEP_3)
	v_cndmask_b32_e64 v4, 0, 4, s0
	v_cmp_gt_u32_e64 s0, 30, v2
	v_lshrrev_b32_e32 v3, 2, v0
	v_add_lshl_u32 v13, v4, v2, 2
	s_delay_alu instid0(VALU_DEP_3) | instskip(SKIP_1) | instid1(VALU_DEP_4)
	v_cndmask_b32_e64 v5, 0, 2, s0
	v_cmp_ne_u32_e64 s0, 31, v2
	v_and_b32_e32 v16, 0xf8, v3
	s_wait_kmcnt 0x0
	s_lshl_b64 s[12:13], s[12:13], 3
	s_lshl_b64 s[6:7], s[6:7], 3
	v_add_lshl_u32 v14, v5, v2, 2
	v_add_co_ci_u32_e64 v6, null, 0, v2, s0
	v_mov_b64_e32 v[2:3], 0
	v_lshlrev_b32_e32 v10, 3, v1
	v_cmp_eq_u32_e64 s0, 0, v1
	s_delay_alu instid0(VALU_DEP_4)
	v_lshlrev_b32_e32 v15, 2, v6
	s_add_nc_u64 s[12:13], s[20:21], s[12:13]
	s_lshl_b64 s[20:21], s[4:5], 3
	s_lshl_b64 s[4:5], s[14:15], 3
	s_add_nc_u64 s[14:15], s[18:19], s[20:21]
	s_branch .LBB34_3
.LBB34_2:                               ;   in Loop: Header=BB34_3 Depth=1
	s_wait_xcnt 0x0
	s_or_b32 exec_lo, exec_lo, s2
	s_add_co_i32 s8, s8, 0x10000
	s_delay_alu instid0(SALU_CYCLE_1)
	s_cmp_lt_u32 s8, s3
	s_cbranch_scc0 .LBB34_17
.LBB34_3:                               ; =>This Loop Header: Depth=1
                                        ;     Child Loop BB34_5 Depth 2
	s_wait_dscnt 0x0
	v_dual_mov_b32 v5, 0 :: v_dual_mov_b32 v4, 0
	s_mov_b32 s17, exec_lo
	v_cmpx_gt_i32_e64 s16, v0
	s_cbranch_execz .LBB34_7
; %bb.4:                                ;   in Loop: Header=BB34_3 Depth=1
	v_dual_mov_b32 v4, 0 :: v_dual_ashrrev_i32 v1, 31, v0
	s_mul_u64 s[18:19], s[4:5], s[8:9]
	s_mul_u64 s[20:21], s[6:7], s[8:9]
	s_add_nc_u64 s[18:19], s[12:13], s[18:19]
	s_delay_alu instid0(VALU_DEP_1) | instskip(SKIP_3) | instid1(VALU_DEP_2)
	v_lshlrev_b64_e32 v[8:9], 3, v[0:1]
	s_add_nc_u64 s[20:21], s[14:15], s[20:21]
	v_mov_b32_e32 v5, v4
	s_mov_b32 s2, 0
	v_add_nc_u64_e32 v[6:7], s[18:19], v[8:9]
	v_add_nc_u64_e32 v[8:9], s[20:21], v[8:9]
	s_mov_b32 s18, 0
.LBB34_5:                               ;   Parent Loop BB34_3 Depth=1
                                        ; =>  This Inner Loop Header: Depth=2
	global_load_b64 v[18:19], v[6:7], off
	global_load_b64 v[20:21], v[8:9], off
	s_add_co_i32 s19, s2, 1
	s_cmp_gt_u32 s2, 30
	s_wait_xcnt 0x1
	v_add_nc_u64_e32 v[6:7], 0x2000, v[6:7]
	s_cselect_b32 s20, -1, 0
	s_wait_xcnt 0x0
	v_add_nc_u64_e32 v[8:9], 0x2000, v[8:9]
	s_wait_loadcnt 0x0
	v_pk_mul_f32 v[22:23], v[20:21], v[18:19] op_sel:[1,1] op_sel_hi:[0,1]
	s_delay_alu instid0(VALU_DEP_1) | instskip(SKIP_2) | instid1(VALU_DEP_3)
	v_pk_fma_f32 v[24:25], v[20:21], v[18:19], v[22:23] op_sel_hi:[1,0,1]
	v_add_nc_u32_e32 v0, 0x400, v0
	v_pk_fma_f32 v[18:19], v[20:21], v[18:19], v[22:23] neg_lo:[0,0,1] neg_hi:[0,0,1]
	v_mov_b32_e32 v19, v25
	s_delay_alu instid0(VALU_DEP_3) | instskip(NEXT) | instid1(VALU_DEP_2)
	v_cmp_le_i32_e64 s2, s16, v0
	v_pk_add_f32 v[4:5], v[4:5], v[18:19]
	s_or_b32 s2, s20, s2
	s_delay_alu instid0(SALU_CYCLE_1) | instskip(NEXT) | instid1(SALU_CYCLE_1)
	s_and_b32 s2, exec_lo, s2
	s_or_b32 s18, s2, s18
	s_mov_b32 s2, s19
	s_and_not1_b32 exec_lo, exec_lo, s18
	s_cbranch_execnz .LBB34_5
; %bb.6:                                ;   in Loop: Header=BB34_3 Depth=1
	s_or_b32 exec_lo, exec_lo, s18
.LBB34_7:                               ;   in Loop: Header=BB34_3 Depth=1
	s_delay_alu instid0(SALU_CYCLE_1)
	s_or_b32 exec_lo, exec_lo, s17
	s_and_saveexec_b32 s2, vcc_lo
; %bb.8:                                ;   in Loop: Header=BB34_3 Depth=1
	ds_store_b64 v10, v[2:3]
; %bb.9:                                ;   in Loop: Header=BB34_3 Depth=1
	s_or_b32 exec_lo, exec_lo, s2
	ds_bpermute_b32 v6, v11, v4
	ds_bpermute_b32 v7, v11, v5
	s_wait_dscnt 0x0
	s_barrier_signal -1
	s_barrier_wait -1
	v_pk_add_f32 v[4:5], v[4:5], v[6:7]
	ds_bpermute_b32 v6, v12, v4
	ds_bpermute_b32 v7, v12, v5
	s_wait_dscnt 0x0
	v_pk_add_f32 v[4:5], v[4:5], v[6:7]
	ds_bpermute_b32 v6, v13, v4
	ds_bpermute_b32 v7, v13, v5
	s_wait_dscnt 0x0
	;; [unrolled: 4-line block ×3, first 2 shown]
	v_pk_add_f32 v[4:5], v[4:5], v[6:7]
	ds_bpermute_b32 v6, v15, v4
	ds_bpermute_b32 v7, v15, v5
	s_and_saveexec_b32 s2, s0
	s_cbranch_execz .LBB34_11
; %bb.10:                               ;   in Loop: Header=BB34_3 Depth=1
	s_wait_dscnt 0x0
	v_pk_add_f32 v[4:5], v[4:5], v[6:7]
	ds_store_b64 v16, v[4:5]
.LBB34_11:                              ;   in Loop: Header=BB34_3 Depth=1
	s_or_b32 exec_lo, exec_lo, s2
	v_mov_b64_e32 v[4:5], 0
	s_wait_dscnt 0x0
	s_barrier_signal -1
	s_barrier_wait -1
	s_and_saveexec_b32 s2, vcc_lo
	s_cbranch_execnz .LBB34_14
; %bb.12:                               ;   in Loop: Header=BB34_3 Depth=1
	s_or_b32 exec_lo, exec_lo, s2
	s_and_saveexec_b32 s2, vcc_lo
	s_cbranch_execnz .LBB34_15
.LBB34_13:                              ;   in Loop: Header=BB34_3 Depth=1
	s_or_b32 exec_lo, exec_lo, s2
	s_and_saveexec_b32 s2, s1
	s_cbranch_execz .LBB34_2
	s_branch .LBB34_16
.LBB34_14:                              ;   in Loop: Header=BB34_3 Depth=1
	ds_load_b64 v[4:5], v10
	s_or_b32 exec_lo, exec_lo, s2
	s_and_saveexec_b32 s2, vcc_lo
	s_cbranch_execz .LBB34_13
.LBB34_15:                              ;   in Loop: Header=BB34_3 Depth=1
	s_wait_dscnt 0x0
	ds_bpermute_b32 v6, v11, v4
	ds_bpermute_b32 v7, v11, v5
	s_wait_dscnt 0x0
	v_pk_add_f32 v[4:5], v[4:5], v[6:7]
	ds_bpermute_b32 v6, v12, v4
	ds_bpermute_b32 v7, v12, v5
	s_wait_dscnt 0x0
	v_pk_add_f32 v[4:5], v[4:5], v[6:7]
	;; [unrolled: 4-line block ×5, first 2 shown]
	s_or_b32 exec_lo, exec_lo, s2
	s_and_saveexec_b32 s2, s1
	s_cbranch_execz .LBB34_2
.LBB34_16:                              ;   in Loop: Header=BB34_3 Depth=1
	s_lshl_b64 s[18:19], s[8:9], 3
	s_delay_alu instid0(SALU_CYCLE_1)
	s_add_nc_u64 s[18:19], s[10:11], s[18:19]
	s_wait_dscnt 0x0
	global_store_b64 v17, v[4:5], s[18:19]
	s_branch .LBB34_2
.LBB34_17:
	s_endpgm
	.section	.rodata,"a",@progbits
	.p2align	6, 0x0
	.amdhsa_kernel _ZL26rocblas_dot_kernel_inc1by2ILb1ELi1024ELi32ELb0E19rocblas_complex_numIfEPKS1_S1_EviT4_llS4_lliPT5_PT3_
		.amdhsa_group_segment_fixed_size 256
		.amdhsa_private_segment_fixed_size 0
		.amdhsa_kernarg_size 80
		.amdhsa_user_sgpr_count 2
		.amdhsa_user_sgpr_dispatch_ptr 0
		.amdhsa_user_sgpr_queue_ptr 0
		.amdhsa_user_sgpr_kernarg_segment_ptr 1
		.amdhsa_user_sgpr_dispatch_id 0
		.amdhsa_user_sgpr_kernarg_preload_length 0
		.amdhsa_user_sgpr_kernarg_preload_offset 0
		.amdhsa_user_sgpr_private_segment_size 0
		.amdhsa_wavefront_size32 1
		.amdhsa_uses_dynamic_stack 0
		.amdhsa_enable_private_segment 0
		.amdhsa_system_sgpr_workgroup_id_x 1
		.amdhsa_system_sgpr_workgroup_id_y 0
		.amdhsa_system_sgpr_workgroup_id_z 1
		.amdhsa_system_sgpr_workgroup_info 0
		.amdhsa_system_vgpr_workitem_id 0
		.amdhsa_next_free_vgpr 26
		.amdhsa_next_free_sgpr 22
		.amdhsa_named_barrier_count 0
		.amdhsa_reserve_vcc 1
		.amdhsa_float_round_mode_32 0
		.amdhsa_float_round_mode_16_64 0
		.amdhsa_float_denorm_mode_32 3
		.amdhsa_float_denorm_mode_16_64 3
		.amdhsa_fp16_overflow 0
		.amdhsa_memory_ordered 1
		.amdhsa_forward_progress 1
		.amdhsa_inst_pref_size 9
		.amdhsa_round_robin_scheduling 0
		.amdhsa_exception_fp_ieee_invalid_op 0
		.amdhsa_exception_fp_denorm_src 0
		.amdhsa_exception_fp_ieee_div_zero 0
		.amdhsa_exception_fp_ieee_overflow 0
		.amdhsa_exception_fp_ieee_underflow 0
		.amdhsa_exception_fp_ieee_inexact 0
		.amdhsa_exception_int_div_zero 0
	.end_amdhsa_kernel
	.section	.text._ZL26rocblas_dot_kernel_inc1by2ILb1ELi1024ELi32ELb0E19rocblas_complex_numIfEPKS1_S1_EviT4_llS4_lliPT5_PT3_,"axG",@progbits,_ZL26rocblas_dot_kernel_inc1by2ILb1ELi1024ELi32ELb0E19rocblas_complex_numIfEPKS1_S1_EviT4_llS4_lliPT5_PT3_,comdat
.Lfunc_end34:
	.size	_ZL26rocblas_dot_kernel_inc1by2ILb1ELi1024ELi32ELb0E19rocblas_complex_numIfEPKS1_S1_EviT4_llS4_lliPT5_PT3_, .Lfunc_end34-_ZL26rocblas_dot_kernel_inc1by2ILb1ELi1024ELi32ELb0E19rocblas_complex_numIfEPKS1_S1_EviT4_llS4_lliPT5_PT3_
                                        ; -- End function
	.set _ZL26rocblas_dot_kernel_inc1by2ILb1ELi1024ELi32ELb0E19rocblas_complex_numIfEPKS1_S1_EviT4_llS4_lliPT5_PT3_.num_vgpr, 26
	.set _ZL26rocblas_dot_kernel_inc1by2ILb1ELi1024ELi32ELb0E19rocblas_complex_numIfEPKS1_S1_EviT4_llS4_lliPT5_PT3_.num_agpr, 0
	.set _ZL26rocblas_dot_kernel_inc1by2ILb1ELi1024ELi32ELb0E19rocblas_complex_numIfEPKS1_S1_EviT4_llS4_lliPT5_PT3_.numbered_sgpr, 22
	.set _ZL26rocblas_dot_kernel_inc1by2ILb1ELi1024ELi32ELb0E19rocblas_complex_numIfEPKS1_S1_EviT4_llS4_lliPT5_PT3_.num_named_barrier, 0
	.set _ZL26rocblas_dot_kernel_inc1by2ILb1ELi1024ELi32ELb0E19rocblas_complex_numIfEPKS1_S1_EviT4_llS4_lliPT5_PT3_.private_seg_size, 0
	.set _ZL26rocblas_dot_kernel_inc1by2ILb1ELi1024ELi32ELb0E19rocblas_complex_numIfEPKS1_S1_EviT4_llS4_lliPT5_PT3_.uses_vcc, 1
	.set _ZL26rocblas_dot_kernel_inc1by2ILb1ELi1024ELi32ELb0E19rocblas_complex_numIfEPKS1_S1_EviT4_llS4_lliPT5_PT3_.uses_flat_scratch, 0
	.set _ZL26rocblas_dot_kernel_inc1by2ILb1ELi1024ELi32ELb0E19rocblas_complex_numIfEPKS1_S1_EviT4_llS4_lliPT5_PT3_.has_dyn_sized_stack, 0
	.set _ZL26rocblas_dot_kernel_inc1by2ILb1ELi1024ELi32ELb0E19rocblas_complex_numIfEPKS1_S1_EviT4_llS4_lliPT5_PT3_.has_recursion, 0
	.set _ZL26rocblas_dot_kernel_inc1by2ILb1ELi1024ELi32ELb0E19rocblas_complex_numIfEPKS1_S1_EviT4_llS4_lliPT5_PT3_.has_indirect_call, 0
	.section	.AMDGPU.csdata,"",@progbits
; Kernel info:
; codeLenInByte = 1048
; TotalNumSgprs: 24
; NumVgprs: 26
; ScratchSize: 0
; MemoryBound: 0
; FloatMode: 240
; IeeeMode: 1
; LDSByteSize: 256 bytes/workgroup (compile time only)
; SGPRBlocks: 0
; VGPRBlocks: 1
; NumSGPRsForWavesPerEU: 24
; NumVGPRsForWavesPerEU: 26
; NamedBarCnt: 0
; Occupancy: 16
; WaveLimiterHint : 0
; COMPUTE_PGM_RSRC2:SCRATCH_EN: 0
; COMPUTE_PGM_RSRC2:USER_SGPR: 2
; COMPUTE_PGM_RSRC2:TRAP_HANDLER: 0
; COMPUTE_PGM_RSRC2:TGID_X_EN: 1
; COMPUTE_PGM_RSRC2:TGID_Y_EN: 0
; COMPUTE_PGM_RSRC2:TGID_Z_EN: 1
; COMPUTE_PGM_RSRC2:TIDIG_COMP_CNT: 0
	.section	.text._ZL18rocblas_dot_kernelIiLb1ELi1024ELi32ELb0E19rocblas_complex_numIfEPKS1_S1_EviT5_lT_lS4_lS5_liPT6_PT4_,"axG",@progbits,_ZL18rocblas_dot_kernelIiLb1ELi1024ELi32ELb0E19rocblas_complex_numIfEPKS1_S1_EviT5_lT_lS4_lS5_liPT6_PT4_,comdat
	.globl	_ZL18rocblas_dot_kernelIiLb1ELi1024ELi32ELb0E19rocblas_complex_numIfEPKS1_S1_EviT5_lT_lS4_lS5_liPT6_PT4_ ; -- Begin function _ZL18rocblas_dot_kernelIiLb1ELi1024ELi32ELb0E19rocblas_complex_numIfEPKS1_S1_EviT5_lT_lS4_lS5_liPT6_PT4_
	.p2align	8
	.type	_ZL18rocblas_dot_kernelIiLb1ELi1024ELi32ELb0E19rocblas_complex_numIfEPKS1_S1_EviT5_lT_lS4_lS5_liPT6_PT4_,@function
_ZL18rocblas_dot_kernelIiLb1ELi1024ELi32ELb0E19rocblas_complex_numIfEPKS1_S1_EviT5_lT_lS4_lS5_liPT6_PT4_: ; @_ZL18rocblas_dot_kernelIiLb1ELi1024ELi32ELb0E19rocblas_complex_numIfEPKS1_S1_EviT5_lT_lS4_lS5_liPT6_PT4_
; %bb.0:
	s_load_b32 s3, s[0:1], 0x48
	s_bfe_u32 s2, ttmp6, 0x40014
	s_lshr_b32 s4, ttmp7, 16
	s_add_co_i32 s2, s2, 1
	s_bfe_u32 s5, ttmp6, 0x40008
	s_mul_i32 s2, s4, s2
	s_getreg_b32 s6, hwreg(HW_REG_IB_STS2, 6, 4)
	s_add_co_i32 s5, s5, s2
	s_cmp_eq_u32 s6, 0
	s_mov_b32 s17, 0
	s_cselect_b32 s16, s4, s5
	s_wait_kmcnt 0x0
	s_cmp_ge_u32 s16, s3
	s_cbranch_scc1 .LBB35_17
; %bb.1:
	v_mbcnt_lo_u32_b32 v3, -1, 0
	s_clause 0x6
	s_load_b32 s24, s[0:1], 0x18
	s_load_b96 s[12:14], s[0:1], 0x30
	s_load_b96 s[8:10], s[0:1], 0x58
	s_load_b128 s[4:7], s[0:1], 0x20
	s_load_b128 s[20:23], s[0:1], 0x8
	s_load_b32 s26, s[0:1], 0x0
	s_load_b64 s[28:29], s[0:1], 0x40
	v_and_b32_e32 v2, 31, v0
	s_wait_xcnt 0x0
	v_cmp_eq_u32_e64 s1, 0, v0
	v_cmp_gt_u32_e64 s0, 24, v3
	v_lshl_or_b32 v10, v3, 2, 64
	v_mov_b32_e32 v16, 0
	v_cmp_gt_u32_e32 vcc_lo, 32, v0
	s_delay_alu instid0(VALU_DEP_4) | instskip(SKIP_1) | instid1(VALU_DEP_2)
	v_cndmask_b32_e64 v4, 0, 8, s0
	v_cmp_gt_u32_e64 s0, 28, v3
	v_add_lshl_u32 v11, v4, v3, 2
	s_delay_alu instid0(VALU_DEP_2)
	v_cndmask_b32_e64 v5, 0, 4, s0
	v_cmp_gt_u32_e64 s0, 30, v3
	v_lshrrev_b32_e32 v4, 2, v0
	s_wait_kmcnt 0x0
	s_ashr_i32 s25, s24, 31
	s_lshl_b32 s10, s10, 10
	v_add_lshl_u32 v12, v5, v3, 2
	v_cndmask_b32_e64 v6, 0, 2, s0
	v_cmp_ne_u32_e64 s0, 31, v3
	s_ashr_i32 s31, s14, 31
	s_mov_b32 s30, s14
	s_lshl_b64 s[14:15], s[22:23], 3
	v_add_lshl_u32 v13, v6, v3, 2
	v_add_co_ci_u32_e64 v7, null, 0, v3, s0
	v_lshlrev_b32_e32 v1, 3, v2
	v_cmp_eq_u32_e64 s0, 0, v2
	v_mov_b64_e32 v[2:3], 0
	s_ashr_i32 s11, s10, 31
	v_lshlrev_b32_e32 v14, 2, v7
	v_and_b32_e32 v15, 0xf8, v4
	s_add_nc_u64 s[14:15], s[20:21], s[14:15]
	s_lshl_b64 s[18:19], s[24:25], 3
	s_mul_u64 s[20:21], s[24:25], s[10:11]
	s_lshl_b64 s[22:23], s[12:13], 3
	s_mul_u64 s[24:25], s[30:31], s[10:11]
	s_lshl_b64 s[4:5], s[4:5], 3
	s_lshl_b64 s[12:13], s[20:21], 3
	s_add_nc_u64 s[6:7], s[6:7], s[22:23]
	s_lshl_b64 s[20:21], s[30:31], 3
	s_lshl_b64 s[22:23], s[28:29], 3
	;; [unrolled: 1-line block ×3, first 2 shown]
	s_branch .LBB35_3
.LBB35_2:                               ;   in Loop: Header=BB35_3 Depth=1
	s_wait_xcnt 0x0
	s_or_b32 exec_lo, exec_lo, s2
	s_add_co_i32 s16, s16, 0x10000
	s_delay_alu instid0(SALU_CYCLE_1)
	s_cmp_lt_u32 s16, s3
	s_cbranch_scc0 .LBB35_17
.LBB35_3:                               ; =>This Loop Header: Depth=1
                                        ;     Child Loop BB35_5 Depth 2
	s_wait_dscnt 0x0
	v_dual_mov_b32 v5, 0 :: v_dual_mov_b32 v4, 0
	s_mov_b32 s11, exec_lo
	v_cmpx_gt_i32_e64 s26, v0
	s_cbranch_execz .LBB35_7
; %bb.4:                                ;   in Loop: Header=BB35_3 Depth=1
	s_mul_u64 s[28:29], s[4:5], s[16:17]
	s_mul_u64 s[30:31], s[22:23], s[16:17]
	s_add_nc_u64 s[28:29], s[14:15], s[28:29]
	s_add_nc_u64 s[30:31], s[6:7], s[30:31]
	v_mad_nc_u64_u32 v[6:7], s18, v0, s[28:29]
	v_mad_nc_u64_u32 v[8:9], s20, v0, s[30:31]
	s_mov_b32 s27, 0
	s_mov_b32 s2, 0
	s_delay_alu instid0(VALU_DEP_2) | instskip(NEXT) | instid1(VALU_DEP_2)
	v_mad_u32 v4, s19, v0, v7
	v_mad_u32 v5, s21, v0, v9
	v_ashrrev_i32_e32 v9, 31, v0
	s_delay_alu instid0(VALU_DEP_1) | instskip(SKIP_1) | instid1(VALU_DEP_4)
	v_mad_u32 v7, s18, v9, v4
	v_mov_b32_e32 v4, 0
	v_mad_u32 v9, s20, v9, v5
	s_delay_alu instid0(VALU_DEP_2)
	v_mov_b32_e32 v5, v4
.LBB35_5:                               ;   Parent Loop BB35_3 Depth=1
                                        ; =>  This Inner Loop Header: Depth=2
	global_load_b64 v[18:19], v[8:9], off
	global_load_b64 v[20:21], v[6:7], off
	s_add_co_i32 s28, s2, 1
	s_cmp_gt_u32 s2, 30
	s_wait_xcnt 0x0
	v_add_nc_u64_e32 v[6:7], s[12:13], v[6:7]
	s_cselect_b32 s29, -1, 0
	v_add_nc_u64_e32 v[8:9], s[24:25], v[8:9]
	s_wait_loadcnt 0x0
	v_pk_mul_f32 v[22:23], v[20:21], v[18:19] op_sel:[1,1] op_sel_hi:[0,1]
	s_delay_alu instid0(VALU_DEP_1) | instskip(SKIP_2) | instid1(VALU_DEP_3)
	v_pk_fma_f32 v[24:25], v[20:21], v[18:19], v[22:23] op_sel_hi:[1,0,1]
	v_add_nc_u32_e32 v0, s10, v0
	v_pk_fma_f32 v[18:19], v[20:21], v[18:19], v[22:23] neg_lo:[0,0,1] neg_hi:[0,0,1]
	v_mov_b32_e32 v19, v25
	s_delay_alu instid0(VALU_DEP_3) | instskip(NEXT) | instid1(VALU_DEP_2)
	v_cmp_le_i32_e64 s2, s26, v0
	v_pk_add_f32 v[4:5], v[4:5], v[18:19]
	s_or_b32 s2, s29, s2
	s_delay_alu instid0(SALU_CYCLE_1) | instskip(NEXT) | instid1(SALU_CYCLE_1)
	s_and_b32 s2, exec_lo, s2
	s_or_b32 s27, s2, s27
	s_mov_b32 s2, s28
	s_and_not1_b32 exec_lo, exec_lo, s27
	s_cbranch_execnz .LBB35_5
; %bb.6:                                ;   in Loop: Header=BB35_3 Depth=1
	s_or_b32 exec_lo, exec_lo, s27
.LBB35_7:                               ;   in Loop: Header=BB35_3 Depth=1
	s_delay_alu instid0(SALU_CYCLE_1)
	s_or_b32 exec_lo, exec_lo, s11
	s_and_saveexec_b32 s2, vcc_lo
; %bb.8:                                ;   in Loop: Header=BB35_3 Depth=1
	ds_store_b64 v1, v[2:3]
; %bb.9:                                ;   in Loop: Header=BB35_3 Depth=1
	s_or_b32 exec_lo, exec_lo, s2
	ds_bpermute_b32 v6, v10, v4
	ds_bpermute_b32 v7, v10, v5
	s_wait_dscnt 0x0
	s_barrier_signal -1
	s_barrier_wait -1
	v_pk_add_f32 v[4:5], v[4:5], v[6:7]
	ds_bpermute_b32 v6, v11, v4
	ds_bpermute_b32 v7, v11, v5
	s_wait_dscnt 0x0
	v_pk_add_f32 v[4:5], v[4:5], v[6:7]
	ds_bpermute_b32 v6, v12, v4
	ds_bpermute_b32 v7, v12, v5
	s_wait_dscnt 0x0
	;; [unrolled: 4-line block ×3, first 2 shown]
	v_pk_add_f32 v[4:5], v[4:5], v[6:7]
	ds_bpermute_b32 v6, v14, v4
	ds_bpermute_b32 v7, v14, v5
	s_and_saveexec_b32 s2, s0
	s_cbranch_execz .LBB35_11
; %bb.10:                               ;   in Loop: Header=BB35_3 Depth=1
	s_wait_dscnt 0x0
	v_pk_add_f32 v[4:5], v[4:5], v[6:7]
	ds_store_b64 v15, v[4:5]
.LBB35_11:                              ;   in Loop: Header=BB35_3 Depth=1
	s_or_b32 exec_lo, exec_lo, s2
	v_mov_b64_e32 v[4:5], 0
	s_wait_dscnt 0x0
	s_barrier_signal -1
	s_barrier_wait -1
	s_and_saveexec_b32 s2, vcc_lo
	s_cbranch_execnz .LBB35_14
; %bb.12:                               ;   in Loop: Header=BB35_3 Depth=1
	s_or_b32 exec_lo, exec_lo, s2
	s_and_saveexec_b32 s2, vcc_lo
	s_cbranch_execnz .LBB35_15
.LBB35_13:                              ;   in Loop: Header=BB35_3 Depth=1
	s_or_b32 exec_lo, exec_lo, s2
	s_and_saveexec_b32 s2, s1
	s_cbranch_execz .LBB35_2
	s_branch .LBB35_16
.LBB35_14:                              ;   in Loop: Header=BB35_3 Depth=1
	ds_load_b64 v[4:5], v1
	s_or_b32 exec_lo, exec_lo, s2
	s_and_saveexec_b32 s2, vcc_lo
	s_cbranch_execz .LBB35_13
.LBB35_15:                              ;   in Loop: Header=BB35_3 Depth=1
	s_wait_dscnt 0x0
	ds_bpermute_b32 v6, v10, v4
	ds_bpermute_b32 v7, v10, v5
	s_wait_dscnt 0x0
	v_pk_add_f32 v[4:5], v[4:5], v[6:7]
	ds_bpermute_b32 v6, v11, v4
	ds_bpermute_b32 v7, v11, v5
	s_wait_dscnt 0x0
	v_pk_add_f32 v[4:5], v[4:5], v[6:7]
	;; [unrolled: 4-line block ×5, first 2 shown]
	s_or_b32 exec_lo, exec_lo, s2
	s_and_saveexec_b32 s2, s1
	s_cbranch_execz .LBB35_2
.LBB35_16:                              ;   in Loop: Header=BB35_3 Depth=1
	s_lshl_b64 s[28:29], s[16:17], 3
	s_delay_alu instid0(SALU_CYCLE_1)
	s_add_nc_u64 s[28:29], s[8:9], s[28:29]
	s_wait_dscnt 0x0
	global_store_b64 v16, v[4:5], s[28:29]
	s_branch .LBB35_2
.LBB35_17:
	s_endpgm
	.section	.rodata,"a",@progbits
	.p2align	6, 0x0
	.amdhsa_kernel _ZL18rocblas_dot_kernelIiLb1ELi1024ELi32ELb0E19rocblas_complex_numIfEPKS1_S1_EviT5_lT_lS4_lS5_liPT6_PT4_
		.amdhsa_group_segment_fixed_size 256
		.amdhsa_private_segment_fixed_size 0
		.amdhsa_kernarg_size 352
		.amdhsa_user_sgpr_count 2
		.amdhsa_user_sgpr_dispatch_ptr 0
		.amdhsa_user_sgpr_queue_ptr 0
		.amdhsa_user_sgpr_kernarg_segment_ptr 1
		.amdhsa_user_sgpr_dispatch_id 0
		.amdhsa_user_sgpr_kernarg_preload_length 0
		.amdhsa_user_sgpr_kernarg_preload_offset 0
		.amdhsa_user_sgpr_private_segment_size 0
		.amdhsa_wavefront_size32 1
		.amdhsa_uses_dynamic_stack 0
		.amdhsa_enable_private_segment 0
		.amdhsa_system_sgpr_workgroup_id_x 1
		.amdhsa_system_sgpr_workgroup_id_y 0
		.amdhsa_system_sgpr_workgroup_id_z 1
		.amdhsa_system_sgpr_workgroup_info 0
		.amdhsa_system_vgpr_workitem_id 0
		.amdhsa_next_free_vgpr 26
		.amdhsa_next_free_sgpr 32
		.amdhsa_named_barrier_count 0
		.amdhsa_reserve_vcc 1
		.amdhsa_float_round_mode_32 0
		.amdhsa_float_round_mode_16_64 0
		.amdhsa_float_denorm_mode_32 3
		.amdhsa_float_denorm_mode_16_64 3
		.amdhsa_fp16_overflow 0
		.amdhsa_memory_ordered 1
		.amdhsa_forward_progress 1
		.amdhsa_inst_pref_size 9
		.amdhsa_round_robin_scheduling 0
		.amdhsa_exception_fp_ieee_invalid_op 0
		.amdhsa_exception_fp_denorm_src 0
		.amdhsa_exception_fp_ieee_div_zero 0
		.amdhsa_exception_fp_ieee_overflow 0
		.amdhsa_exception_fp_ieee_underflow 0
		.amdhsa_exception_fp_ieee_inexact 0
		.amdhsa_exception_int_div_zero 0
	.end_amdhsa_kernel
	.section	.text._ZL18rocblas_dot_kernelIiLb1ELi1024ELi32ELb0E19rocblas_complex_numIfEPKS1_S1_EviT5_lT_lS4_lS5_liPT6_PT4_,"axG",@progbits,_ZL18rocblas_dot_kernelIiLb1ELi1024ELi32ELb0E19rocblas_complex_numIfEPKS1_S1_EviT5_lT_lS4_lS5_liPT6_PT4_,comdat
.Lfunc_end35:
	.size	_ZL18rocblas_dot_kernelIiLb1ELi1024ELi32ELb0E19rocblas_complex_numIfEPKS1_S1_EviT5_lT_lS4_lS5_liPT6_PT4_, .Lfunc_end35-_ZL18rocblas_dot_kernelIiLb1ELi1024ELi32ELb0E19rocblas_complex_numIfEPKS1_S1_EviT5_lT_lS4_lS5_liPT6_PT4_
                                        ; -- End function
	.set _ZL18rocblas_dot_kernelIiLb1ELi1024ELi32ELb0E19rocblas_complex_numIfEPKS1_S1_EviT5_lT_lS4_lS5_liPT6_PT4_.num_vgpr, 26
	.set _ZL18rocblas_dot_kernelIiLb1ELi1024ELi32ELb0E19rocblas_complex_numIfEPKS1_S1_EviT5_lT_lS4_lS5_liPT6_PT4_.num_agpr, 0
	.set _ZL18rocblas_dot_kernelIiLb1ELi1024ELi32ELb0E19rocblas_complex_numIfEPKS1_S1_EviT5_lT_lS4_lS5_liPT6_PT4_.numbered_sgpr, 32
	.set _ZL18rocblas_dot_kernelIiLb1ELi1024ELi32ELb0E19rocblas_complex_numIfEPKS1_S1_EviT5_lT_lS4_lS5_liPT6_PT4_.num_named_barrier, 0
	.set _ZL18rocblas_dot_kernelIiLb1ELi1024ELi32ELb0E19rocblas_complex_numIfEPKS1_S1_EviT5_lT_lS4_lS5_liPT6_PT4_.private_seg_size, 0
	.set _ZL18rocblas_dot_kernelIiLb1ELi1024ELi32ELb0E19rocblas_complex_numIfEPKS1_S1_EviT5_lT_lS4_lS5_liPT6_PT4_.uses_vcc, 1
	.set _ZL18rocblas_dot_kernelIiLb1ELi1024ELi32ELb0E19rocblas_complex_numIfEPKS1_S1_EviT5_lT_lS4_lS5_liPT6_PT4_.uses_flat_scratch, 0
	.set _ZL18rocblas_dot_kernelIiLb1ELi1024ELi32ELb0E19rocblas_complex_numIfEPKS1_S1_EviT5_lT_lS4_lS5_liPT6_PT4_.has_dyn_sized_stack, 0
	.set _ZL18rocblas_dot_kernelIiLb1ELi1024ELi32ELb0E19rocblas_complex_numIfEPKS1_S1_EviT5_lT_lS4_lS5_liPT6_PT4_.has_recursion, 0
	.set _ZL18rocblas_dot_kernelIiLb1ELi1024ELi32ELb0E19rocblas_complex_numIfEPKS1_S1_EviT5_lT_lS4_lS5_liPT6_PT4_.has_indirect_call, 0
	.section	.AMDGPU.csdata,"",@progbits
; Kernel info:
; codeLenInByte = 1120
; TotalNumSgprs: 34
; NumVgprs: 26
; ScratchSize: 0
; MemoryBound: 0
; FloatMode: 240
; IeeeMode: 1
; LDSByteSize: 256 bytes/workgroup (compile time only)
; SGPRBlocks: 0
; VGPRBlocks: 1
; NumSGPRsForWavesPerEU: 34
; NumVGPRsForWavesPerEU: 26
; NamedBarCnt: 0
; Occupancy: 16
; WaveLimiterHint : 0
; COMPUTE_PGM_RSRC2:SCRATCH_EN: 0
; COMPUTE_PGM_RSRC2:USER_SGPR: 2
; COMPUTE_PGM_RSRC2:TRAP_HANDLER: 0
; COMPUTE_PGM_RSRC2:TGID_X_EN: 1
; COMPUTE_PGM_RSRC2:TGID_Y_EN: 0
; COMPUTE_PGM_RSRC2:TGID_Z_EN: 1
; COMPUTE_PGM_RSRC2:TIDIG_COMP_CNT: 0
	.section	.text._ZL24rocblas_dot_kernel_magsqIiLb1ELi1024ELi32ELb0E19rocblas_complex_numIfEPKS1_S1_EviT5_lT_liPT6_PT4_,"axG",@progbits,_ZL24rocblas_dot_kernel_magsqIiLb1ELi1024ELi32ELb0E19rocblas_complex_numIfEPKS1_S1_EviT5_lT_liPT6_PT4_,comdat
	.globl	_ZL24rocblas_dot_kernel_magsqIiLb1ELi1024ELi32ELb0E19rocblas_complex_numIfEPKS1_S1_EviT5_lT_liPT6_PT4_ ; -- Begin function _ZL24rocblas_dot_kernel_magsqIiLb1ELi1024ELi32ELb0E19rocblas_complex_numIfEPKS1_S1_EviT5_lT_liPT6_PT4_
	.p2align	8
	.type	_ZL24rocblas_dot_kernel_magsqIiLb1ELi1024ELi32ELb0E19rocblas_complex_numIfEPKS1_S1_EviT5_lT_liPT6_PT4_,@function
_ZL24rocblas_dot_kernel_magsqIiLb1ELi1024ELi32ELb0E19rocblas_complex_numIfEPKS1_S1_EviT5_lT_liPT6_PT4_: ; @_ZL24rocblas_dot_kernel_magsqIiLb1ELi1024ELi32ELb0E19rocblas_complex_numIfEPKS1_S1_EviT5_lT_liPT6_PT4_
; %bb.0:
	s_load_b32 s3, s[0:1], 0x28
	s_bfe_u32 s2, ttmp6, 0x40014
	s_lshr_b32 s4, ttmp7, 16
	s_add_co_i32 s2, s2, 1
	s_bfe_u32 s5, ttmp6, 0x40008
	s_mul_i32 s2, s4, s2
	s_getreg_b32 s6, hwreg(HW_REG_IB_STS2, 6, 4)
	s_add_co_i32 s5, s5, s2
	s_cmp_eq_u32 s6, 0
	s_mov_b32 s9, 0
	s_cselect_b32 s8, s4, s5
	s_wait_kmcnt 0x0
	s_cmp_ge_u32 s8, s3
	s_cbranch_scc1 .LBB36_17
; %bb.1:
	v_mbcnt_lo_u32_b32 v3, -1, 0
	s_clause 0x4
	s_load_b32 s16, s[0:1], 0x18
	s_load_b96 s[4:6], s[0:1], 0x38
	s_load_b128 s[12:15], s[0:1], 0x8
	s_load_b64 s[20:21], s[0:1], 0x20
	s_load_b32 s18, s[0:1], 0x0
	v_and_b32_e32 v2, 31, v0
	s_wait_xcnt 0x0
	v_cmp_eq_u32_e64 s1, 0, v0
	v_cmp_gt_u32_e64 s0, 24, v3
	v_lshl_or_b32 v8, v3, 2, 64
	v_mov_b32_e32 v14, 0
	v_cmp_gt_u32_e32 vcc_lo, 32, v0
	s_delay_alu instid0(VALU_DEP_4) | instskip(SKIP_1) | instid1(VALU_DEP_2)
	v_cndmask_b32_e64 v4, 0, 8, s0
	v_cmp_gt_u32_e64 s0, 28, v3
	v_add_lshl_u32 v9, v4, v3, 2
	s_delay_alu instid0(VALU_DEP_2)
	v_cndmask_b32_e64 v5, 0, 4, s0
	v_cmp_gt_u32_e64 s0, 30, v3
	v_lshrrev_b32_e32 v4, 2, v0
	s_wait_kmcnt 0x0
	s_ashr_i32 s17, s16, 31
	s_lshl_b32 s6, s6, 10
	v_cndmask_b32_e64 v6, 0, 2, s0
	v_cmp_ne_u32_e64 s0, 31, v3
	v_add_lshl_u32 v10, v5, v3, 2
	s_lshl_b64 s[10:11], s[14:15], 3
	s_ashr_i32 s7, s6, 31
	v_add_lshl_u32 v11, v6, v3, 2
	v_add_co_ci_u32_e64 v7, null, 0, v3, s0
	v_lshlrev_b32_e32 v1, 3, v2
	v_cmp_eq_u32_e64 s0, 0, v2
	v_mov_b64_e32 v[2:3], 0
	s_delay_alu instid0(VALU_DEP_4)
	v_lshlrev_b32_e32 v12, 2, v7
	v_and_b32_e32 v13, 0xf8, v4
	s_add_nc_u64 s[10:11], s[12:13], s[10:11]
	s_lshl_b64 s[12:13], s[16:17], 3
	s_mul_u64 s[16:17], s[16:17], s[6:7]
	s_lshl_b64 s[14:15], s[20:21], 3
	s_lshl_b64 s[16:17], s[16:17], 3
	s_branch .LBB36_3
.LBB36_2:                               ;   in Loop: Header=BB36_3 Depth=1
	s_wait_xcnt 0x0
	s_or_b32 exec_lo, exec_lo, s2
	s_add_co_i32 s8, s8, 0x10000
	s_delay_alu instid0(SALU_CYCLE_1)
	s_cmp_lt_u32 s8, s3
	s_cbranch_scc0 .LBB36_17
.LBB36_3:                               ; =>This Loop Header: Depth=1
                                        ;     Child Loop BB36_5 Depth 2
	s_wait_dscnt 0x0
	v_dual_mov_b32 v5, 0 :: v_dual_mov_b32 v4, 0
	s_mov_b32 s7, exec_lo
	v_cmpx_gt_i32_e64 s18, v0
	s_cbranch_execz .LBB36_7
; %bb.4:                                ;   in Loop: Header=BB36_3 Depth=1
	s_mul_u64 s[20:21], s[14:15], s[8:9]
	v_ashrrev_i32_e32 v5, 31, v0
	s_add_nc_u64 s[20:21], s[10:11], s[20:21]
	s_mov_b32 s19, 0
	v_mad_nc_u64_u32 v[6:7], s12, v0, s[20:21]
	s_mov_b32 s2, 0
	s_delay_alu instid0(VALU_DEP_1) | instskip(NEXT) | instid1(VALU_DEP_1)
	v_mad_u32 v4, s13, v0, v7
	v_mad_u32 v7, s12, v5, v4
	v_mov_b32_e32 v4, 0
	s_delay_alu instid0(VALU_DEP_1)
	v_mov_b32_e32 v5, v4
.LBB36_5:                               ;   Parent Loop BB36_3 Depth=1
                                        ; =>  This Inner Loop Header: Depth=2
	global_load_b64 v[16:17], v[6:7], off
	s_add_co_i32 s20, s2, 1
	s_cmp_gt_u32 s2, 30
	s_wait_xcnt 0x0
	v_add_nc_u64_e32 v[6:7], s[16:17], v[6:7]
	s_cselect_b32 s21, -1, 0
	s_wait_loadcnt 0x0
	v_pk_mul_f32 v[18:19], v[16:17], v[16:17] op_sel:[1,1] op_sel_hi:[0,1]
	s_delay_alu instid0(VALU_DEP_1) | instskip(SKIP_2) | instid1(VALU_DEP_3)
	v_pk_fma_f32 v[20:21], v[16:17], v[16:17], v[18:19] op_sel_hi:[0,1,1]
	v_add_nc_u32_e32 v0, s6, v0
	v_pk_fma_f32 v[16:17], v[16:17], v[16:17], v[18:19] neg_lo:[0,0,1] neg_hi:[0,0,1]
	v_mov_b32_e32 v17, v21
	s_delay_alu instid0(VALU_DEP_3) | instskip(NEXT) | instid1(VALU_DEP_2)
	v_cmp_le_i32_e64 s2, s18, v0
	v_pk_add_f32 v[4:5], v[4:5], v[16:17]
	s_or_b32 s2, s21, s2
	s_delay_alu instid0(SALU_CYCLE_1) | instskip(NEXT) | instid1(SALU_CYCLE_1)
	s_and_b32 s2, exec_lo, s2
	s_or_b32 s19, s2, s19
	s_mov_b32 s2, s20
	s_and_not1_b32 exec_lo, exec_lo, s19
	s_cbranch_execnz .LBB36_5
; %bb.6:                                ;   in Loop: Header=BB36_3 Depth=1
	s_or_b32 exec_lo, exec_lo, s19
.LBB36_7:                               ;   in Loop: Header=BB36_3 Depth=1
	s_delay_alu instid0(SALU_CYCLE_1)
	s_or_b32 exec_lo, exec_lo, s7
	s_and_saveexec_b32 s2, vcc_lo
; %bb.8:                                ;   in Loop: Header=BB36_3 Depth=1
	ds_store_b64 v1, v[2:3]
; %bb.9:                                ;   in Loop: Header=BB36_3 Depth=1
	s_or_b32 exec_lo, exec_lo, s2
	ds_bpermute_b32 v6, v8, v4
	ds_bpermute_b32 v7, v8, v5
	s_wait_dscnt 0x0
	s_barrier_signal -1
	s_barrier_wait -1
	v_pk_add_f32 v[4:5], v[4:5], v[6:7]
	ds_bpermute_b32 v6, v9, v4
	ds_bpermute_b32 v7, v9, v5
	s_wait_dscnt 0x0
	v_pk_add_f32 v[4:5], v[4:5], v[6:7]
	ds_bpermute_b32 v6, v10, v4
	ds_bpermute_b32 v7, v10, v5
	s_wait_dscnt 0x0
	;; [unrolled: 4-line block ×3, first 2 shown]
	v_pk_add_f32 v[4:5], v[4:5], v[6:7]
	ds_bpermute_b32 v6, v12, v4
	ds_bpermute_b32 v7, v12, v5
	s_and_saveexec_b32 s2, s0
	s_cbranch_execz .LBB36_11
; %bb.10:                               ;   in Loop: Header=BB36_3 Depth=1
	s_wait_dscnt 0x0
	v_pk_add_f32 v[4:5], v[4:5], v[6:7]
	ds_store_b64 v13, v[4:5]
.LBB36_11:                              ;   in Loop: Header=BB36_3 Depth=1
	s_or_b32 exec_lo, exec_lo, s2
	v_mov_b64_e32 v[4:5], 0
	s_wait_dscnt 0x0
	s_barrier_signal -1
	s_barrier_wait -1
	s_and_saveexec_b32 s2, vcc_lo
	s_cbranch_execnz .LBB36_14
; %bb.12:                               ;   in Loop: Header=BB36_3 Depth=1
	s_or_b32 exec_lo, exec_lo, s2
	s_and_saveexec_b32 s2, vcc_lo
	s_cbranch_execnz .LBB36_15
.LBB36_13:                              ;   in Loop: Header=BB36_3 Depth=1
	s_or_b32 exec_lo, exec_lo, s2
	s_and_saveexec_b32 s2, s1
	s_cbranch_execz .LBB36_2
	s_branch .LBB36_16
.LBB36_14:                              ;   in Loop: Header=BB36_3 Depth=1
	ds_load_b64 v[4:5], v1
	s_or_b32 exec_lo, exec_lo, s2
	s_and_saveexec_b32 s2, vcc_lo
	s_cbranch_execz .LBB36_13
.LBB36_15:                              ;   in Loop: Header=BB36_3 Depth=1
	s_wait_dscnt 0x0
	ds_bpermute_b32 v6, v8, v4
	ds_bpermute_b32 v7, v8, v5
	s_wait_dscnt 0x0
	v_pk_add_f32 v[4:5], v[4:5], v[6:7]
	ds_bpermute_b32 v6, v9, v4
	ds_bpermute_b32 v7, v9, v5
	s_wait_dscnt 0x0
	v_pk_add_f32 v[4:5], v[4:5], v[6:7]
	;; [unrolled: 4-line block ×5, first 2 shown]
	s_or_b32 exec_lo, exec_lo, s2
	s_and_saveexec_b32 s2, s1
	s_cbranch_execz .LBB36_2
.LBB36_16:                              ;   in Loop: Header=BB36_3 Depth=1
	s_lshl_b64 s[20:21], s[8:9], 3
	s_delay_alu instid0(SALU_CYCLE_1)
	s_add_nc_u64 s[20:21], s[4:5], s[20:21]
	s_wait_dscnt 0x0
	global_store_b64 v14, v[4:5], s[20:21]
	s_branch .LBB36_2
.LBB36_17:
	s_endpgm
	.section	.rodata,"a",@progbits
	.p2align	6, 0x0
	.amdhsa_kernel _ZL24rocblas_dot_kernel_magsqIiLb1ELi1024ELi32ELb0E19rocblas_complex_numIfEPKS1_S1_EviT5_lT_liPT6_PT4_
		.amdhsa_group_segment_fixed_size 256
		.amdhsa_private_segment_fixed_size 0
		.amdhsa_kernarg_size 320
		.amdhsa_user_sgpr_count 2
		.amdhsa_user_sgpr_dispatch_ptr 0
		.amdhsa_user_sgpr_queue_ptr 0
		.amdhsa_user_sgpr_kernarg_segment_ptr 1
		.amdhsa_user_sgpr_dispatch_id 0
		.amdhsa_user_sgpr_kernarg_preload_length 0
		.amdhsa_user_sgpr_kernarg_preload_offset 0
		.amdhsa_user_sgpr_private_segment_size 0
		.amdhsa_wavefront_size32 1
		.amdhsa_uses_dynamic_stack 0
		.amdhsa_enable_private_segment 0
		.amdhsa_system_sgpr_workgroup_id_x 1
		.amdhsa_system_sgpr_workgroup_id_y 0
		.amdhsa_system_sgpr_workgroup_id_z 1
		.amdhsa_system_sgpr_workgroup_info 0
		.amdhsa_system_vgpr_workitem_id 0
		.amdhsa_next_free_vgpr 22
		.amdhsa_next_free_sgpr 22
		.amdhsa_named_barrier_count 0
		.amdhsa_reserve_vcc 1
		.amdhsa_float_round_mode_32 0
		.amdhsa_float_round_mode_16_64 0
		.amdhsa_float_denorm_mode_32 3
		.amdhsa_float_denorm_mode_16_64 3
		.amdhsa_fp16_overflow 0
		.amdhsa_memory_ordered 1
		.amdhsa_forward_progress 1
		.amdhsa_inst_pref_size 8
		.amdhsa_round_robin_scheduling 0
		.amdhsa_exception_fp_ieee_invalid_op 0
		.amdhsa_exception_fp_denorm_src 0
		.amdhsa_exception_fp_ieee_div_zero 0
		.amdhsa_exception_fp_ieee_overflow 0
		.amdhsa_exception_fp_ieee_underflow 0
		.amdhsa_exception_fp_ieee_inexact 0
		.amdhsa_exception_int_div_zero 0
	.end_amdhsa_kernel
	.section	.text._ZL24rocblas_dot_kernel_magsqIiLb1ELi1024ELi32ELb0E19rocblas_complex_numIfEPKS1_S1_EviT5_lT_liPT6_PT4_,"axG",@progbits,_ZL24rocblas_dot_kernel_magsqIiLb1ELi1024ELi32ELb0E19rocblas_complex_numIfEPKS1_S1_EviT5_lT_liPT6_PT4_,comdat
.Lfunc_end36:
	.size	_ZL24rocblas_dot_kernel_magsqIiLb1ELi1024ELi32ELb0E19rocblas_complex_numIfEPKS1_S1_EviT5_lT_liPT6_PT4_, .Lfunc_end36-_ZL24rocblas_dot_kernel_magsqIiLb1ELi1024ELi32ELb0E19rocblas_complex_numIfEPKS1_S1_EviT5_lT_liPT6_PT4_
                                        ; -- End function
	.set _ZL24rocblas_dot_kernel_magsqIiLb1ELi1024ELi32ELb0E19rocblas_complex_numIfEPKS1_S1_EviT5_lT_liPT6_PT4_.num_vgpr, 22
	.set _ZL24rocblas_dot_kernel_magsqIiLb1ELi1024ELi32ELb0E19rocblas_complex_numIfEPKS1_S1_EviT5_lT_liPT6_PT4_.num_agpr, 0
	.set _ZL24rocblas_dot_kernel_magsqIiLb1ELi1024ELi32ELb0E19rocblas_complex_numIfEPKS1_S1_EviT5_lT_liPT6_PT4_.numbered_sgpr, 22
	.set _ZL24rocblas_dot_kernel_magsqIiLb1ELi1024ELi32ELb0E19rocblas_complex_numIfEPKS1_S1_EviT5_lT_liPT6_PT4_.num_named_barrier, 0
	.set _ZL24rocblas_dot_kernel_magsqIiLb1ELi1024ELi32ELb0E19rocblas_complex_numIfEPKS1_S1_EviT5_lT_liPT6_PT4_.private_seg_size, 0
	.set _ZL24rocblas_dot_kernel_magsqIiLb1ELi1024ELi32ELb0E19rocblas_complex_numIfEPKS1_S1_EviT5_lT_liPT6_PT4_.uses_vcc, 1
	.set _ZL24rocblas_dot_kernel_magsqIiLb1ELi1024ELi32ELb0E19rocblas_complex_numIfEPKS1_S1_EviT5_lT_liPT6_PT4_.uses_flat_scratch, 0
	.set _ZL24rocblas_dot_kernel_magsqIiLb1ELi1024ELi32ELb0E19rocblas_complex_numIfEPKS1_S1_EviT5_lT_liPT6_PT4_.has_dyn_sized_stack, 0
	.set _ZL24rocblas_dot_kernel_magsqIiLb1ELi1024ELi32ELb0E19rocblas_complex_numIfEPKS1_S1_EviT5_lT_liPT6_PT4_.has_recursion, 0
	.set _ZL24rocblas_dot_kernel_magsqIiLb1ELi1024ELi32ELb0E19rocblas_complex_numIfEPKS1_S1_EviT5_lT_liPT6_PT4_.has_indirect_call, 0
	.section	.AMDGPU.csdata,"",@progbits
; Kernel info:
; codeLenInByte = 1024
; TotalNumSgprs: 24
; NumVgprs: 22
; ScratchSize: 0
; MemoryBound: 0
; FloatMode: 240
; IeeeMode: 1
; LDSByteSize: 256 bytes/workgroup (compile time only)
; SGPRBlocks: 0
; VGPRBlocks: 1
; NumSGPRsForWavesPerEU: 24
; NumVGPRsForWavesPerEU: 22
; NamedBarCnt: 0
; Occupancy: 16
; WaveLimiterHint : 0
; COMPUTE_PGM_RSRC2:SCRATCH_EN: 0
; COMPUTE_PGM_RSRC2:USER_SGPR: 2
; COMPUTE_PGM_RSRC2:TRAP_HANDLER: 0
; COMPUTE_PGM_RSRC2:TGID_X_EN: 1
; COMPUTE_PGM_RSRC2:TGID_Y_EN: 0
; COMPUTE_PGM_RSRC2:TGID_Z_EN: 1
; COMPUTE_PGM_RSRC2:TIDIG_COMP_CNT: 0
	.section	.text._ZL38rocblas_dot_kernel_gfx942_float_doubleIiLi1024E19rocblas_complex_numIfEPKS1_S1_EviT2_lT_lS4_lS5_lPT3_PT1_,"axG",@progbits,_ZL38rocblas_dot_kernel_gfx942_float_doubleIiLi1024E19rocblas_complex_numIfEPKS1_S1_EviT2_lT_lS4_lS5_lPT3_PT1_,comdat
	.globl	_ZL38rocblas_dot_kernel_gfx942_float_doubleIiLi1024E19rocblas_complex_numIfEPKS1_S1_EviT2_lT_lS4_lS5_lPT3_PT1_ ; -- Begin function _ZL38rocblas_dot_kernel_gfx942_float_doubleIiLi1024E19rocblas_complex_numIfEPKS1_S1_EviT2_lT_lS4_lS5_lPT3_PT1_
	.p2align	8
	.type	_ZL38rocblas_dot_kernel_gfx942_float_doubleIiLi1024E19rocblas_complex_numIfEPKS1_S1_EviT2_lT_lS4_lS5_lPT3_PT1_,@function
_ZL38rocblas_dot_kernel_gfx942_float_doubleIiLi1024E19rocblas_complex_numIfEPKS1_S1_EviT2_lT_lS4_lS5_lPT3_PT1_: ; @_ZL38rocblas_dot_kernel_gfx942_float_doubleIiLi1024E19rocblas_complex_numIfEPKS1_S1_EviT2_lT_lS4_lS5_lPT3_PT1_
; %bb.0:
	s_endpgm
	.section	.rodata,"a",@progbits
	.p2align	6, 0x0
	.amdhsa_kernel _ZL38rocblas_dot_kernel_gfx942_float_doubleIiLi1024E19rocblas_complex_numIfEPKS1_S1_EviT2_lT_lS4_lS5_lPT3_PT1_
		.amdhsa_group_segment_fixed_size 0
		.amdhsa_private_segment_fixed_size 0
		.amdhsa_kernarg_size 88
		.amdhsa_user_sgpr_count 2
		.amdhsa_user_sgpr_dispatch_ptr 0
		.amdhsa_user_sgpr_queue_ptr 0
		.amdhsa_user_sgpr_kernarg_segment_ptr 1
		.amdhsa_user_sgpr_dispatch_id 0
		.amdhsa_user_sgpr_kernarg_preload_length 0
		.amdhsa_user_sgpr_kernarg_preload_offset 0
		.amdhsa_user_sgpr_private_segment_size 0
		.amdhsa_wavefront_size32 1
		.amdhsa_uses_dynamic_stack 0
		.amdhsa_enable_private_segment 0
		.amdhsa_system_sgpr_workgroup_id_x 1
		.amdhsa_system_sgpr_workgroup_id_y 0
		.amdhsa_system_sgpr_workgroup_id_z 0
		.amdhsa_system_sgpr_workgroup_info 0
		.amdhsa_system_vgpr_workitem_id 0
		.amdhsa_next_free_vgpr 1
		.amdhsa_next_free_sgpr 1
		.amdhsa_named_barrier_count 0
		.amdhsa_reserve_vcc 0
		.amdhsa_float_round_mode_32 0
		.amdhsa_float_round_mode_16_64 0
		.amdhsa_float_denorm_mode_32 3
		.amdhsa_float_denorm_mode_16_64 3
		.amdhsa_fp16_overflow 0
		.amdhsa_memory_ordered 1
		.amdhsa_forward_progress 1
		.amdhsa_inst_pref_size 1
		.amdhsa_round_robin_scheduling 0
		.amdhsa_exception_fp_ieee_invalid_op 0
		.amdhsa_exception_fp_denorm_src 0
		.amdhsa_exception_fp_ieee_div_zero 0
		.amdhsa_exception_fp_ieee_overflow 0
		.amdhsa_exception_fp_ieee_underflow 0
		.amdhsa_exception_fp_ieee_inexact 0
		.amdhsa_exception_int_div_zero 0
	.end_amdhsa_kernel
	.section	.text._ZL38rocblas_dot_kernel_gfx942_float_doubleIiLi1024E19rocblas_complex_numIfEPKS1_S1_EviT2_lT_lS4_lS5_lPT3_PT1_,"axG",@progbits,_ZL38rocblas_dot_kernel_gfx942_float_doubleIiLi1024E19rocblas_complex_numIfEPKS1_S1_EviT2_lT_lS4_lS5_lPT3_PT1_,comdat
.Lfunc_end37:
	.size	_ZL38rocblas_dot_kernel_gfx942_float_doubleIiLi1024E19rocblas_complex_numIfEPKS1_S1_EviT2_lT_lS4_lS5_lPT3_PT1_, .Lfunc_end37-_ZL38rocblas_dot_kernel_gfx942_float_doubleIiLi1024E19rocblas_complex_numIfEPKS1_S1_EviT2_lT_lS4_lS5_lPT3_PT1_
                                        ; -- End function
	.set _ZL38rocblas_dot_kernel_gfx942_float_doubleIiLi1024E19rocblas_complex_numIfEPKS1_S1_EviT2_lT_lS4_lS5_lPT3_PT1_.num_vgpr, 0
	.set _ZL38rocblas_dot_kernel_gfx942_float_doubleIiLi1024E19rocblas_complex_numIfEPKS1_S1_EviT2_lT_lS4_lS5_lPT3_PT1_.num_agpr, 0
	.set _ZL38rocblas_dot_kernel_gfx942_float_doubleIiLi1024E19rocblas_complex_numIfEPKS1_S1_EviT2_lT_lS4_lS5_lPT3_PT1_.numbered_sgpr, 0
	.set _ZL38rocblas_dot_kernel_gfx942_float_doubleIiLi1024E19rocblas_complex_numIfEPKS1_S1_EviT2_lT_lS4_lS5_lPT3_PT1_.num_named_barrier, 0
	.set _ZL38rocblas_dot_kernel_gfx942_float_doubleIiLi1024E19rocblas_complex_numIfEPKS1_S1_EviT2_lT_lS4_lS5_lPT3_PT1_.private_seg_size, 0
	.set _ZL38rocblas_dot_kernel_gfx942_float_doubleIiLi1024E19rocblas_complex_numIfEPKS1_S1_EviT2_lT_lS4_lS5_lPT3_PT1_.uses_vcc, 0
	.set _ZL38rocblas_dot_kernel_gfx942_float_doubleIiLi1024E19rocblas_complex_numIfEPKS1_S1_EviT2_lT_lS4_lS5_lPT3_PT1_.uses_flat_scratch, 0
	.set _ZL38rocblas_dot_kernel_gfx942_float_doubleIiLi1024E19rocblas_complex_numIfEPKS1_S1_EviT2_lT_lS4_lS5_lPT3_PT1_.has_dyn_sized_stack, 0
	.set _ZL38rocblas_dot_kernel_gfx942_float_doubleIiLi1024E19rocblas_complex_numIfEPKS1_S1_EviT2_lT_lS4_lS5_lPT3_PT1_.has_recursion, 0
	.set _ZL38rocblas_dot_kernel_gfx942_float_doubleIiLi1024E19rocblas_complex_numIfEPKS1_S1_EviT2_lT_lS4_lS5_lPT3_PT1_.has_indirect_call, 0
	.section	.AMDGPU.csdata,"",@progbits
; Kernel info:
; codeLenInByte = 4
; TotalNumSgprs: 0
; NumVgprs: 0
; ScratchSize: 0
; MemoryBound: 0
; FloatMode: 240
; IeeeMode: 1
; LDSByteSize: 0 bytes/workgroup (compile time only)
; SGPRBlocks: 0
; VGPRBlocks: 0
; NumSGPRsForWavesPerEU: 1
; NumVGPRsForWavesPerEU: 1
; NamedBarCnt: 0
; Occupancy: 16
; WaveLimiterHint : 0
; COMPUTE_PGM_RSRC2:SCRATCH_EN: 0
; COMPUTE_PGM_RSRC2:USER_SGPR: 2
; COMPUTE_PGM_RSRC2:TRAP_HANDLER: 0
; COMPUTE_PGM_RSRC2:TGID_X_EN: 1
; COMPUTE_PGM_RSRC2:TGID_Y_EN: 0
; COMPUTE_PGM_RSRC2:TGID_Z_EN: 0
; COMPUTE_PGM_RSRC2:TIDIG_COMP_CNT: 0
	.section	.text._ZL30rocblas_reduction_kernel_part2ILi1024ELi4E25rocblas_finalize_identity19rocblas_complex_numIfES2_EviPT2_PT3_,"axG",@progbits,_ZL30rocblas_reduction_kernel_part2ILi1024ELi4E25rocblas_finalize_identity19rocblas_complex_numIfES2_EviPT2_PT3_,comdat
	.globl	_ZL30rocblas_reduction_kernel_part2ILi1024ELi4E25rocblas_finalize_identity19rocblas_complex_numIfES2_EviPT2_PT3_ ; -- Begin function _ZL30rocblas_reduction_kernel_part2ILi1024ELi4E25rocblas_finalize_identity19rocblas_complex_numIfES2_EviPT2_PT3_
	.p2align	8
	.type	_ZL30rocblas_reduction_kernel_part2ILi1024ELi4E25rocblas_finalize_identity19rocblas_complex_numIfES2_EviPT2_PT3_,@function
_ZL30rocblas_reduction_kernel_part2ILi1024ELi4E25rocblas_finalize_identity19rocblas_complex_numIfES2_EviPT2_PT3_: ; @_ZL30rocblas_reduction_kernel_part2ILi1024ELi4E25rocblas_finalize_identity19rocblas_complex_numIfES2_EviPT2_PT3_
; %bb.0:
	s_clause 0x1
	s_load_b32 s6, s[0:1], 0x0
	s_load_b64 s[8:9], s[0:1], 0x8
	s_bfe_u32 s2, ttmp6, 0x4000c
	s_and_b32 s3, ttmp6, 15
	s_add_co_i32 s2, s2, 1
	s_getreg_b32 s4, hwreg(HW_REG_IB_STS2, 6, 4)
	s_mul_i32 s2, ttmp9, s2
	v_mov_b64_e32 v[2:3], 0
	s_add_co_i32 s3, s3, s2
	v_lshlrev_b32_e32 v1, 2, v0
	s_wait_kmcnt 0x0
	s_ashr_i32 s7, s6, 31
	s_cmp_eq_u32 s4, 0
	s_mov_b32 s4, exec_lo
	s_cselect_b32 s2, ttmp9, s3
	s_lshr_b32 s3, s7, 30
	s_delay_alu instid0(SALU_CYCLE_1) | instskip(NEXT) | instid1(SALU_CYCLE_1)
	s_add_co_i32 s3, s6, s3
	s_and_b32 s12, s3, -4
	s_mov_b32 s3, 0
	s_delay_alu instid0(SALU_CYCLE_1)
	s_mul_u64 s[10:11], s[6:7], s[2:3]
	v_cmpx_gt_i32_e64 s12, v1
	s_cbranch_execz .LBB38_4
; %bb.1:
	v_dual_mov_b32 v3, 0 :: v_dual_lshlrev_b32 v2, 5, v0
	s_lshl_b64 s[14:15], s[10:11], 3
	s_mov_b32 s5, s3
	s_add_nc_u64 s[14:15], s[8:9], s[14:15]
	s_delay_alu instid0(VALU_DEP_1) | instid1(SALU_CYCLE_1)
	v_add_nc_u64_e32 v[4:5], s[14:15], v[2:3]
	v_mov_b32_e32 v2, v3
	s_delay_alu instid0(VALU_DEP_2)
	v_add_nc_u64_e32 v[4:5], 16, v[4:5]
.LBB38_2:                               ; =>This Inner Loop Header: Depth=1
	s_clause 0x1
	global_load_b128 v[6:9], v[4:5], off offset:-16
	global_load_b128 v[10:13], v[4:5], off
	v_add_nc_u32_e32 v1, 0x1000, v1
	s_wait_xcnt 0x0
	v_add_nc_u64_e32 v[4:5], 0x8000, v[4:5]
	s_delay_alu instid0(VALU_DEP_2) | instskip(SKIP_3) | instid1(VALU_DEP_1)
	v_cmp_le_i32_e32 vcc_lo, s12, v1
	s_or_b32 s5, vcc_lo, s5
	s_wait_loadcnt 0x1
	v_pk_add_f32 v[2:3], v[2:3], v[6:7]
	v_pk_add_f32 v[2:3], v[2:3], v[8:9]
	s_wait_loadcnt 0x0
	s_delay_alu instid0(VALU_DEP_1) | instskip(NEXT) | instid1(VALU_DEP_1)
	v_pk_add_f32 v[2:3], v[2:3], v[10:11]
	v_pk_add_f32 v[2:3], v[2:3], v[12:13]
	s_and_not1_b32 exec_lo, exec_lo, s5
	s_cbranch_execnz .LBB38_2
; %bb.3:
	s_or_b32 exec_lo, exec_lo, s5
.LBB38_4:
	s_delay_alu instid0(SALU_CYCLE_1) | instskip(SKIP_3) | instid1(SALU_CYCLE_1)
	s_or_b32 exec_lo, exec_lo, s4
	s_load_b64 s[4:5], s[0:1], 0x10
	s_wait_xcnt 0x0
	s_sub_co_i32 s0, s6, s12
	v_cmp_gt_u32_e32 vcc_lo, s0, v0
	s_and_saveexec_b32 s0, vcc_lo
	s_cbranch_execz .LBB38_6
; %bb.5:
	v_xad_u32 v1, v0, -1, s6
	s_lshl_b64 s[6:7], s[10:11], 3
	s_delay_alu instid0(SALU_CYCLE_1)
	s_add_nc_u64 s[6:7], s[8:9], s[6:7]
	global_load_b64 v[4:5], v1, s[6:7] scale_offset
	s_wait_loadcnt 0x0
	v_pk_add_f32 v[2:3], v[2:3], v[4:5]
.LBB38_6:
	s_or_b32 exec_lo, exec_lo, s0
	v_and_b32_e32 v11, 31, v0
	v_cmp_gt_u32_e32 vcc_lo, 32, v0
	s_delay_alu instid0(VALU_DEP_2)
	v_lshlrev_b32_e32 v1, 3, v11
	s_and_saveexec_b32 s0, vcc_lo
; %bb.7:
	v_mov_b64_e32 v[4:5], 0
	ds_store_b64 v1, v[4:5]
; %bb.8:
	s_or_b32 exec_lo, exec_lo, s0
	v_mbcnt_lo_u32_b32 v10, -1, 0
	s_mov_b32 s1, exec_lo
	s_wait_dscnt 0x0
	s_barrier_signal -1
	s_barrier_wait -1
	v_lshl_or_b32 v6, v10, 2, 64
	v_cmp_gt_u32_e64 s0, 24, v10
	ds_bpermute_b32 v4, v6, v2
	ds_bpermute_b32 v5, v6, v3
	v_cndmask_b32_e64 v7, 0, 8, s0
	v_cmp_gt_u32_e64 s0, 28, v10
	s_delay_alu instid0(VALU_DEP_2) | instskip(NEXT) | instid1(VALU_DEP_2)
	v_add_lshl_u32 v7, v7, v10, 2
	v_cndmask_b32_e64 v8, 0, 4, s0
	v_cmp_gt_u32_e64 s0, 30, v10
	s_delay_alu instid0(VALU_DEP_2) | instskip(NEXT) | instid1(VALU_DEP_2)
	v_add_lshl_u32 v8, v8, v10, 2
	v_cndmask_b32_e64 v9, 0, 2, s0
	v_cmp_ne_u32_e64 s0, 31, v10
	s_delay_alu instid0(VALU_DEP_2) | instskip(NEXT) | instid1(VALU_DEP_2)
	v_add_lshl_u32 v9, v9, v10, 2
	v_add_co_ci_u32_e64 v10, null, 0, v10, s0
	s_wait_dscnt 0x0
	v_pk_add_f32 v[2:3], v[2:3], v[4:5]
	s_delay_alu instid0(VALU_DEP_2)
	v_lshlrev_b32_e32 v10, 2, v10
	ds_bpermute_b32 v4, v7, v2
	ds_bpermute_b32 v5, v7, v3
	s_wait_dscnt 0x0
	v_pk_add_f32 v[2:3], v[2:3], v[4:5]
	ds_bpermute_b32 v4, v8, v2
	ds_bpermute_b32 v5, v8, v3
	s_wait_dscnt 0x0
	v_pk_add_f32 v[2:3], v[2:3], v[4:5]
	;; [unrolled: 4-line block ×3, first 2 shown]
	ds_bpermute_b32 v4, v10, v2
	ds_bpermute_b32 v5, v10, v3
	v_cmpx_eq_u32_e32 0, v11
	s_cbranch_execz .LBB38_10
; %bb.9:
	v_lshrrev_b32_e32 v11, 2, v0
	s_wait_dscnt 0x0
	v_pk_add_f32 v[2:3], v[2:3], v[4:5]
	s_delay_alu instid0(VALU_DEP_2)
	v_and_b32_e32 v11, 0xf8, v11
	ds_store_b64 v11, v[2:3]
.LBB38_10:
	s_or_b32 exec_lo, exec_lo, s1
	v_mov_b64_e32 v[2:3], 0
	s_wait_dscnt 0x0
	s_barrier_signal -1
	s_barrier_wait -1
	s_and_saveexec_b32 s0, vcc_lo
; %bb.11:
	ds_load_b64 v[2:3], v1
; %bb.12:
	s_or_b32 exec_lo, exec_lo, s0
	s_and_saveexec_b32 s0, vcc_lo
	s_cbranch_execz .LBB38_14
; %bb.13:
	s_wait_dscnt 0x0
	ds_bpermute_b32 v4, v6, v2
	ds_bpermute_b32 v5, v6, v3
	s_wait_dscnt 0x0
	v_pk_add_f32 v[2:3], v[2:3], v[4:5]
	ds_bpermute_b32 v4, v7, v2
	ds_bpermute_b32 v5, v7, v3
	s_wait_dscnt 0x0
	v_pk_add_f32 v[2:3], v[2:3], v[4:5]
	;; [unrolled: 4-line block ×5, first 2 shown]
.LBB38_14:
	s_or_b32 exec_lo, exec_lo, s0
	s_delay_alu instid0(SALU_CYCLE_1)
	s_mov_b32 s0, exec_lo
	v_cmpx_eq_u32_e32 0, v0
	s_cbranch_execz .LBB38_16
; %bb.15:
	v_mov_b32_e32 v0, 0
	s_lshl_b64 s[0:1], s[2:3], 3
	s_wait_kmcnt 0x0
	s_add_nc_u64 s[0:1], s[4:5], s[0:1]
	s_wait_dscnt 0x0
	global_store_b64 v0, v[2:3], s[0:1]
.LBB38_16:
	s_endpgm
	.section	.rodata,"a",@progbits
	.p2align	6, 0x0
	.amdhsa_kernel _ZL30rocblas_reduction_kernel_part2ILi1024ELi4E25rocblas_finalize_identity19rocblas_complex_numIfES2_EviPT2_PT3_
		.amdhsa_group_segment_fixed_size 256
		.amdhsa_private_segment_fixed_size 0
		.amdhsa_kernarg_size 24
		.amdhsa_user_sgpr_count 2
		.amdhsa_user_sgpr_dispatch_ptr 0
		.amdhsa_user_sgpr_queue_ptr 0
		.amdhsa_user_sgpr_kernarg_segment_ptr 1
		.amdhsa_user_sgpr_dispatch_id 0
		.amdhsa_user_sgpr_kernarg_preload_length 0
		.amdhsa_user_sgpr_kernarg_preload_offset 0
		.amdhsa_user_sgpr_private_segment_size 0
		.amdhsa_wavefront_size32 1
		.amdhsa_uses_dynamic_stack 0
		.amdhsa_enable_private_segment 0
		.amdhsa_system_sgpr_workgroup_id_x 1
		.amdhsa_system_sgpr_workgroup_id_y 0
		.amdhsa_system_sgpr_workgroup_id_z 0
		.amdhsa_system_sgpr_workgroup_info 0
		.amdhsa_system_vgpr_workitem_id 0
		.amdhsa_next_free_vgpr 14
		.amdhsa_next_free_sgpr 16
		.amdhsa_named_barrier_count 0
		.amdhsa_reserve_vcc 1
		.amdhsa_float_round_mode_32 0
		.amdhsa_float_round_mode_16_64 0
		.amdhsa_float_denorm_mode_32 3
		.amdhsa_float_denorm_mode_16_64 3
		.amdhsa_fp16_overflow 0
		.amdhsa_memory_ordered 1
		.amdhsa_forward_progress 1
		.amdhsa_inst_pref_size 8
		.amdhsa_round_robin_scheduling 0
		.amdhsa_exception_fp_ieee_invalid_op 0
		.amdhsa_exception_fp_denorm_src 0
		.amdhsa_exception_fp_ieee_div_zero 0
		.amdhsa_exception_fp_ieee_overflow 0
		.amdhsa_exception_fp_ieee_underflow 0
		.amdhsa_exception_fp_ieee_inexact 0
		.amdhsa_exception_int_div_zero 0
	.end_amdhsa_kernel
	.section	.text._ZL30rocblas_reduction_kernel_part2ILi1024ELi4E25rocblas_finalize_identity19rocblas_complex_numIfES2_EviPT2_PT3_,"axG",@progbits,_ZL30rocblas_reduction_kernel_part2ILi1024ELi4E25rocblas_finalize_identity19rocblas_complex_numIfES2_EviPT2_PT3_,comdat
.Lfunc_end38:
	.size	_ZL30rocblas_reduction_kernel_part2ILi1024ELi4E25rocblas_finalize_identity19rocblas_complex_numIfES2_EviPT2_PT3_, .Lfunc_end38-_ZL30rocblas_reduction_kernel_part2ILi1024ELi4E25rocblas_finalize_identity19rocblas_complex_numIfES2_EviPT2_PT3_
                                        ; -- End function
	.set _ZL30rocblas_reduction_kernel_part2ILi1024ELi4E25rocblas_finalize_identity19rocblas_complex_numIfES2_EviPT2_PT3_.num_vgpr, 14
	.set _ZL30rocblas_reduction_kernel_part2ILi1024ELi4E25rocblas_finalize_identity19rocblas_complex_numIfES2_EviPT2_PT3_.num_agpr, 0
	.set _ZL30rocblas_reduction_kernel_part2ILi1024ELi4E25rocblas_finalize_identity19rocblas_complex_numIfES2_EviPT2_PT3_.numbered_sgpr, 16
	.set _ZL30rocblas_reduction_kernel_part2ILi1024ELi4E25rocblas_finalize_identity19rocblas_complex_numIfES2_EviPT2_PT3_.num_named_barrier, 0
	.set _ZL30rocblas_reduction_kernel_part2ILi1024ELi4E25rocblas_finalize_identity19rocblas_complex_numIfES2_EviPT2_PT3_.private_seg_size, 0
	.set _ZL30rocblas_reduction_kernel_part2ILi1024ELi4E25rocblas_finalize_identity19rocblas_complex_numIfES2_EviPT2_PT3_.uses_vcc, 1
	.set _ZL30rocblas_reduction_kernel_part2ILi1024ELi4E25rocblas_finalize_identity19rocblas_complex_numIfES2_EviPT2_PT3_.uses_flat_scratch, 0
	.set _ZL30rocblas_reduction_kernel_part2ILi1024ELi4E25rocblas_finalize_identity19rocblas_complex_numIfES2_EviPT2_PT3_.has_dyn_sized_stack, 0
	.set _ZL30rocblas_reduction_kernel_part2ILi1024ELi4E25rocblas_finalize_identity19rocblas_complex_numIfES2_EviPT2_PT3_.has_recursion, 0
	.set _ZL30rocblas_reduction_kernel_part2ILi1024ELi4E25rocblas_finalize_identity19rocblas_complex_numIfES2_EviPT2_PT3_.has_indirect_call, 0
	.section	.AMDGPU.csdata,"",@progbits
; Kernel info:
; codeLenInByte = 948
; TotalNumSgprs: 18
; NumVgprs: 14
; ScratchSize: 0
; MemoryBound: 0
; FloatMode: 240
; IeeeMode: 1
; LDSByteSize: 256 bytes/workgroup (compile time only)
; SGPRBlocks: 0
; VGPRBlocks: 0
; NumSGPRsForWavesPerEU: 18
; NumVGPRsForWavesPerEU: 14
; NamedBarCnt: 0
; Occupancy: 16
; WaveLimiterHint : 0
; COMPUTE_PGM_RSRC2:SCRATCH_EN: 0
; COMPUTE_PGM_RSRC2:USER_SGPR: 2
; COMPUTE_PGM_RSRC2:TRAP_HANDLER: 0
; COMPUTE_PGM_RSRC2:TGID_X_EN: 1
; COMPUTE_PGM_RSRC2:TGID_Y_EN: 0
; COMPUTE_PGM_RSRC2:TGID_Z_EN: 0
; COMPUTE_PGM_RSRC2:TIDIG_COMP_CNT: 0
	.section	.text._ZL23rocblas_dot_kernel_inc1ILb0ELi512ELi2ELb0E19rocblas_complex_numIfEPKS1_S1_EviT4_llS4_lliPT5_PT3_,"axG",@progbits,_ZL23rocblas_dot_kernel_inc1ILb0ELi512ELi2ELb0E19rocblas_complex_numIfEPKS1_S1_EviT4_llS4_lliPT5_PT3_,comdat
	.globl	_ZL23rocblas_dot_kernel_inc1ILb0ELi512ELi2ELb0E19rocblas_complex_numIfEPKS1_S1_EviT4_llS4_lliPT5_PT3_ ; -- Begin function _ZL23rocblas_dot_kernel_inc1ILb0ELi512ELi2ELb0E19rocblas_complex_numIfEPKS1_S1_EviT4_llS4_lliPT5_PT3_
	.p2align	8
	.type	_ZL23rocblas_dot_kernel_inc1ILb0ELi512ELi2ELb0E19rocblas_complex_numIfEPKS1_S1_EviT4_llS4_lliPT5_PT3_,@function
_ZL23rocblas_dot_kernel_inc1ILb0ELi512ELi2ELb0E19rocblas_complex_numIfEPKS1_S1_EviT4_llS4_lliPT5_PT3_: ; @_ZL23rocblas_dot_kernel_inc1ILb0ELi512ELi2ELb0E19rocblas_complex_numIfEPKS1_S1_EviT4_llS4_lliPT5_PT3_
; %bb.0:
	s_load_b32 s28, s[0:1], 0x38
	s_bfe_u32 s2, ttmp6, 0x40014
	s_lshr_b32 s3, ttmp7, 16
	s_add_co_i32 s2, s2, 1
	s_bfe_u32 s5, ttmp6, 0x40008
	s_mul_i32 s4, s3, s2
	s_getreg_b32 s2, hwreg(HW_REG_IB_STS2, 6, 4)
	s_add_co_i32 s5, s5, s4
	s_cmp_eq_u32 s2, 0
	s_mov_b32 s17, 0
	s_cselect_b32 s16, s3, s5
	s_wait_kmcnt 0x0
	s_cmp_ge_u32 s16, s28
	s_cbranch_scc1 .LBB39_21
; %bb.1:
	v_mbcnt_lo_u32_b32 v3, -1, 0
	s_clause 0x6
	s_load_b128 s[4:7], s[0:1], 0x10
	s_load_b128 s[8:11], s[0:1], 0x28
	s_load_b64 s[20:21], s[0:1], 0x8
	s_load_b64 s[22:23], s[0:1], 0x20
	s_load_b32 s18, s[0:1], 0x50
	s_load_b128 s[12:15], s[0:1], 0x40
	s_load_b32 s29, s[0:1], 0x0
	s_wait_xcnt 0x0
	s_bfe_u32 s0, ttmp6, 0x4000c
	s_and_b32 s1, ttmp6, 15
	s_add_co_i32 s3, s0, 1
	v_cmp_gt_u32_e32 vcc_lo, 24, v3
	s_mul_i32 s3, ttmp9, s3
	v_and_b32_e32 v1, 31, v0
	s_add_co_i32 s1, s1, s3
	v_cmp_gt_u32_e64 s0, 32, v0
	v_cndmask_b32_e64 v4, 0, 8, vcc_lo
	v_cmp_gt_u32_e32 vcc_lo, 28, v3
	v_cmp_eq_u32_e64 s3, 0, v0
	v_lshl_or_b32 v9, v3, 2, 64
	v_mov_b32_e32 v15, 0
	s_wait_kmcnt 0x0
	s_lshl_b64 s[4:5], s[4:5], 3
	v_cndmask_b32_e64 v5, 0, 4, vcc_lo
	v_cmp_gt_u32_e32 vcc_lo, 30, v3
	s_lshl_b64 s[8:9], s[8:9], 3
	s_cmp_eq_u32 s2, 0
	v_add_lshl_u32 v10, v4, v3, 2
	v_lshrrev_b32_e32 v4, 2, v0
	v_cndmask_b32_e64 v6, 0, 2, vcc_lo
	v_cmp_ne_u32_e32 vcc_lo, 31, v3
	s_add_nc_u64 s[8:9], s[22:23], s[8:9]
	s_cselect_b32 s22, ttmp9, s1
	s_cmp_lg_u32 s18, 1
	v_lshl_or_b32 v2, s22, 9, v0
	v_add_co_ci_u32_e64 v7, null, 0, v3, vcc_lo
	v_lshlrev_b32_e32 v8, 3, v1
	v_cmp_eq_u32_e64 s1, 0, v1
	v_cmp_gt_u32_e64 s2, 16, v0
	v_mov_b64_e32 v[0:1], 0
	s_add_nc_u64 s[4:5], s[20:21], s[4:5]
	s_cselect_b32 s30, -1, 0
	s_lshl_b32 s20, s18, 9
	s_mov_b32 s23, s17
	v_add_lshl_u32 v11, v5, v3, 2
	v_add_lshl_u32 v12, v6, v3, 2
	v_lshlrev_b32_e32 v13, 2, v7
	v_and_b32_e32 v14, 0x78, v4
	s_lshl_b64 s[22:23], s[22:23], 3
	s_ashr_i32 s21, s20, 31
	s_mov_b32 s19, s17
	s_add_nc_u64 s[12:13], s[12:13], s[22:23]
	s_lshl_b64 s[22:23], s[20:21], 3
	s_branch .LBB39_4
.LBB39_2:                               ;   in Loop: Header=BB39_4 Depth=1
	s_wait_dscnt 0x0
	global_store_b32 v15, v5, s[24:25] offset:4
.LBB39_3:                               ;   in Loop: Header=BB39_4 Depth=1
	s_wait_xcnt 0x0
	s_or_b32 exec_lo, exec_lo, s21
	s_add_co_i32 s16, s16, 0x10000
	s_delay_alu instid0(SALU_CYCLE_1)
	s_cmp_lt_u32 s16, s28
	s_cbranch_scc0 .LBB39_21
.LBB39_4:                               ; =>This Inner Loop Header: Depth=1
	s_wait_dscnt 0x0
	v_dual_mov_b32 v4, 0 :: v_dual_mov_b32 v5, 0
	s_mov_b32 s21, exec_lo
	v_cmpx_gt_i32_e64 s29, v2
	s_cbranch_execz .LBB39_8
; %bb.5:                                ;   in Loop: Header=BB39_4 Depth=1
	s_mul_u64 s[24:25], s[10:11], s[16:17]
	s_mul_u64 s[26:27], s[6:7], s[16:17]
	s_lshl_b64 s[24:25], s[24:25], 3
	s_lshl_b64 s[26:27], s[26:27], 3
	s_add_nc_u64 s[24:25], s[8:9], s[24:25]
	s_add_nc_u64 s[26:27], s[4:5], s[26:27]
	s_clause 0x1
	global_load_b64 v[4:5], v2, s[24:25] scale_offset
	global_load_b64 v[6:7], v2, s[26:27] scale_offset
	s_mov_b32 s31, exec_lo
	s_wait_loadcnt 0x0
	v_pk_mul_f32 v[16:17], v[6:7], v[4:5] op_sel:[1,1] op_sel_hi:[0,1]
	s_delay_alu instid0(VALU_DEP_1) | instskip(SKIP_1) | instid1(VALU_DEP_2)
	v_pk_fma_f32 v[18:19], v[6:7], v[4:5], v[16:17] op_sel_hi:[1,0,1]
	v_pk_fma_f32 v[4:5], v[6:7], v[4:5], v[16:17] neg_lo:[0,0,1] neg_hi:[0,0,1]
	v_dual_mov_b32 v5, v19 :: v_dual_add_nc_u32 v6, s20, v2
	s_delay_alu instid0(VALU_DEP_1) | instskip(SKIP_1) | instid1(VALU_DEP_2)
	v_pk_add_f32 v[4:5], v[4:5], 0 op_sel_hi:[1,0]
	s_wait_xcnt 0x0
	v_cmpx_gt_i32_e64 s29, v6
	s_cbranch_execz .LBB39_7
; %bb.6:                                ;   in Loop: Header=BB39_4 Depth=1
	v_ashrrev_i32_e32 v3, 31, v2
	v_add_nc_u32_e32 v6, s20, v6
	s_delay_alu instid0(VALU_DEP_2) | instskip(NEXT) | instid1(VALU_DEP_1)
	v_lshlrev_b64_e32 v[2:3], 3, v[2:3]
	v_add_nc_u64_e32 v[16:17], s[26:27], v[2:3]
	v_add_nc_u64_e32 v[2:3], s[24:25], v[2:3]
	s_delay_alu instid0(VALU_DEP_2) | instskip(NEXT) | instid1(VALU_DEP_2)
	v_add_nc_u64_e32 v[16:17], s[22:23], v[16:17]
	v_add_nc_u64_e32 v[2:3], s[22:23], v[2:3]
	global_load_b64 v[18:19], v[16:17], off
	global_load_b64 v[20:21], v[2:3], off
	s_wait_loadcnt 0x0
	s_wait_xcnt 0x0
	v_pk_mul_f32 v[2:3], v[18:19], v[20:21] op_sel:[1,1] op_sel_hi:[0,1]
	s_delay_alu instid0(VALU_DEP_1) | instskip(SKIP_1) | instid1(VALU_DEP_2)
	v_pk_fma_f32 v[16:17], v[18:19], v[20:21], v[2:3] op_sel_hi:[1,0,1]
	v_pk_fma_f32 v[2:3], v[18:19], v[20:21], v[2:3] neg_lo:[0,0,1] neg_hi:[0,0,1]
	v_mov_b32_e32 v3, v17
	s_delay_alu instid0(VALU_DEP_1)
	v_pk_add_f32 v[4:5], v[4:5], v[2:3]
.LBB39_7:                               ;   in Loop: Header=BB39_4 Depth=1
	s_or_b32 exec_lo, exec_lo, s31
	v_mov_b32_e32 v2, v6
.LBB39_8:                               ;   in Loop: Header=BB39_4 Depth=1
	s_or_b32 exec_lo, exec_lo, s21
	s_and_saveexec_b32 s21, s0
; %bb.9:                                ;   in Loop: Header=BB39_4 Depth=1
	ds_store_b64 v8, v[0:1]
; %bb.10:                               ;   in Loop: Header=BB39_4 Depth=1
	s_or_b32 exec_lo, exec_lo, s21
	ds_bpermute_b32 v6, v9, v4
	ds_bpermute_b32 v7, v9, v5
	s_wait_dscnt 0x0
	s_barrier_signal -1
	s_barrier_wait -1
	v_pk_add_f32 v[4:5], v[4:5], v[6:7]
	ds_bpermute_b32 v6, v10, v4
	ds_bpermute_b32 v7, v10, v5
	s_wait_dscnt 0x0
	v_pk_add_f32 v[4:5], v[4:5], v[6:7]
	ds_bpermute_b32 v6, v11, v4
	ds_bpermute_b32 v7, v11, v5
	s_wait_dscnt 0x0
	;; [unrolled: 4-line block ×3, first 2 shown]
	v_pk_add_f32 v[4:5], v[4:5], v[6:7]
	ds_bpermute_b32 v6, v13, v4
	ds_bpermute_b32 v7, v13, v5
	s_and_saveexec_b32 s21, s1
	s_cbranch_execz .LBB39_12
; %bb.11:                               ;   in Loop: Header=BB39_4 Depth=1
	s_wait_dscnt 0x0
	v_pk_add_f32 v[4:5], v[4:5], v[6:7]
	ds_store_b64 v14, v[4:5]
.LBB39_12:                              ;   in Loop: Header=BB39_4 Depth=1
	s_or_b32 exec_lo, exec_lo, s21
	v_mov_b64_e32 v[4:5], 0
	s_wait_dscnt 0x0
	s_barrier_signal -1
	s_barrier_wait -1
	s_and_saveexec_b32 s21, s2
	s_cbranch_execnz .LBB39_15
; %bb.13:                               ;   in Loop: Header=BB39_4 Depth=1
	s_or_b32 exec_lo, exec_lo, s21
	s_and_saveexec_b32 s21, s0
	s_cbranch_execnz .LBB39_16
.LBB39_14:                              ;   in Loop: Header=BB39_4 Depth=1
	s_or_b32 exec_lo, exec_lo, s21
	s_and_saveexec_b32 s21, s3
	s_cbranch_execz .LBB39_3
	s_branch .LBB39_17
.LBB39_15:                              ;   in Loop: Header=BB39_4 Depth=1
	ds_load_b64 v[4:5], v8
	s_or_b32 exec_lo, exec_lo, s21
	s_and_saveexec_b32 s21, s0
	s_cbranch_execz .LBB39_14
.LBB39_16:                              ;   in Loop: Header=BB39_4 Depth=1
	s_wait_dscnt 0x0
	ds_bpermute_b32 v6, v10, v4
	ds_bpermute_b32 v7, v10, v5
	s_wait_dscnt 0x0
	v_pk_add_f32 v[4:5], v[4:5], v[6:7]
	ds_bpermute_b32 v6, v11, v4
	ds_bpermute_b32 v7, v11, v5
	s_wait_dscnt 0x0
	v_pk_add_f32 v[4:5], v[4:5], v[6:7]
	;; [unrolled: 4-line block ×4, first 2 shown]
	s_or_b32 exec_lo, exec_lo, s21
	s_and_saveexec_b32 s21, s3
	s_cbranch_execz .LBB39_3
.LBB39_17:                              ;   in Loop: Header=BB39_4 Depth=1
	s_and_b32 vcc_lo, exec_lo, s30
	s_mov_b32 s26, -1
                                        ; implicit-def: $sgpr24_sgpr25
	s_cbranch_vccz .LBB39_19
; %bb.18:                               ;   in Loop: Header=BB39_4 Depth=1
	s_mul_u64 s[24:25], s[18:19], s[16:17]
	s_mov_b32 s26, 0
	s_lshl_b64 s[24:25], s[24:25], 3
	s_delay_alu instid0(SALU_CYCLE_1)
	s_add_nc_u64 s[24:25], s[12:13], s[24:25]
	s_wait_dscnt 0x0
	global_store_b32 v15, v4, s[24:25]
.LBB39_19:                              ;   in Loop: Header=BB39_4 Depth=1
	s_and_not1_b32 vcc_lo, exec_lo, s26
	s_cbranch_vccnz .LBB39_2
; %bb.20:                               ;   in Loop: Header=BB39_4 Depth=1
	s_wait_xcnt 0x0
	s_lshl_b64 s[24:25], s[16:17], 3
	s_delay_alu instid0(SALU_CYCLE_1)
	s_add_nc_u64 s[24:25], s[14:15], s[24:25]
	s_wait_dscnt 0x0
	global_store_b32 v15, v4, s[24:25]
	s_branch .LBB39_2
.LBB39_21:
	s_endpgm
	.section	.rodata,"a",@progbits
	.p2align	6, 0x0
	.amdhsa_kernel _ZL23rocblas_dot_kernel_inc1ILb0ELi512ELi2ELb0E19rocblas_complex_numIfEPKS1_S1_EviT4_llS4_lliPT5_PT3_
		.amdhsa_group_segment_fixed_size 256
		.amdhsa_private_segment_fixed_size 0
		.amdhsa_kernarg_size 336
		.amdhsa_user_sgpr_count 2
		.amdhsa_user_sgpr_dispatch_ptr 0
		.amdhsa_user_sgpr_queue_ptr 0
		.amdhsa_user_sgpr_kernarg_segment_ptr 1
		.amdhsa_user_sgpr_dispatch_id 0
		.amdhsa_user_sgpr_kernarg_preload_length 0
		.amdhsa_user_sgpr_kernarg_preload_offset 0
		.amdhsa_user_sgpr_private_segment_size 0
		.amdhsa_wavefront_size32 1
		.amdhsa_uses_dynamic_stack 0
		.amdhsa_enable_private_segment 0
		.amdhsa_system_sgpr_workgroup_id_x 1
		.amdhsa_system_sgpr_workgroup_id_y 0
		.amdhsa_system_sgpr_workgroup_id_z 1
		.amdhsa_system_sgpr_workgroup_info 0
		.amdhsa_system_vgpr_workitem_id 0
		.amdhsa_next_free_vgpr 22
		.amdhsa_next_free_sgpr 32
		.amdhsa_named_barrier_count 0
		.amdhsa_reserve_vcc 1
		.amdhsa_float_round_mode_32 0
		.amdhsa_float_round_mode_16_64 0
		.amdhsa_float_denorm_mode_32 3
		.amdhsa_float_denorm_mode_16_64 3
		.amdhsa_fp16_overflow 0
		.amdhsa_memory_ordered 1
		.amdhsa_forward_progress 1
		.amdhsa_inst_pref_size 10
		.amdhsa_round_robin_scheduling 0
		.amdhsa_exception_fp_ieee_invalid_op 0
		.amdhsa_exception_fp_denorm_src 0
		.amdhsa_exception_fp_ieee_div_zero 0
		.amdhsa_exception_fp_ieee_overflow 0
		.amdhsa_exception_fp_ieee_underflow 0
		.amdhsa_exception_fp_ieee_inexact 0
		.amdhsa_exception_int_div_zero 0
	.end_amdhsa_kernel
	.section	.text._ZL23rocblas_dot_kernel_inc1ILb0ELi512ELi2ELb0E19rocblas_complex_numIfEPKS1_S1_EviT4_llS4_lliPT5_PT3_,"axG",@progbits,_ZL23rocblas_dot_kernel_inc1ILb0ELi512ELi2ELb0E19rocblas_complex_numIfEPKS1_S1_EviT4_llS4_lliPT5_PT3_,comdat
.Lfunc_end39:
	.size	_ZL23rocblas_dot_kernel_inc1ILb0ELi512ELi2ELb0E19rocblas_complex_numIfEPKS1_S1_EviT4_llS4_lliPT5_PT3_, .Lfunc_end39-_ZL23rocblas_dot_kernel_inc1ILb0ELi512ELi2ELb0E19rocblas_complex_numIfEPKS1_S1_EviT4_llS4_lliPT5_PT3_
                                        ; -- End function
	.set _ZL23rocblas_dot_kernel_inc1ILb0ELi512ELi2ELb0E19rocblas_complex_numIfEPKS1_S1_EviT4_llS4_lliPT5_PT3_.num_vgpr, 22
	.set _ZL23rocblas_dot_kernel_inc1ILb0ELi512ELi2ELb0E19rocblas_complex_numIfEPKS1_S1_EviT4_llS4_lliPT5_PT3_.num_agpr, 0
	.set _ZL23rocblas_dot_kernel_inc1ILb0ELi512ELi2ELb0E19rocblas_complex_numIfEPKS1_S1_EviT4_llS4_lliPT5_PT3_.numbered_sgpr, 32
	.set _ZL23rocblas_dot_kernel_inc1ILb0ELi512ELi2ELb0E19rocblas_complex_numIfEPKS1_S1_EviT4_llS4_lliPT5_PT3_.num_named_barrier, 0
	.set _ZL23rocblas_dot_kernel_inc1ILb0ELi512ELi2ELb0E19rocblas_complex_numIfEPKS1_S1_EviT4_llS4_lliPT5_PT3_.private_seg_size, 0
	.set _ZL23rocblas_dot_kernel_inc1ILb0ELi512ELi2ELb0E19rocblas_complex_numIfEPKS1_S1_EviT4_llS4_lliPT5_PT3_.uses_vcc, 1
	.set _ZL23rocblas_dot_kernel_inc1ILb0ELi512ELi2ELb0E19rocblas_complex_numIfEPKS1_S1_EviT4_llS4_lliPT5_PT3_.uses_flat_scratch, 0
	.set _ZL23rocblas_dot_kernel_inc1ILb0ELi512ELi2ELb0E19rocblas_complex_numIfEPKS1_S1_EviT4_llS4_lliPT5_PT3_.has_dyn_sized_stack, 0
	.set _ZL23rocblas_dot_kernel_inc1ILb0ELi512ELi2ELb0E19rocblas_complex_numIfEPKS1_S1_EviT4_llS4_lliPT5_PT3_.has_recursion, 0
	.set _ZL23rocblas_dot_kernel_inc1ILb0ELi512ELi2ELb0E19rocblas_complex_numIfEPKS1_S1_EviT4_llS4_lliPT5_PT3_.has_indirect_call, 0
	.section	.AMDGPU.csdata,"",@progbits
; Kernel info:
; codeLenInByte = 1184
; TotalNumSgprs: 34
; NumVgprs: 22
; ScratchSize: 0
; MemoryBound: 0
; FloatMode: 240
; IeeeMode: 1
; LDSByteSize: 256 bytes/workgroup (compile time only)
; SGPRBlocks: 0
; VGPRBlocks: 1
; NumSGPRsForWavesPerEU: 34
; NumVGPRsForWavesPerEU: 22
; NamedBarCnt: 0
; Occupancy: 16
; WaveLimiterHint : 0
; COMPUTE_PGM_RSRC2:SCRATCH_EN: 0
; COMPUTE_PGM_RSRC2:USER_SGPR: 2
; COMPUTE_PGM_RSRC2:TRAP_HANDLER: 0
; COMPUTE_PGM_RSRC2:TGID_X_EN: 1
; COMPUTE_PGM_RSRC2:TGID_Y_EN: 0
; COMPUTE_PGM_RSRC2:TGID_Z_EN: 1
; COMPUTE_PGM_RSRC2:TIDIG_COMP_CNT: 0
	.section	.text._ZL18rocblas_dot_kernelIiLb0ELi512ELi2ELb0E19rocblas_complex_numIfEPKS1_S1_EviT5_lT_lS4_lS5_liPT6_PT4_,"axG",@progbits,_ZL18rocblas_dot_kernelIiLb0ELi512ELi2ELb0E19rocblas_complex_numIfEPKS1_S1_EviT5_lT_lS4_lS5_liPT6_PT4_,comdat
	.globl	_ZL18rocblas_dot_kernelIiLb0ELi512ELi2ELb0E19rocblas_complex_numIfEPKS1_S1_EviT5_lT_lS4_lS5_liPT6_PT4_ ; -- Begin function _ZL18rocblas_dot_kernelIiLb0ELi512ELi2ELb0E19rocblas_complex_numIfEPKS1_S1_EviT5_lT_lS4_lS5_liPT6_PT4_
	.p2align	8
	.type	_ZL18rocblas_dot_kernelIiLb0ELi512ELi2ELb0E19rocblas_complex_numIfEPKS1_S1_EviT5_lT_lS4_lS5_liPT6_PT4_,@function
_ZL18rocblas_dot_kernelIiLb0ELi512ELi2ELb0E19rocblas_complex_numIfEPKS1_S1_EviT5_lT_lS4_lS5_liPT6_PT4_: ; @_ZL18rocblas_dot_kernelIiLb0ELi512ELi2ELb0E19rocblas_complex_numIfEPKS1_S1_EviT5_lT_lS4_lS5_liPT6_PT4_
; %bb.0:
	s_load_b32 s28, s[0:1], 0x48
	s_bfe_u32 s2, ttmp6, 0x40014
	s_lshr_b32 s3, ttmp7, 16
	s_add_co_i32 s2, s2, 1
	s_bfe_u32 s5, ttmp6, 0x40008
	s_mul_i32 s4, s3, s2
	s_getreg_b32 s2, hwreg(HW_REG_IB_STS2, 6, 4)
	s_add_co_i32 s5, s5, s4
	s_cmp_eq_u32 s2, 0
	s_mov_b32 s13, 0
	s_cselect_b32 s12, s3, s5
	s_wait_kmcnt 0x0
	s_cmp_ge_u32 s12, s28
	s_cbranch_scc1 .LBB40_21
; %bb.1:
	v_mbcnt_lo_u32_b32 v3, -1, 0
	s_clause 0x7
	s_load_b32 s14, s[0:1], 0x18
	s_load_b96 s[36:38], s[0:1], 0x30
	s_load_b128 s[24:27], s[0:1], 0x8
	s_load_b128 s[4:7], s[0:1], 0x20
	s_load_b32 s16, s[0:1], 0x60
	s_load_b32 s29, s[0:1], 0x0
	s_load_b128 s[8:11], s[0:1], 0x50
	s_load_b64 s[18:19], s[0:1], 0x40
	s_wait_xcnt 0x0
	s_bfe_u32 s0, ttmp6, 0x4000c
	s_and_b32 s1, ttmp6, 15
	s_add_co_i32 s0, s0, 1
	v_cmp_gt_u32_e32 vcc_lo, 24, v3
	s_mul_i32 s0, ttmp9, s0
	v_and_b32_e32 v1, 31, v0
	s_add_co_i32 s3, s1, s0
	v_lshl_or_b32 v9, v3, 2, 64
	v_cndmask_b32_e64 v4, 0, 8, vcc_lo
	v_cmp_gt_u32_e32 vcc_lo, 28, v3
	v_mov_b32_e32 v15, 0
	s_mov_b32 s17, s13
	s_wait_kmcnt 0x0
	s_ashr_i32 s15, s14, 31
	s_ashr_i32 s21, s38, 31
	v_cndmask_b32_e64 v5, 0, 4, vcc_lo
	v_cmp_gt_u32_e32 vcc_lo, 30, v3
	s_lshl_b64 s[0:1], s[26:27], 3
	s_lshl_b64 s[26:27], s[36:37], 3
	s_cmp_eq_u32 s2, 0
	v_add_lshl_u32 v10, v4, v3, 2
	v_cndmask_b32_e64 v6, 0, 2, vcc_lo
	v_cmp_ne_u32_e32 vcc_lo, 31, v3
	v_lshrrev_b32_e32 v4, 2, v0
	s_add_nc_u64 s[22:23], s[24:25], s[0:1]
	s_cselect_b32 s24, ttmp9, s3
	v_cmp_gt_u32_e64 s0, 32, v0
	v_add_co_ci_u32_e64 v7, null, 0, v3, vcc_lo
	v_lshl_or_b32 v2, s24, 9, v0
	v_lshlrev_b32_e32 v8, 3, v1
	v_cmp_eq_u32_e64 s1, 0, v1
	v_cmp_gt_u32_e64 s2, 16, v0
	v_cmp_eq_u32_e64 s3, 0, v0
	v_mov_b64_e32 v[0:1], 0
	s_cmp_lg_u32 s16, 1
	s_mov_b32 s25, s13
	v_add_lshl_u32 v11, v5, v3, 2
	v_add_lshl_u32 v12, v6, v3, 2
	v_lshlrev_b32_e32 v13, 2, v7
	v_and_b32_e32 v14, 0x78, v4
	s_cselect_b32 s30, -1, 0
	s_lshl_b64 s[24:25], s[24:25], 3
	s_mov_b32 s20, s38
	s_add_nc_u64 s[6:7], s[6:7], s[26:27]
	s_lshl_b32 s31, s16, 9
	s_add_nc_u64 s[8:9], s[8:9], s[24:25]
	s_branch .LBB40_4
.LBB40_2:                               ;   in Loop: Header=BB40_4 Depth=1
	s_wait_dscnt 0x0
	global_store_b32 v15, v5, s[24:25] offset:4
.LBB40_3:                               ;   in Loop: Header=BB40_4 Depth=1
	s_wait_xcnt 0x0
	s_or_b32 exec_lo, exec_lo, s26
	s_add_co_i32 s12, s12, 0x10000
	s_delay_alu instid0(SALU_CYCLE_1)
	s_cmp_lt_u32 s12, s28
	s_cbranch_scc0 .LBB40_21
.LBB40_4:                               ; =>This Inner Loop Header: Depth=1
	s_wait_dscnt 0x0
	v_dual_mov_b32 v4, 0 :: v_dual_mov_b32 v5, 0
	s_mov_b32 s33, exec_lo
	v_cmpx_gt_i32_e64 s29, v2
	s_cbranch_execz .LBB40_8
; %bb.5:                                ;   in Loop: Header=BB40_4 Depth=1
	v_ashrrev_i32_e32 v3, 31, v2
	s_mul_u64 s[24:25], s[18:19], s[12:13]
	s_mul_u64 s[26:27], s[4:5], s[12:13]
	s_lshl_b64 s[24:25], s[24:25], 3
	s_lshl_b64 s[26:27], s[26:27], 3
	v_mul_u64_e32 v[4:5], s[20:21], v[2:3]
	v_mul_u64_e32 v[6:7], s[14:15], v[2:3]
	s_add_nc_u64 s[24:25], s[6:7], s[24:25]
	s_add_nc_u64 s[26:27], s[22:23], s[26:27]
	v_add_nc_u32_e32 v2, s31, v2
	s_mov_b32 s34, exec_lo
	s_delay_alu instid0(VALU_DEP_3) | instskip(NEXT) | instid1(VALU_DEP_3)
	v_lshl_add_u64 v[4:5], v[4:5], 3, s[24:25]
	v_lshl_add_u64 v[6:7], v[6:7], 3, s[26:27]
	global_load_b64 v[16:17], v[4:5], off
	global_load_b64 v[18:19], v[6:7], off
	s_wait_loadcnt 0x0
	s_wait_xcnt 0x1
	v_pk_mul_f32 v[4:5], v[18:19], v[16:17] op_sel:[1,1] op_sel_hi:[0,1]
	s_wait_xcnt 0x0
	s_delay_alu instid0(VALU_DEP_1) | instskip(SKIP_1) | instid1(VALU_DEP_2)
	v_pk_fma_f32 v[6:7], v[18:19], v[16:17], v[4:5] op_sel_hi:[1,0,1]
	v_pk_fma_f32 v[4:5], v[18:19], v[16:17], v[4:5] neg_lo:[0,0,1] neg_hi:[0,0,1]
	v_mov_b32_e32 v5, v7
	s_delay_alu instid0(VALU_DEP_1)
	v_pk_add_f32 v[4:5], v[4:5], 0 op_sel_hi:[1,0]
	v_cmpx_gt_i32_e64 s29, v2
	s_cbranch_execz .LBB40_7
; %bb.6:                                ;   in Loop: Header=BB40_4 Depth=1
	v_ashrrev_i32_e32 v3, 31, v2
	s_delay_alu instid0(VALU_DEP_1) | instskip(SKIP_2) | instid1(VALU_DEP_3)
	v_mul_u64_e32 v[6:7], s[14:15], v[2:3]
	v_mul_u64_e32 v[16:17], s[20:21], v[2:3]
	v_add_nc_u32_e32 v2, s31, v2
	v_lshl_add_u64 v[6:7], v[6:7], 3, s[26:27]
	s_delay_alu instid0(VALU_DEP_3)
	v_lshl_add_u64 v[16:17], v[16:17], 3, s[24:25]
	global_load_b64 v[18:19], v[6:7], off
	global_load_b64 v[20:21], v[16:17], off
	s_wait_loadcnt 0x0
	s_wait_xcnt 0x1
	v_pk_mul_f32 v[6:7], v[18:19], v[20:21] op_sel:[1,1] op_sel_hi:[0,1]
	s_wait_xcnt 0x0
	s_delay_alu instid0(VALU_DEP_1) | instskip(SKIP_1) | instid1(VALU_DEP_2)
	v_pk_fma_f32 v[16:17], v[18:19], v[20:21], v[6:7] op_sel_hi:[1,0,1]
	v_pk_fma_f32 v[6:7], v[18:19], v[20:21], v[6:7] neg_lo:[0,0,1] neg_hi:[0,0,1]
	v_mov_b32_e32 v7, v17
	s_delay_alu instid0(VALU_DEP_1)
	v_pk_add_f32 v[4:5], v[4:5], v[6:7]
.LBB40_7:                               ;   in Loop: Header=BB40_4 Depth=1
	s_or_b32 exec_lo, exec_lo, s34
.LBB40_8:                               ;   in Loop: Header=BB40_4 Depth=1
	s_delay_alu instid0(SALU_CYCLE_1)
	s_or_b32 exec_lo, exec_lo, s33
	s_and_saveexec_b32 s24, s0
; %bb.9:                                ;   in Loop: Header=BB40_4 Depth=1
	ds_store_b64 v8, v[0:1]
; %bb.10:                               ;   in Loop: Header=BB40_4 Depth=1
	s_or_b32 exec_lo, exec_lo, s24
	ds_bpermute_b32 v6, v9, v4
	ds_bpermute_b32 v7, v9, v5
	s_wait_dscnt 0x0
	s_barrier_signal -1
	s_barrier_wait -1
	v_pk_add_f32 v[4:5], v[4:5], v[6:7]
	ds_bpermute_b32 v6, v10, v4
	ds_bpermute_b32 v7, v10, v5
	s_wait_dscnt 0x0
	v_pk_add_f32 v[4:5], v[4:5], v[6:7]
	ds_bpermute_b32 v6, v11, v4
	ds_bpermute_b32 v7, v11, v5
	s_wait_dscnt 0x0
	;; [unrolled: 4-line block ×3, first 2 shown]
	v_pk_add_f32 v[4:5], v[4:5], v[6:7]
	ds_bpermute_b32 v6, v13, v4
	ds_bpermute_b32 v7, v13, v5
	s_and_saveexec_b32 s24, s1
	s_cbranch_execz .LBB40_12
; %bb.11:                               ;   in Loop: Header=BB40_4 Depth=1
	s_wait_dscnt 0x0
	v_pk_add_f32 v[4:5], v[4:5], v[6:7]
	ds_store_b64 v14, v[4:5]
.LBB40_12:                              ;   in Loop: Header=BB40_4 Depth=1
	s_or_b32 exec_lo, exec_lo, s24
	v_mov_b64_e32 v[4:5], 0
	s_wait_dscnt 0x0
	s_barrier_signal -1
	s_barrier_wait -1
	s_and_saveexec_b32 s24, s2
	s_cbranch_execnz .LBB40_15
; %bb.13:                               ;   in Loop: Header=BB40_4 Depth=1
	s_or_b32 exec_lo, exec_lo, s24
	s_and_saveexec_b32 s24, s0
	s_cbranch_execnz .LBB40_16
.LBB40_14:                              ;   in Loop: Header=BB40_4 Depth=1
	s_or_b32 exec_lo, exec_lo, s24
	s_and_saveexec_b32 s26, s3
	s_cbranch_execz .LBB40_3
	s_branch .LBB40_17
.LBB40_15:                              ;   in Loop: Header=BB40_4 Depth=1
	ds_load_b64 v[4:5], v8
	s_or_b32 exec_lo, exec_lo, s24
	s_and_saveexec_b32 s24, s0
	s_cbranch_execz .LBB40_14
.LBB40_16:                              ;   in Loop: Header=BB40_4 Depth=1
	s_wait_dscnt 0x0
	ds_bpermute_b32 v6, v10, v4
	ds_bpermute_b32 v7, v10, v5
	s_wait_dscnt 0x0
	v_pk_add_f32 v[4:5], v[4:5], v[6:7]
	ds_bpermute_b32 v6, v11, v4
	ds_bpermute_b32 v7, v11, v5
	s_wait_dscnt 0x0
	v_pk_add_f32 v[4:5], v[4:5], v[6:7]
	;; [unrolled: 4-line block ×4, first 2 shown]
	s_or_b32 exec_lo, exec_lo, s24
	s_and_saveexec_b32 s26, s3
	s_cbranch_execz .LBB40_3
.LBB40_17:                              ;   in Loop: Header=BB40_4 Depth=1
	s_and_b32 vcc_lo, exec_lo, s30
	s_mov_b32 s27, -1
                                        ; implicit-def: $sgpr24_sgpr25
	s_cbranch_vccz .LBB40_19
; %bb.18:                               ;   in Loop: Header=BB40_4 Depth=1
	s_mul_u64 s[24:25], s[16:17], s[12:13]
	s_mov_b32 s27, 0
	s_lshl_b64 s[24:25], s[24:25], 3
	s_delay_alu instid0(SALU_CYCLE_1)
	s_add_nc_u64 s[24:25], s[8:9], s[24:25]
	s_wait_dscnt 0x0
	global_store_b32 v15, v4, s[24:25]
.LBB40_19:                              ;   in Loop: Header=BB40_4 Depth=1
	s_and_not1_b32 vcc_lo, exec_lo, s27
	s_cbranch_vccnz .LBB40_2
; %bb.20:                               ;   in Loop: Header=BB40_4 Depth=1
	s_wait_xcnt 0x0
	s_lshl_b64 s[24:25], s[12:13], 3
	s_delay_alu instid0(SALU_CYCLE_1)
	s_add_nc_u64 s[24:25], s[10:11], s[24:25]
	s_wait_dscnt 0x0
	global_store_b32 v15, v4, s[24:25]
	s_branch .LBB40_2
.LBB40_21:
	s_endpgm
	.section	.rodata,"a",@progbits
	.p2align	6, 0x0
	.amdhsa_kernel _ZL18rocblas_dot_kernelIiLb0ELi512ELi2ELb0E19rocblas_complex_numIfEPKS1_S1_EviT5_lT_lS4_lS5_liPT6_PT4_
		.amdhsa_group_segment_fixed_size 256
		.amdhsa_private_segment_fixed_size 0
		.amdhsa_kernarg_size 352
		.amdhsa_user_sgpr_count 2
		.amdhsa_user_sgpr_dispatch_ptr 0
		.amdhsa_user_sgpr_queue_ptr 0
		.amdhsa_user_sgpr_kernarg_segment_ptr 1
		.amdhsa_user_sgpr_dispatch_id 0
		.amdhsa_user_sgpr_kernarg_preload_length 0
		.amdhsa_user_sgpr_kernarg_preload_offset 0
		.amdhsa_user_sgpr_private_segment_size 0
		.amdhsa_wavefront_size32 1
		.amdhsa_uses_dynamic_stack 0
		.amdhsa_enable_private_segment 0
		.amdhsa_system_sgpr_workgroup_id_x 1
		.amdhsa_system_sgpr_workgroup_id_y 0
		.amdhsa_system_sgpr_workgroup_id_z 1
		.amdhsa_system_sgpr_workgroup_info 0
		.amdhsa_system_vgpr_workitem_id 0
		.amdhsa_next_free_vgpr 22
		.amdhsa_next_free_sgpr 39
		.amdhsa_named_barrier_count 0
		.amdhsa_reserve_vcc 1
		.amdhsa_float_round_mode_32 0
		.amdhsa_float_round_mode_16_64 0
		.amdhsa_float_denorm_mode_32 3
		.amdhsa_float_denorm_mode_16_64 3
		.amdhsa_fp16_overflow 0
		.amdhsa_memory_ordered 1
		.amdhsa_forward_progress 1
		.amdhsa_inst_pref_size 10
		.amdhsa_round_robin_scheduling 0
		.amdhsa_exception_fp_ieee_invalid_op 0
		.amdhsa_exception_fp_denorm_src 0
		.amdhsa_exception_fp_ieee_div_zero 0
		.amdhsa_exception_fp_ieee_overflow 0
		.amdhsa_exception_fp_ieee_underflow 0
		.amdhsa_exception_fp_ieee_inexact 0
		.amdhsa_exception_int_div_zero 0
	.end_amdhsa_kernel
	.section	.text._ZL18rocblas_dot_kernelIiLb0ELi512ELi2ELb0E19rocblas_complex_numIfEPKS1_S1_EviT5_lT_lS4_lS5_liPT6_PT4_,"axG",@progbits,_ZL18rocblas_dot_kernelIiLb0ELi512ELi2ELb0E19rocblas_complex_numIfEPKS1_S1_EviT5_lT_lS4_lS5_liPT6_PT4_,comdat
.Lfunc_end40:
	.size	_ZL18rocblas_dot_kernelIiLb0ELi512ELi2ELb0E19rocblas_complex_numIfEPKS1_S1_EviT5_lT_lS4_lS5_liPT6_PT4_, .Lfunc_end40-_ZL18rocblas_dot_kernelIiLb0ELi512ELi2ELb0E19rocblas_complex_numIfEPKS1_S1_EviT5_lT_lS4_lS5_liPT6_PT4_
                                        ; -- End function
	.set _ZL18rocblas_dot_kernelIiLb0ELi512ELi2ELb0E19rocblas_complex_numIfEPKS1_S1_EviT5_lT_lS4_lS5_liPT6_PT4_.num_vgpr, 22
	.set _ZL18rocblas_dot_kernelIiLb0ELi512ELi2ELb0E19rocblas_complex_numIfEPKS1_S1_EviT5_lT_lS4_lS5_liPT6_PT4_.num_agpr, 0
	.set _ZL18rocblas_dot_kernelIiLb0ELi512ELi2ELb0E19rocblas_complex_numIfEPKS1_S1_EviT5_lT_lS4_lS5_liPT6_PT4_.numbered_sgpr, 39
	.set _ZL18rocblas_dot_kernelIiLb0ELi512ELi2ELb0E19rocblas_complex_numIfEPKS1_S1_EviT5_lT_lS4_lS5_liPT6_PT4_.num_named_barrier, 0
	.set _ZL18rocblas_dot_kernelIiLb0ELi512ELi2ELb0E19rocblas_complex_numIfEPKS1_S1_EviT5_lT_lS4_lS5_liPT6_PT4_.private_seg_size, 0
	.set _ZL18rocblas_dot_kernelIiLb0ELi512ELi2ELb0E19rocblas_complex_numIfEPKS1_S1_EviT5_lT_lS4_lS5_liPT6_PT4_.uses_vcc, 1
	.set _ZL18rocblas_dot_kernelIiLb0ELi512ELi2ELb0E19rocblas_complex_numIfEPKS1_S1_EviT5_lT_lS4_lS5_liPT6_PT4_.uses_flat_scratch, 0
	.set _ZL18rocblas_dot_kernelIiLb0ELi512ELi2ELb0E19rocblas_complex_numIfEPKS1_S1_EviT5_lT_lS4_lS5_liPT6_PT4_.has_dyn_sized_stack, 0
	.set _ZL18rocblas_dot_kernelIiLb0ELi512ELi2ELb0E19rocblas_complex_numIfEPKS1_S1_EviT5_lT_lS4_lS5_liPT6_PT4_.has_recursion, 0
	.set _ZL18rocblas_dot_kernelIiLb0ELi512ELi2ELb0E19rocblas_complex_numIfEPKS1_S1_EviT5_lT_lS4_lS5_liPT6_PT4_.has_indirect_call, 0
	.section	.AMDGPU.csdata,"",@progbits
; Kernel info:
; codeLenInByte = 1236
; TotalNumSgprs: 41
; NumVgprs: 22
; ScratchSize: 0
; MemoryBound: 0
; FloatMode: 240
; IeeeMode: 1
; LDSByteSize: 256 bytes/workgroup (compile time only)
; SGPRBlocks: 0
; VGPRBlocks: 1
; NumSGPRsForWavesPerEU: 41
; NumVGPRsForWavesPerEU: 22
; NamedBarCnt: 0
; Occupancy: 16
; WaveLimiterHint : 0
; COMPUTE_PGM_RSRC2:SCRATCH_EN: 0
; COMPUTE_PGM_RSRC2:USER_SGPR: 2
; COMPUTE_PGM_RSRC2:TRAP_HANDLER: 0
; COMPUTE_PGM_RSRC2:TGID_X_EN: 1
; COMPUTE_PGM_RSRC2:TGID_Y_EN: 0
; COMPUTE_PGM_RSRC2:TGID_Z_EN: 1
; COMPUTE_PGM_RSRC2:TIDIG_COMP_CNT: 0
	.section	.text._ZL24rocblas_dot_kernel_magsqIiLb0ELi512ELi2ELb0E19rocblas_complex_numIfEPKS1_S1_EviT5_lT_liPT6_PT4_,"axG",@progbits,_ZL24rocblas_dot_kernel_magsqIiLb0ELi512ELi2ELb0E19rocblas_complex_numIfEPKS1_S1_EviT5_lT_liPT6_PT4_,comdat
	.globl	_ZL24rocblas_dot_kernel_magsqIiLb0ELi512ELi2ELb0E19rocblas_complex_numIfEPKS1_S1_EviT5_lT_liPT6_PT4_ ; -- Begin function _ZL24rocblas_dot_kernel_magsqIiLb0ELi512ELi2ELb0E19rocblas_complex_numIfEPKS1_S1_EviT5_lT_liPT6_PT4_
	.p2align	8
	.type	_ZL24rocblas_dot_kernel_magsqIiLb0ELi512ELi2ELb0E19rocblas_complex_numIfEPKS1_S1_EviT5_lT_liPT6_PT4_,@function
_ZL24rocblas_dot_kernel_magsqIiLb0ELi512ELi2ELb0E19rocblas_complex_numIfEPKS1_S1_EviT5_lT_liPT6_PT4_: ; @_ZL24rocblas_dot_kernel_magsqIiLb0ELi512ELi2ELb0E19rocblas_complex_numIfEPKS1_S1_EviT5_lT_liPT6_PT4_
; %bb.0:
	s_load_b32 s20, s[0:1], 0x28
	s_bfe_u32 s2, ttmp6, 0x40014
	s_lshr_b32 s3, ttmp7, 16
	s_add_co_i32 s2, s2, 1
	s_bfe_u32 s5, ttmp6, 0x40008
	s_mul_i32 s4, s3, s2
	s_getreg_b32 s2, hwreg(HW_REG_IB_STS2, 6, 4)
	s_add_co_i32 s5, s5, s4
	s_cmp_eq_u32 s2, 0
	s_mov_b32 s9, 0
	s_cselect_b32 s8, s3, s5
	s_wait_kmcnt 0x0
	s_cmp_ge_u32 s8, s20
	s_cbranch_scc1 .LBB41_21
; %bb.1:
	v_mbcnt_lo_u32_b32 v3, -1, 0
	s_clause 0x5
	s_load_b32 s10, s[0:1], 0x18
	s_load_b128 s[16:19], s[0:1], 0x8
	s_load_b32 s12, s[0:1], 0x40
	s_load_b128 s[4:7], s[0:1], 0x30
	s_load_b64 s[14:15], s[0:1], 0x20
	s_load_b32 s21, s[0:1], 0x0
	s_wait_xcnt 0x0
	s_bfe_u32 s0, ttmp6, 0x4000c
	s_and_b32 s1, ttmp6, 15
	s_add_co_i32 s3, s0, 1
	v_cmp_gt_u32_e32 vcc_lo, 24, v3
	s_mul_i32 s3, ttmp9, s3
	v_and_b32_e32 v1, 31, v0
	s_add_co_i32 s1, s1, s3
	v_cmp_gt_u32_e64 s0, 32, v0
	v_cndmask_b32_e64 v4, 0, 8, vcc_lo
	v_cmp_gt_u32_e32 vcc_lo, 28, v3
	v_cmp_eq_u32_e64 s3, 0, v0
	v_lshl_or_b32 v9, v3, 2, 64
	v_mov_b32_e32 v15, 0
	v_add_lshl_u32 v10, v4, v3, 2
	v_cndmask_b32_e64 v5, 0, 4, vcc_lo
	v_cmp_gt_u32_e32 vcc_lo, 30, v3
	s_wait_kmcnt 0x0
	s_ashr_i32 s11, s10, 31
	s_lshl_b64 s[18:19], s[18:19], 3
	s_cmp_eq_u32 s2, 0
	v_lshrrev_b32_e32 v4, 2, v0
	v_cndmask_b32_e64 v6, 0, 2, vcc_lo
	v_cmp_ne_u32_e32 vcc_lo, 31, v3
	s_add_nc_u64 s[16:17], s[16:17], s[18:19]
	s_cselect_b32 s18, ttmp9, s1
	v_cmp_eq_u32_e64 s1, 0, v1
	v_lshl_or_b32 v2, s18, 9, v0
	v_add_co_ci_u32_e64 v7, null, 0, v3, vcc_lo
	v_lshlrev_b32_e32 v8, 3, v1
	v_cmp_gt_u32_e64 s2, 16, v0
	v_mov_b64_e32 v[0:1], 0
	s_cmp_lg_u32 s12, 1
	s_mov_b32 s19, s9
	v_add_lshl_u32 v11, v5, v3, 2
	v_add_lshl_u32 v12, v6, v3, 2
	v_lshlrev_b32_e32 v13, 2, v7
	v_and_b32_e32 v14, 0x78, v4
	s_cselect_b32 s22, -1, 0
	s_lshl_b64 s[18:19], s[18:19], 3
	s_mov_b32 s13, s9
	s_lshl_b32 s23, s12, 9
	s_add_nc_u64 s[4:5], s[4:5], s[18:19]
	s_branch .LBB41_4
.LBB41_2:                               ;   in Loop: Header=BB41_4 Depth=1
	s_wait_dscnt 0x0
	global_store_b32 v15, v5, s[18:19] offset:4
.LBB41_3:                               ;   in Loop: Header=BB41_4 Depth=1
	s_wait_xcnt 0x0
	s_or_b32 exec_lo, exec_lo, s24
	s_add_co_i32 s8, s8, 0x10000
	s_delay_alu instid0(SALU_CYCLE_1)
	s_cmp_lt_u32 s8, s20
	s_cbranch_scc0 .LBB41_21
.LBB41_4:                               ; =>This Inner Loop Header: Depth=1
	s_wait_dscnt 0x0
	v_dual_mov_b32 v4, 0 :: v_dual_mov_b32 v5, 0
	s_mov_b32 s24, exec_lo
	v_cmpx_gt_i32_e64 s21, v2
	s_cbranch_execz .LBB41_8
; %bb.5:                                ;   in Loop: Header=BB41_4 Depth=1
	v_ashrrev_i32_e32 v3, 31, v2
	s_mul_u64 s[18:19], s[14:15], s[8:9]
	s_mov_b32 s25, exec_lo
	s_lshl_b64 s[18:19], s[18:19], 3
	s_delay_alu instid0(SALU_CYCLE_1) | instskip(SKIP_2) | instid1(VALU_DEP_2)
	s_add_nc_u64 s[18:19], s[16:17], s[18:19]
	v_mul_u64_e32 v[4:5], s[10:11], v[2:3]
	v_add_nc_u32_e32 v2, s23, v2
	v_lshl_add_u64 v[4:5], v[4:5], 3, s[18:19]
	global_load_b64 v[4:5], v[4:5], off
	s_wait_loadcnt 0x0
	v_pk_mul_f32 v[6:7], v[4:5], v[4:5] op_sel:[1,1] op_sel_hi:[0,1]
	s_delay_alu instid0(VALU_DEP_1) | instskip(SKIP_2) | instid1(VALU_DEP_2)
	v_pk_fma_f32 v[16:17], v[4:5], v[4:5], v[6:7] op_sel_hi:[0,1,1]
	s_wait_xcnt 0x0
	v_pk_fma_f32 v[4:5], v[4:5], v[4:5], v[6:7] neg_lo:[0,0,1] neg_hi:[0,0,1]
	v_mov_b32_e32 v5, v17
	s_delay_alu instid0(VALU_DEP_1)
	v_pk_add_f32 v[4:5], v[4:5], 0 op_sel_hi:[1,0]
	v_cmpx_gt_i32_e64 s21, v2
	s_cbranch_execz .LBB41_7
; %bb.6:                                ;   in Loop: Header=BB41_4 Depth=1
	v_ashrrev_i32_e32 v3, 31, v2
	s_delay_alu instid0(VALU_DEP_1) | instskip(SKIP_1) | instid1(VALU_DEP_2)
	v_mul_u64_e32 v[6:7], s[10:11], v[2:3]
	v_add_nc_u32_e32 v2, s23, v2
	v_lshl_add_u64 v[6:7], v[6:7], 3, s[18:19]
	global_load_b64 v[6:7], v[6:7], off
	s_wait_loadcnt 0x0
	v_pk_mul_f32 v[16:17], v[6:7], v[6:7] op_sel:[1,1] op_sel_hi:[0,1]
	s_delay_alu instid0(VALU_DEP_1) | instskip(SKIP_2) | instid1(VALU_DEP_2)
	v_pk_fma_f32 v[18:19], v[6:7], v[6:7], v[16:17] op_sel_hi:[0,1,1]
	s_wait_xcnt 0x0
	v_pk_fma_f32 v[6:7], v[6:7], v[6:7], v[16:17] neg_lo:[0,0,1] neg_hi:[0,0,1]
	v_mov_b32_e32 v7, v19
	s_delay_alu instid0(VALU_DEP_1)
	v_pk_add_f32 v[4:5], v[4:5], v[6:7]
.LBB41_7:                               ;   in Loop: Header=BB41_4 Depth=1
	s_or_b32 exec_lo, exec_lo, s25
.LBB41_8:                               ;   in Loop: Header=BB41_4 Depth=1
	s_delay_alu instid0(SALU_CYCLE_1)
	s_or_b32 exec_lo, exec_lo, s24
	s_and_saveexec_b32 s18, s0
; %bb.9:                                ;   in Loop: Header=BB41_4 Depth=1
	ds_store_b64 v8, v[0:1]
; %bb.10:                               ;   in Loop: Header=BB41_4 Depth=1
	s_or_b32 exec_lo, exec_lo, s18
	ds_bpermute_b32 v6, v9, v4
	ds_bpermute_b32 v7, v9, v5
	s_wait_dscnt 0x0
	s_barrier_signal -1
	s_barrier_wait -1
	v_pk_add_f32 v[4:5], v[4:5], v[6:7]
	ds_bpermute_b32 v6, v10, v4
	ds_bpermute_b32 v7, v10, v5
	s_wait_dscnt 0x0
	v_pk_add_f32 v[4:5], v[4:5], v[6:7]
	ds_bpermute_b32 v6, v11, v4
	ds_bpermute_b32 v7, v11, v5
	s_wait_dscnt 0x0
	;; [unrolled: 4-line block ×3, first 2 shown]
	v_pk_add_f32 v[4:5], v[4:5], v[6:7]
	ds_bpermute_b32 v6, v13, v4
	ds_bpermute_b32 v7, v13, v5
	s_and_saveexec_b32 s18, s1
	s_cbranch_execz .LBB41_12
; %bb.11:                               ;   in Loop: Header=BB41_4 Depth=1
	s_wait_dscnt 0x0
	v_pk_add_f32 v[4:5], v[4:5], v[6:7]
	ds_store_b64 v14, v[4:5]
.LBB41_12:                              ;   in Loop: Header=BB41_4 Depth=1
	s_or_b32 exec_lo, exec_lo, s18
	v_mov_b64_e32 v[4:5], 0
	s_wait_dscnt 0x0
	s_barrier_signal -1
	s_barrier_wait -1
	s_and_saveexec_b32 s18, s2
	s_cbranch_execnz .LBB41_15
; %bb.13:                               ;   in Loop: Header=BB41_4 Depth=1
	s_or_b32 exec_lo, exec_lo, s18
	s_and_saveexec_b32 s18, s0
	s_cbranch_execnz .LBB41_16
.LBB41_14:                              ;   in Loop: Header=BB41_4 Depth=1
	s_or_b32 exec_lo, exec_lo, s18
	s_and_saveexec_b32 s24, s3
	s_cbranch_execz .LBB41_3
	s_branch .LBB41_17
.LBB41_15:                              ;   in Loop: Header=BB41_4 Depth=1
	ds_load_b64 v[4:5], v8
	s_or_b32 exec_lo, exec_lo, s18
	s_and_saveexec_b32 s18, s0
	s_cbranch_execz .LBB41_14
.LBB41_16:                              ;   in Loop: Header=BB41_4 Depth=1
	s_wait_dscnt 0x0
	ds_bpermute_b32 v6, v10, v4
	ds_bpermute_b32 v7, v10, v5
	s_wait_dscnt 0x0
	v_pk_add_f32 v[4:5], v[4:5], v[6:7]
	ds_bpermute_b32 v6, v11, v4
	ds_bpermute_b32 v7, v11, v5
	s_wait_dscnt 0x0
	v_pk_add_f32 v[4:5], v[4:5], v[6:7]
	;; [unrolled: 4-line block ×4, first 2 shown]
	s_or_b32 exec_lo, exec_lo, s18
	s_and_saveexec_b32 s24, s3
	s_cbranch_execz .LBB41_3
.LBB41_17:                              ;   in Loop: Header=BB41_4 Depth=1
	s_and_b32 vcc_lo, exec_lo, s22
	s_mov_b32 s25, -1
                                        ; implicit-def: $sgpr18_sgpr19
	s_cbranch_vccz .LBB41_19
; %bb.18:                               ;   in Loop: Header=BB41_4 Depth=1
	s_mul_u64 s[18:19], s[12:13], s[8:9]
	s_mov_b32 s25, 0
	s_lshl_b64 s[18:19], s[18:19], 3
	s_delay_alu instid0(SALU_CYCLE_1)
	s_add_nc_u64 s[18:19], s[4:5], s[18:19]
	s_wait_dscnt 0x0
	global_store_b32 v15, v4, s[18:19]
.LBB41_19:                              ;   in Loop: Header=BB41_4 Depth=1
	s_and_not1_b32 vcc_lo, exec_lo, s25
	s_cbranch_vccnz .LBB41_2
; %bb.20:                               ;   in Loop: Header=BB41_4 Depth=1
	s_wait_xcnt 0x0
	s_lshl_b64 s[18:19], s[8:9], 3
	s_delay_alu instid0(SALU_CYCLE_1)
	s_add_nc_u64 s[18:19], s[6:7], s[18:19]
	s_wait_dscnt 0x0
	global_store_b32 v15, v4, s[18:19]
	s_branch .LBB41_2
.LBB41_21:
	s_endpgm
	.section	.rodata,"a",@progbits
	.p2align	6, 0x0
	.amdhsa_kernel _ZL24rocblas_dot_kernel_magsqIiLb0ELi512ELi2ELb0E19rocblas_complex_numIfEPKS1_S1_EviT5_lT_liPT6_PT4_
		.amdhsa_group_segment_fixed_size 256
		.amdhsa_private_segment_fixed_size 0
		.amdhsa_kernarg_size 320
		.amdhsa_user_sgpr_count 2
		.amdhsa_user_sgpr_dispatch_ptr 0
		.amdhsa_user_sgpr_queue_ptr 0
		.amdhsa_user_sgpr_kernarg_segment_ptr 1
		.amdhsa_user_sgpr_dispatch_id 0
		.amdhsa_user_sgpr_kernarg_preload_length 0
		.amdhsa_user_sgpr_kernarg_preload_offset 0
		.amdhsa_user_sgpr_private_segment_size 0
		.amdhsa_wavefront_size32 1
		.amdhsa_uses_dynamic_stack 0
		.amdhsa_enable_private_segment 0
		.amdhsa_system_sgpr_workgroup_id_x 1
		.amdhsa_system_sgpr_workgroup_id_y 0
		.amdhsa_system_sgpr_workgroup_id_z 1
		.amdhsa_system_sgpr_workgroup_info 0
		.amdhsa_system_vgpr_workitem_id 0
		.amdhsa_next_free_vgpr 20
		.amdhsa_next_free_sgpr 26
		.amdhsa_named_barrier_count 0
		.amdhsa_reserve_vcc 1
		.amdhsa_float_round_mode_32 0
		.amdhsa_float_round_mode_16_64 0
		.amdhsa_float_denorm_mode_32 3
		.amdhsa_float_denorm_mode_16_64 3
		.amdhsa_fp16_overflow 0
		.amdhsa_memory_ordered 1
		.amdhsa_forward_progress 1
		.amdhsa_inst_pref_size 9
		.amdhsa_round_robin_scheduling 0
		.amdhsa_exception_fp_ieee_invalid_op 0
		.amdhsa_exception_fp_denorm_src 0
		.amdhsa_exception_fp_ieee_div_zero 0
		.amdhsa_exception_fp_ieee_overflow 0
		.amdhsa_exception_fp_ieee_underflow 0
		.amdhsa_exception_fp_ieee_inexact 0
		.amdhsa_exception_int_div_zero 0
	.end_amdhsa_kernel
	.section	.text._ZL24rocblas_dot_kernel_magsqIiLb0ELi512ELi2ELb0E19rocblas_complex_numIfEPKS1_S1_EviT5_lT_liPT6_PT4_,"axG",@progbits,_ZL24rocblas_dot_kernel_magsqIiLb0ELi512ELi2ELb0E19rocblas_complex_numIfEPKS1_S1_EviT5_lT_liPT6_PT4_,comdat
.Lfunc_end41:
	.size	_ZL24rocblas_dot_kernel_magsqIiLb0ELi512ELi2ELb0E19rocblas_complex_numIfEPKS1_S1_EviT5_lT_liPT6_PT4_, .Lfunc_end41-_ZL24rocblas_dot_kernel_magsqIiLb0ELi512ELi2ELb0E19rocblas_complex_numIfEPKS1_S1_EviT5_lT_liPT6_PT4_
                                        ; -- End function
	.set _ZL24rocblas_dot_kernel_magsqIiLb0ELi512ELi2ELb0E19rocblas_complex_numIfEPKS1_S1_EviT5_lT_liPT6_PT4_.num_vgpr, 20
	.set _ZL24rocblas_dot_kernel_magsqIiLb0ELi512ELi2ELb0E19rocblas_complex_numIfEPKS1_S1_EviT5_lT_liPT6_PT4_.num_agpr, 0
	.set _ZL24rocblas_dot_kernel_magsqIiLb0ELi512ELi2ELb0E19rocblas_complex_numIfEPKS1_S1_EviT5_lT_liPT6_PT4_.numbered_sgpr, 26
	.set _ZL24rocblas_dot_kernel_magsqIiLb0ELi512ELi2ELb0E19rocblas_complex_numIfEPKS1_S1_EviT5_lT_liPT6_PT4_.num_named_barrier, 0
	.set _ZL24rocblas_dot_kernel_magsqIiLb0ELi512ELi2ELb0E19rocblas_complex_numIfEPKS1_S1_EviT5_lT_liPT6_PT4_.private_seg_size, 0
	.set _ZL24rocblas_dot_kernel_magsqIiLb0ELi512ELi2ELb0E19rocblas_complex_numIfEPKS1_S1_EviT5_lT_liPT6_PT4_.uses_vcc, 1
	.set _ZL24rocblas_dot_kernel_magsqIiLb0ELi512ELi2ELb0E19rocblas_complex_numIfEPKS1_S1_EviT5_lT_liPT6_PT4_.uses_flat_scratch, 0
	.set _ZL24rocblas_dot_kernel_magsqIiLb0ELi512ELi2ELb0E19rocblas_complex_numIfEPKS1_S1_EviT5_lT_liPT6_PT4_.has_dyn_sized_stack, 0
	.set _ZL24rocblas_dot_kernel_magsqIiLb0ELi512ELi2ELb0E19rocblas_complex_numIfEPKS1_S1_EviT5_lT_liPT6_PT4_.has_recursion, 0
	.set _ZL24rocblas_dot_kernel_magsqIiLb0ELi512ELi2ELb0E19rocblas_complex_numIfEPKS1_S1_EviT5_lT_liPT6_PT4_.has_indirect_call, 0
	.section	.AMDGPU.csdata,"",@progbits
; Kernel info:
; codeLenInByte = 1132
; TotalNumSgprs: 28
; NumVgprs: 20
; ScratchSize: 0
; MemoryBound: 0
; FloatMode: 240
; IeeeMode: 1
; LDSByteSize: 256 bytes/workgroup (compile time only)
; SGPRBlocks: 0
; VGPRBlocks: 1
; NumSGPRsForWavesPerEU: 28
; NumVGPRsForWavesPerEU: 20
; NamedBarCnt: 0
; Occupancy: 16
; WaveLimiterHint : 0
; COMPUTE_PGM_RSRC2:SCRATCH_EN: 0
; COMPUTE_PGM_RSRC2:USER_SGPR: 2
; COMPUTE_PGM_RSRC2:TRAP_HANDLER: 0
; COMPUTE_PGM_RSRC2:TGID_X_EN: 1
; COMPUTE_PGM_RSRC2:TGID_Y_EN: 0
; COMPUTE_PGM_RSRC2:TGID_Z_EN: 1
; COMPUTE_PGM_RSRC2:TIDIG_COMP_CNT: 0
	.section	.text._ZL30rocblas_reduction_kernel_part2ILi512ELi2E25rocblas_finalize_identity19rocblas_complex_numIfES2_EviPT2_PT3_,"axG",@progbits,_ZL30rocblas_reduction_kernel_part2ILi512ELi2E25rocblas_finalize_identity19rocblas_complex_numIfES2_EviPT2_PT3_,comdat
	.globl	_ZL30rocblas_reduction_kernel_part2ILi512ELi2E25rocblas_finalize_identity19rocblas_complex_numIfES2_EviPT2_PT3_ ; -- Begin function _ZL30rocblas_reduction_kernel_part2ILi512ELi2E25rocblas_finalize_identity19rocblas_complex_numIfES2_EviPT2_PT3_
	.p2align	8
	.type	_ZL30rocblas_reduction_kernel_part2ILi512ELi2E25rocblas_finalize_identity19rocblas_complex_numIfES2_EviPT2_PT3_,@function
_ZL30rocblas_reduction_kernel_part2ILi512ELi2E25rocblas_finalize_identity19rocblas_complex_numIfES2_EviPT2_PT3_: ; @_ZL30rocblas_reduction_kernel_part2ILi512ELi2E25rocblas_finalize_identity19rocblas_complex_numIfES2_EviPT2_PT3_
; %bb.0:
	s_clause 0x1
	s_load_b32 s6, s[0:1], 0x0
	s_load_b64 s[8:9], s[0:1], 0x8
	s_bfe_u32 s2, ttmp6, 0x4000c
	s_and_b32 s3, ttmp6, 15
	s_add_co_i32 s2, s2, 1
	s_getreg_b32 s4, hwreg(HW_REG_IB_STS2, 6, 4)
	s_mul_i32 s2, ttmp9, s2
	v_mov_b64_e32 v[2:3], 0
	s_add_co_i32 s3, s3, s2
	v_lshlrev_b32_e32 v1, 1, v0
	s_wait_kmcnt 0x0
	s_ashr_i32 s7, s6, 31
	s_cmp_eq_u32 s4, 0
	s_mov_b32 s4, exec_lo
	s_cselect_b32 s2, ttmp9, s3
	s_lshr_b32 s3, s6, 31
	s_delay_alu instid0(SALU_CYCLE_1) | instskip(NEXT) | instid1(SALU_CYCLE_1)
	s_add_co_i32 s3, s6, s3
	s_and_b32 s12, s3, -2
	s_mov_b32 s3, 0
	s_delay_alu instid0(SALU_CYCLE_1)
	s_mul_u64 s[10:11], s[6:7], s[2:3]
	v_cmpx_gt_i32_e64 s12, v1
	s_cbranch_execz .LBB42_4
; %bb.1:
	v_dual_mov_b32 v3, 0 :: v_dual_lshlrev_b32 v2, 4, v0
	s_lshl_b64 s[14:15], s[10:11], 3
	s_mov_b32 s5, s3
	s_add_nc_u64 s[14:15], s[8:9], s[14:15]
	s_delay_alu instid0(VALU_DEP_1) | instid1(SALU_CYCLE_1)
	v_add_nc_u64_e32 v[4:5], s[14:15], v[2:3]
	v_mov_b32_e32 v2, v3
	s_delay_alu instid0(VALU_DEP_2)
	v_add_nc_u64_e32 v[4:5], 8, v[4:5]
.LBB42_2:                               ; =>This Inner Loop Header: Depth=1
	global_load_b128 v[6:9], v[4:5], off offset:-8
	v_add_nc_u32_e32 v1, 0x400, v1
	s_wait_xcnt 0x0
	v_add_nc_u64_e32 v[4:5], 0x2000, v[4:5]
	s_delay_alu instid0(VALU_DEP_2) | instskip(SKIP_3) | instid1(VALU_DEP_1)
	v_cmp_le_i32_e32 vcc_lo, s12, v1
	s_or_b32 s5, vcc_lo, s5
	s_wait_loadcnt 0x0
	v_pk_add_f32 v[2:3], v[2:3], v[6:7]
	v_pk_add_f32 v[2:3], v[2:3], v[8:9]
	s_and_not1_b32 exec_lo, exec_lo, s5
	s_cbranch_execnz .LBB42_2
; %bb.3:
	s_or_b32 exec_lo, exec_lo, s5
.LBB42_4:
	s_delay_alu instid0(SALU_CYCLE_1) | instskip(SKIP_3) | instid1(SALU_CYCLE_1)
	s_or_b32 exec_lo, exec_lo, s4
	s_load_b64 s[4:5], s[0:1], 0x10
	s_wait_xcnt 0x0
	s_sub_co_i32 s0, s6, s12
	v_cmp_gt_u32_e32 vcc_lo, s0, v0
	s_and_saveexec_b32 s0, vcc_lo
	s_cbranch_execz .LBB42_6
; %bb.5:
	v_xad_u32 v1, v0, -1, s6
	s_lshl_b64 s[6:7], s[10:11], 3
	s_delay_alu instid0(SALU_CYCLE_1)
	s_add_nc_u64 s[6:7], s[8:9], s[6:7]
	global_load_b64 v[4:5], v1, s[6:7] scale_offset
	s_wait_loadcnt 0x0
	v_pk_add_f32 v[2:3], v[2:3], v[4:5]
.LBB42_6:
	s_or_b32 exec_lo, exec_lo, s0
	v_and_b32_e32 v10, 31, v0
	v_cmp_gt_u32_e32 vcc_lo, 32, v0
	s_delay_alu instid0(VALU_DEP_2)
	v_lshlrev_b32_e32 v1, 3, v10
	s_and_saveexec_b32 s0, vcc_lo
; %bb.7:
	v_mov_b64_e32 v[4:5], 0
	ds_store_b64 v1, v[4:5]
; %bb.8:
	s_or_b32 exec_lo, exec_lo, s0
	v_mbcnt_lo_u32_b32 v9, -1, 0
	s_mov_b32 s1, exec_lo
	s_wait_dscnt 0x0
	s_barrier_signal -1
	s_barrier_wait -1
	v_lshl_or_b32 v5, v9, 2, 64
	v_cmp_gt_u32_e64 s0, 24, v9
	ds_bpermute_b32 v4, v5, v2
	ds_bpermute_b32 v5, v5, v3
	v_cndmask_b32_e64 v6, 0, 8, s0
	v_cmp_gt_u32_e64 s0, 28, v9
	s_delay_alu instid0(VALU_DEP_2) | instskip(NEXT) | instid1(VALU_DEP_2)
	v_add_lshl_u32 v6, v6, v9, 2
	v_cndmask_b32_e64 v7, 0, 4, s0
	v_cmp_gt_u32_e64 s0, 30, v9
	s_delay_alu instid0(VALU_DEP_2) | instskip(NEXT) | instid1(VALU_DEP_2)
	v_add_lshl_u32 v7, v7, v9, 2
	v_cndmask_b32_e64 v8, 0, 2, s0
	v_cmp_ne_u32_e64 s0, 31, v9
	s_delay_alu instid0(VALU_DEP_2) | instskip(NEXT) | instid1(VALU_DEP_2)
	v_add_lshl_u32 v8, v8, v9, 2
	v_add_co_ci_u32_e64 v9, null, 0, v9, s0
	s_wait_dscnt 0x0
	v_pk_add_f32 v[2:3], v[2:3], v[4:5]
	s_delay_alu instid0(VALU_DEP_2)
	v_lshlrev_b32_e32 v9, 2, v9
	ds_bpermute_b32 v4, v6, v2
	ds_bpermute_b32 v5, v6, v3
	s_wait_dscnt 0x0
	v_pk_add_f32 v[2:3], v[2:3], v[4:5]
	ds_bpermute_b32 v4, v7, v2
	ds_bpermute_b32 v5, v7, v3
	s_wait_dscnt 0x0
	v_pk_add_f32 v[2:3], v[2:3], v[4:5]
	;; [unrolled: 4-line block ×3, first 2 shown]
	ds_bpermute_b32 v4, v9, v2
	ds_bpermute_b32 v5, v9, v3
	v_cmpx_eq_u32_e32 0, v10
	s_cbranch_execz .LBB42_10
; %bb.9:
	v_lshrrev_b32_e32 v10, 2, v0
	s_wait_dscnt 0x0
	v_pk_add_f32 v[2:3], v[2:3], v[4:5]
	s_delay_alu instid0(VALU_DEP_2)
	v_and_b32_e32 v10, 0x78, v10
	ds_store_b64 v10, v[2:3]
.LBB42_10:
	s_or_b32 exec_lo, exec_lo, s1
	v_mov_b64_e32 v[2:3], 0
	s_mov_b32 s1, exec_lo
	s_wait_dscnt 0x0
	s_barrier_signal -1
	s_barrier_wait -1
	v_cmpx_gt_u32_e32 16, v0
; %bb.11:
	ds_load_b64 v[2:3], v1
; %bb.12:
	s_or_b32 exec_lo, exec_lo, s1
	s_and_saveexec_b32 s0, vcc_lo
	s_cbranch_execz .LBB42_14
; %bb.13:
	s_wait_dscnt 0x0
	ds_bpermute_b32 v4, v6, v2
	ds_bpermute_b32 v5, v6, v3
	s_wait_dscnt 0x0
	v_pk_add_f32 v[2:3], v[2:3], v[4:5]
	ds_bpermute_b32 v4, v7, v2
	ds_bpermute_b32 v5, v7, v3
	s_wait_dscnt 0x0
	v_pk_add_f32 v[2:3], v[2:3], v[4:5]
	;; [unrolled: 4-line block ×4, first 2 shown]
.LBB42_14:
	s_or_b32 exec_lo, exec_lo, s0
	s_delay_alu instid0(SALU_CYCLE_1)
	s_mov_b32 s0, exec_lo
	v_cmpx_eq_u32_e32 0, v0
	s_cbranch_execz .LBB42_16
; %bb.15:
	v_mov_b32_e32 v0, 0
	s_lshl_b64 s[0:1], s[2:3], 3
	s_wait_kmcnt 0x0
	s_add_nc_u64 s[0:1], s[4:5], s[0:1]
	s_wait_dscnt 0x0
	global_store_b64 v0, v[2:3], s[0:1]
.LBB42_16:
	s_endpgm
	.section	.rodata,"a",@progbits
	.p2align	6, 0x0
	.amdhsa_kernel _ZL30rocblas_reduction_kernel_part2ILi512ELi2E25rocblas_finalize_identity19rocblas_complex_numIfES2_EviPT2_PT3_
		.amdhsa_group_segment_fixed_size 256
		.amdhsa_private_segment_fixed_size 0
		.amdhsa_kernarg_size 24
		.amdhsa_user_sgpr_count 2
		.amdhsa_user_sgpr_dispatch_ptr 0
		.amdhsa_user_sgpr_queue_ptr 0
		.amdhsa_user_sgpr_kernarg_segment_ptr 1
		.amdhsa_user_sgpr_dispatch_id 0
		.amdhsa_user_sgpr_kernarg_preload_length 0
		.amdhsa_user_sgpr_kernarg_preload_offset 0
		.amdhsa_user_sgpr_private_segment_size 0
		.amdhsa_wavefront_size32 1
		.amdhsa_uses_dynamic_stack 0
		.amdhsa_enable_private_segment 0
		.amdhsa_system_sgpr_workgroup_id_x 1
		.amdhsa_system_sgpr_workgroup_id_y 0
		.amdhsa_system_sgpr_workgroup_id_z 0
		.amdhsa_system_sgpr_workgroup_info 0
		.amdhsa_system_vgpr_workitem_id 0
		.amdhsa_next_free_vgpr 11
		.amdhsa_next_free_sgpr 16
		.amdhsa_named_barrier_count 0
		.amdhsa_reserve_vcc 1
		.amdhsa_float_round_mode_32 0
		.amdhsa_float_round_mode_16_64 0
		.amdhsa_float_denorm_mode_32 3
		.amdhsa_float_denorm_mode_16_64 3
		.amdhsa_fp16_overflow 0
		.amdhsa_memory_ordered 1
		.amdhsa_forward_progress 1
		.amdhsa_inst_pref_size 7
		.amdhsa_round_robin_scheduling 0
		.amdhsa_exception_fp_ieee_invalid_op 0
		.amdhsa_exception_fp_denorm_src 0
		.amdhsa_exception_fp_ieee_div_zero 0
		.amdhsa_exception_fp_ieee_overflow 0
		.amdhsa_exception_fp_ieee_underflow 0
		.amdhsa_exception_fp_ieee_inexact 0
		.amdhsa_exception_int_div_zero 0
	.end_amdhsa_kernel
	.section	.text._ZL30rocblas_reduction_kernel_part2ILi512ELi2E25rocblas_finalize_identity19rocblas_complex_numIfES2_EviPT2_PT3_,"axG",@progbits,_ZL30rocblas_reduction_kernel_part2ILi512ELi2E25rocblas_finalize_identity19rocblas_complex_numIfES2_EviPT2_PT3_,comdat
.Lfunc_end42:
	.size	_ZL30rocblas_reduction_kernel_part2ILi512ELi2E25rocblas_finalize_identity19rocblas_complex_numIfES2_EviPT2_PT3_, .Lfunc_end42-_ZL30rocblas_reduction_kernel_part2ILi512ELi2E25rocblas_finalize_identity19rocblas_complex_numIfES2_EviPT2_PT3_
                                        ; -- End function
	.set _ZL30rocblas_reduction_kernel_part2ILi512ELi2E25rocblas_finalize_identity19rocblas_complex_numIfES2_EviPT2_PT3_.num_vgpr, 11
	.set _ZL30rocblas_reduction_kernel_part2ILi512ELi2E25rocblas_finalize_identity19rocblas_complex_numIfES2_EviPT2_PT3_.num_agpr, 0
	.set _ZL30rocblas_reduction_kernel_part2ILi512ELi2E25rocblas_finalize_identity19rocblas_complex_numIfES2_EviPT2_PT3_.numbered_sgpr, 16
	.set _ZL30rocblas_reduction_kernel_part2ILi512ELi2E25rocblas_finalize_identity19rocblas_complex_numIfES2_EviPT2_PT3_.num_named_barrier, 0
	.set _ZL30rocblas_reduction_kernel_part2ILi512ELi2E25rocblas_finalize_identity19rocblas_complex_numIfES2_EviPT2_PT3_.private_seg_size, 0
	.set _ZL30rocblas_reduction_kernel_part2ILi512ELi2E25rocblas_finalize_identity19rocblas_complex_numIfES2_EviPT2_PT3_.uses_vcc, 1
	.set _ZL30rocblas_reduction_kernel_part2ILi512ELi2E25rocblas_finalize_identity19rocblas_complex_numIfES2_EviPT2_PT3_.uses_flat_scratch, 0
	.set _ZL30rocblas_reduction_kernel_part2ILi512ELi2E25rocblas_finalize_identity19rocblas_complex_numIfES2_EviPT2_PT3_.has_dyn_sized_stack, 0
	.set _ZL30rocblas_reduction_kernel_part2ILi512ELi2E25rocblas_finalize_identity19rocblas_complex_numIfES2_EviPT2_PT3_.has_recursion, 0
	.set _ZL30rocblas_reduction_kernel_part2ILi512ELi2E25rocblas_finalize_identity19rocblas_complex_numIfES2_EviPT2_PT3_.has_indirect_call, 0
	.section	.AMDGPU.csdata,"",@progbits
; Kernel info:
; codeLenInByte = 884
; TotalNumSgprs: 18
; NumVgprs: 11
; ScratchSize: 0
; MemoryBound: 0
; FloatMode: 240
; IeeeMode: 1
; LDSByteSize: 256 bytes/workgroup (compile time only)
; SGPRBlocks: 0
; VGPRBlocks: 0
; NumSGPRsForWavesPerEU: 18
; NumVGPRsForWavesPerEU: 11
; NamedBarCnt: 0
; Occupancy: 16
; WaveLimiterHint : 0
; COMPUTE_PGM_RSRC2:SCRATCH_EN: 0
; COMPUTE_PGM_RSRC2:USER_SGPR: 2
; COMPUTE_PGM_RSRC2:TRAP_HANDLER: 0
; COMPUTE_PGM_RSRC2:TGID_X_EN: 1
; COMPUTE_PGM_RSRC2:TGID_Y_EN: 0
; COMPUTE_PGM_RSRC2:TGID_Z_EN: 0
; COMPUTE_PGM_RSRC2:TIDIG_COMP_CNT: 0
	.section	.text._ZL28rocblas_dot_batched_4_kernelIiLi32ELi4ELb0E19rocblas_complex_numIdES1_PKS1_EviT5_lT_lS4_lS5_liPT4_,"axG",@progbits,_ZL28rocblas_dot_batched_4_kernelIiLi32ELi4ELb0E19rocblas_complex_numIdES1_PKS1_EviT5_lT_lS4_lS5_liPT4_,comdat
	.globl	_ZL28rocblas_dot_batched_4_kernelIiLi32ELi4ELb0E19rocblas_complex_numIdES1_PKS1_EviT5_lT_lS4_lS5_liPT4_ ; -- Begin function _ZL28rocblas_dot_batched_4_kernelIiLi32ELi4ELb0E19rocblas_complex_numIdES1_PKS1_EviT5_lT_lS4_lS5_liPT4_
	.p2align	8
	.type	_ZL28rocblas_dot_batched_4_kernelIiLi32ELi4ELb0E19rocblas_complex_numIdES1_PKS1_EviT5_lT_lS4_lS5_liPT4_,@function
_ZL28rocblas_dot_batched_4_kernelIiLi32ELi4ELb0E19rocblas_complex_numIdES1_PKS1_EviT5_lT_lS4_lS5_liPT4_: ; @_ZL28rocblas_dot_batched_4_kernelIiLi32ELi4ELb0E19rocblas_complex_numIdES1_PKS1_EviT5_lT_lS4_lS5_liPT4_
; %bb.0:
	s_load_b32 s2, s[0:1], 0x48
	s_bfe_u32 s3, ttmp6, 0x4000c
	s_and_b32 s4, ttmp6, 15
	s_add_co_i32 s3, s3, 1
	v_bfe_u32 v1, v0, 10, 10
	s_mul_i32 s3, ttmp9, s3
	s_delay_alu instid0(SALU_CYCLE_1) | instskip(SKIP_1) | instid1(SALU_CYCLE_1)
	s_add_co_i32 s4, s4, s3
	s_getreg_b32 s3, hwreg(HW_REG_IB_STS2, 6, 4)
	s_cmp_eq_u32 s3, 0
	s_cselect_b32 s3, ttmp9, s4
	s_delay_alu instid0(SALU_CYCLE_1) | instskip(SKIP_1) | instid1(VALU_DEP_1)
	v_lshl_add_u32 v2, s3, 2, v1
	s_wait_kmcnt 0x0
	v_cmp_gt_u32_e32 vcc_lo, s2, v2
	s_and_saveexec_b32 s2, vcc_lo
	s_cbranch_execz .LBB43_7
; %bb.1:
	s_load_b32 s6, s[0:1], 0x0
	v_mov_b64_e32 v[4:5], 0
	v_mov_b64_e32 v[6:7], 0
	v_and_b32_e32 v0, 0x3ff, v0
	v_mov_b32_e32 v3, 0
	s_mov_b32 s7, exec_lo
	s_wait_kmcnt 0x0
	s_delay_alu instid0(VALU_DEP_2)
	v_cmpx_gt_i32_e64 s6, v0
	s_cbranch_execz .LBB43_5
; %bb.2:
	s_clause 0x3
	s_load_b64 s[2:3], s[0:1], 0x40
	s_load_b128 s[8:11], s[0:1], 0x20
	s_load_b96 s[16:18], s[0:1], 0x30
	s_load_b32 s4, s[0:1], 0x18
	v_mov_b32_e32 v1, v3
	s_load_b128 s[12:15], s[0:1], 0x8
	s_wait_kmcnt 0x0
	v_mul_u64_e32 v[4:5], s[2:3], v[2:3]
	v_mul_u64_e32 v[6:7], s[8:9], v[2:3]
	s_ashr_i32 s3, s18, 31
	s_mov_b32 s2, s18
	s_ashr_i32 s5, s4, 31
	v_mul_u64_e32 v[8:9], s[2:3], v[0:1]
	v_mul_u64_e32 v[10:11], s[4:5], v[0:1]
	s_lshl_b64 s[8:9], s[16:17], 4
	s_lshl_b64 s[14:15], s[14:15], 4
	s_add_nc_u64 s[8:9], s[10:11], s[8:9]
	s_add_nc_u64 s[10:11], s[12:13], s[14:15]
	v_mov_b32_e32 v1, v0
	s_lshl_b64 s[2:3], s[2:3], 9
	s_lshl_b64 s[4:5], s[4:5], 9
	v_lshlrev_b64_e32 v[4:5], 4, v[4:5]
	v_lshlrev_b64_e32 v[6:7], 4, v[6:7]
	s_delay_alu instid0(VALU_DEP_2) | instskip(NEXT) | instid1(VALU_DEP_2)
	v_lshl_add_u64 v[4:5], v[8:9], 4, v[4:5]
	v_lshl_add_u64 v[6:7], v[10:11], 4, v[6:7]
	s_delay_alu instid0(VALU_DEP_2) | instskip(NEXT) | instid1(VALU_DEP_2)
	v_add_nc_u64_e32 v[8:9], s[8:9], v[4:5]
	v_add_nc_u64_e32 v[6:7], s[10:11], v[6:7]
	v_mov_b64_e32 v[4:5], 0
	s_mov_b32 s8, 0
	s_delay_alu instid0(VALU_DEP_3) | instskip(NEXT) | instid1(VALU_DEP_3)
	v_add_nc_u64_e32 v[8:9], 8, v[8:9]
	v_add_nc_u64_e32 v[10:11], 8, v[6:7]
	v_mov_b64_e32 v[6:7], 0
.LBB43_3:                               ; =>This Inner Loop Header: Depth=1
	global_load_b128 v[12:15], v[10:11], off offset:-8
	global_load_b128 v[16:19], v[8:9], off offset:-8
	s_wait_xcnt 0x0
	v_add_nc_u64_e32 v[8:9], s[2:3], v[8:9]
	v_add_nc_u64_e32 v[10:11], s[4:5], v[10:11]
	v_add_nc_u32_e32 v1, 32, v1
	s_delay_alu instid0(VALU_DEP_1) | instskip(SKIP_4) | instid1(VALU_DEP_2)
	v_cmp_le_i32_e32 vcc_lo, s6, v1
	s_or_b32 s8, vcc_lo, s8
	s_wait_loadcnt 0x0
	v_mul_f64_e32 v[20:21], v[14:15], v[18:19]
	v_mul_f64_e32 v[18:19], v[12:13], v[18:19]
	v_fma_f64 v[12:13], v[12:13], v[16:17], -v[20:21]
	s_delay_alu instid0(VALU_DEP_2) | instskip(NEXT) | instid1(VALU_DEP_2)
	v_fmac_f64_e32 v[18:19], v[14:15], v[16:17]
	v_add_f64_e32 v[4:5], v[4:5], v[12:13]
	s_delay_alu instid0(VALU_DEP_2)
	v_add_f64_e32 v[6:7], v[6:7], v[18:19]
	s_and_not1_b32 exec_lo, exec_lo, s8
	s_cbranch_execnz .LBB43_3
; %bb.4:
	s_or_b32 exec_lo, exec_lo, s8
.LBB43_5:
	s_delay_alu instid0(SALU_CYCLE_1) | instskip(SKIP_4) | instid1(VALU_DEP_1)
	s_or_b32 exec_lo, exec_lo, s7
	v_mbcnt_lo_u32_b32 v1, -1, 0
	s_load_b64 s[0:1], s[0:1], 0x50
	s_barrier_signal -1
	s_barrier_wait -1
	v_lshl_or_b32 v11, v1, 2, 64
	v_cmp_gt_u32_e32 vcc_lo, 24, v1
	ds_bpermute_b32 v8, v11, v4
	ds_bpermute_b32 v9, v11, v5
	;; [unrolled: 1-line block ×4, first 2 shown]
	s_wait_dscnt 0x2
	v_add_f64_e32 v[4:5], v[4:5], v[8:9]
	v_cndmask_b32_e64 v8, 0, 8, vcc_lo
	s_wait_dscnt 0x0
	v_add_f64_e32 v[6:7], v[6:7], v[10:11]
	v_cmp_gt_u32_e32 vcc_lo, 28, v1
	s_delay_alu instid0(VALU_DEP_3)
	v_add_lshl_u32 v11, v8, v1, 2
	ds_bpermute_b32 v8, v11, v4
	ds_bpermute_b32 v9, v11, v5
	;; [unrolled: 1-line block ×4, first 2 shown]
	s_wait_dscnt 0x2
	v_add_f64_e32 v[4:5], v[4:5], v[8:9]
	v_cndmask_b32_e64 v8, 0, 4, vcc_lo
	s_wait_dscnt 0x0
	v_add_f64_e32 v[6:7], v[6:7], v[10:11]
	v_cmp_gt_u32_e32 vcc_lo, 30, v1
	s_delay_alu instid0(VALU_DEP_3)
	v_add_lshl_u32 v11, v8, v1, 2
	ds_bpermute_b32 v8, v11, v4
	ds_bpermute_b32 v9, v11, v5
	;; [unrolled: 1-line block ×4, first 2 shown]
	s_wait_dscnt 0x2
	v_add_f64_e32 v[4:5], v[4:5], v[8:9]
	v_cndmask_b32_e64 v8, 0, 2, vcc_lo
	s_wait_dscnt 0x0
	v_add_f64_e32 v[6:7], v[6:7], v[10:11]
	v_cmp_ne_u32_e32 vcc_lo, 31, v1
	s_delay_alu instid0(VALU_DEP_3) | instskip(SKIP_2) | instid1(VALU_DEP_2)
	v_add_lshl_u32 v11, v8, v1, 2
	v_add_co_ci_u32_e64 v1, null, 0, v1, vcc_lo
	v_cmp_eq_u32_e32 vcc_lo, 0, v0
	v_lshlrev_b32_e32 v1, 2, v1
	ds_bpermute_b32 v8, v11, v4
	ds_bpermute_b32 v9, v11, v5
	;; [unrolled: 1-line block ×4, first 2 shown]
	s_wait_dscnt 0x2
	v_add_f64_e32 v[4:5], v[4:5], v[8:9]
	s_wait_dscnt 0x0
	v_add_f64_e32 v[6:7], v[6:7], v[10:11]
	ds_bpermute_b32 v8, v1, v4
	ds_bpermute_b32 v9, v1, v5
	;; [unrolled: 1-line block ×4, first 2 shown]
	s_and_b32 exec_lo, exec_lo, vcc_lo
	s_cbranch_execz .LBB43_7
; %bb.6:
	s_wait_dscnt 0x0
	v_add_f64_e32 v[6:7], v[6:7], v[10:11]
	v_add_f64_e32 v[4:5], v[4:5], v[8:9]
	s_wait_kmcnt 0x0
	v_lshl_add_u64 v[0:1], v[2:3], 4, s[0:1]
	global_store_b128 v[0:1], v[4:7], off
.LBB43_7:
	s_endpgm
	.section	.rodata,"a",@progbits
	.p2align	6, 0x0
	.amdhsa_kernel _ZL28rocblas_dot_batched_4_kernelIiLi32ELi4ELb0E19rocblas_complex_numIdES1_PKS1_EviT5_lT_lS4_lS5_liPT4_
		.amdhsa_group_segment_fixed_size 0
		.amdhsa_private_segment_fixed_size 0
		.amdhsa_kernarg_size 88
		.amdhsa_user_sgpr_count 2
		.amdhsa_user_sgpr_dispatch_ptr 0
		.amdhsa_user_sgpr_queue_ptr 0
		.amdhsa_user_sgpr_kernarg_segment_ptr 1
		.amdhsa_user_sgpr_dispatch_id 0
		.amdhsa_user_sgpr_kernarg_preload_length 0
		.amdhsa_user_sgpr_kernarg_preload_offset 0
		.amdhsa_user_sgpr_private_segment_size 0
		.amdhsa_wavefront_size32 1
		.amdhsa_uses_dynamic_stack 0
		.amdhsa_enable_private_segment 0
		.amdhsa_system_sgpr_workgroup_id_x 1
		.amdhsa_system_sgpr_workgroup_id_y 0
		.amdhsa_system_sgpr_workgroup_id_z 0
		.amdhsa_system_sgpr_workgroup_info 0
		.amdhsa_system_vgpr_workitem_id 1
		.amdhsa_next_free_vgpr 22
		.amdhsa_next_free_sgpr 19
		.amdhsa_named_barrier_count 0
		.amdhsa_reserve_vcc 1
		.amdhsa_float_round_mode_32 0
		.amdhsa_float_round_mode_16_64 0
		.amdhsa_float_denorm_mode_32 3
		.amdhsa_float_denorm_mode_16_64 3
		.amdhsa_fp16_overflow 0
		.amdhsa_memory_ordered 1
		.amdhsa_forward_progress 1
		.amdhsa_inst_pref_size 7
		.amdhsa_round_robin_scheduling 0
		.amdhsa_exception_fp_ieee_invalid_op 0
		.amdhsa_exception_fp_denorm_src 0
		.amdhsa_exception_fp_ieee_div_zero 0
		.amdhsa_exception_fp_ieee_overflow 0
		.amdhsa_exception_fp_ieee_underflow 0
		.amdhsa_exception_fp_ieee_inexact 0
		.amdhsa_exception_int_div_zero 0
	.end_amdhsa_kernel
	.section	.text._ZL28rocblas_dot_batched_4_kernelIiLi32ELi4ELb0E19rocblas_complex_numIdES1_PKS1_EviT5_lT_lS4_lS5_liPT4_,"axG",@progbits,_ZL28rocblas_dot_batched_4_kernelIiLi32ELi4ELb0E19rocblas_complex_numIdES1_PKS1_EviT5_lT_lS4_lS5_liPT4_,comdat
.Lfunc_end43:
	.size	_ZL28rocblas_dot_batched_4_kernelIiLi32ELi4ELb0E19rocblas_complex_numIdES1_PKS1_EviT5_lT_lS4_lS5_liPT4_, .Lfunc_end43-_ZL28rocblas_dot_batched_4_kernelIiLi32ELi4ELb0E19rocblas_complex_numIdES1_PKS1_EviT5_lT_lS4_lS5_liPT4_
                                        ; -- End function
	.set _ZL28rocblas_dot_batched_4_kernelIiLi32ELi4ELb0E19rocblas_complex_numIdES1_PKS1_EviT5_lT_lS4_lS5_liPT4_.num_vgpr, 22
	.set _ZL28rocblas_dot_batched_4_kernelIiLi32ELi4ELb0E19rocblas_complex_numIdES1_PKS1_EviT5_lT_lS4_lS5_liPT4_.num_agpr, 0
	.set _ZL28rocblas_dot_batched_4_kernelIiLi32ELi4ELb0E19rocblas_complex_numIdES1_PKS1_EviT5_lT_lS4_lS5_liPT4_.numbered_sgpr, 19
	.set _ZL28rocblas_dot_batched_4_kernelIiLi32ELi4ELb0E19rocblas_complex_numIdES1_PKS1_EviT5_lT_lS4_lS5_liPT4_.num_named_barrier, 0
	.set _ZL28rocblas_dot_batched_4_kernelIiLi32ELi4ELb0E19rocblas_complex_numIdES1_PKS1_EviT5_lT_lS4_lS5_liPT4_.private_seg_size, 0
	.set _ZL28rocblas_dot_batched_4_kernelIiLi32ELi4ELb0E19rocblas_complex_numIdES1_PKS1_EviT5_lT_lS4_lS5_liPT4_.uses_vcc, 1
	.set _ZL28rocblas_dot_batched_4_kernelIiLi32ELi4ELb0E19rocblas_complex_numIdES1_PKS1_EviT5_lT_lS4_lS5_liPT4_.uses_flat_scratch, 0
	.set _ZL28rocblas_dot_batched_4_kernelIiLi32ELi4ELb0E19rocblas_complex_numIdES1_PKS1_EviT5_lT_lS4_lS5_liPT4_.has_dyn_sized_stack, 0
	.set _ZL28rocblas_dot_batched_4_kernelIiLi32ELi4ELb0E19rocblas_complex_numIdES1_PKS1_EviT5_lT_lS4_lS5_liPT4_.has_recursion, 0
	.set _ZL28rocblas_dot_batched_4_kernelIiLi32ELi4ELb0E19rocblas_complex_numIdES1_PKS1_EviT5_lT_lS4_lS5_liPT4_.has_indirect_call, 0
	.section	.AMDGPU.csdata,"",@progbits
; Kernel info:
; codeLenInByte = 816
; TotalNumSgprs: 21
; NumVgprs: 22
; ScratchSize: 0
; MemoryBound: 0
; FloatMode: 240
; IeeeMode: 1
; LDSByteSize: 0 bytes/workgroup (compile time only)
; SGPRBlocks: 0
; VGPRBlocks: 1
; NumSGPRsForWavesPerEU: 21
; NumVGPRsForWavesPerEU: 22
; NamedBarCnt: 0
; Occupancy: 16
; WaveLimiterHint : 0
; COMPUTE_PGM_RSRC2:SCRATCH_EN: 0
; COMPUTE_PGM_RSRC2:USER_SGPR: 2
; COMPUTE_PGM_RSRC2:TRAP_HANDLER: 0
; COMPUTE_PGM_RSRC2:TGID_X_EN: 1
; COMPUTE_PGM_RSRC2:TGID_Y_EN: 0
; COMPUTE_PGM_RSRC2:TGID_Z_EN: 0
; COMPUTE_PGM_RSRC2:TIDIG_COMP_CNT: 1
	.section	.text._ZL28rocblas_dot_batched_4_kernelIiLi64ELi4ELb0E19rocblas_complex_numIdES1_PKS1_EviT5_lT_lS4_lS5_liPT4_,"axG",@progbits,_ZL28rocblas_dot_batched_4_kernelIiLi64ELi4ELb0E19rocblas_complex_numIdES1_PKS1_EviT5_lT_lS4_lS5_liPT4_,comdat
	.globl	_ZL28rocblas_dot_batched_4_kernelIiLi64ELi4ELb0E19rocblas_complex_numIdES1_PKS1_EviT5_lT_lS4_lS5_liPT4_ ; -- Begin function _ZL28rocblas_dot_batched_4_kernelIiLi64ELi4ELb0E19rocblas_complex_numIdES1_PKS1_EviT5_lT_lS4_lS5_liPT4_
	.p2align	8
	.type	_ZL28rocblas_dot_batched_4_kernelIiLi64ELi4ELb0E19rocblas_complex_numIdES1_PKS1_EviT5_lT_lS4_lS5_liPT4_,@function
_ZL28rocblas_dot_batched_4_kernelIiLi64ELi4ELb0E19rocblas_complex_numIdES1_PKS1_EviT5_lT_lS4_lS5_liPT4_: ; @_ZL28rocblas_dot_batched_4_kernelIiLi64ELi4ELb0E19rocblas_complex_numIdES1_PKS1_EviT5_lT_lS4_lS5_liPT4_
; %bb.0:
	s_load_b32 s2, s[0:1], 0x48
	s_bfe_u32 s3, ttmp6, 0x4000c
	s_and_b32 s4, ttmp6, 15
	s_add_co_i32 s3, s3, 1
	v_bfe_u32 v1, v0, 10, 10
	s_mul_i32 s3, ttmp9, s3
	s_delay_alu instid0(SALU_CYCLE_1) | instskip(SKIP_1) | instid1(SALU_CYCLE_1)
	s_add_co_i32 s4, s4, s3
	s_getreg_b32 s3, hwreg(HW_REG_IB_STS2, 6, 4)
	s_cmp_eq_u32 s3, 0
	s_cselect_b32 s3, ttmp9, s4
	s_delay_alu instid0(SALU_CYCLE_1) | instskip(SKIP_1) | instid1(VALU_DEP_1)
	v_lshl_add_u32 v2, s3, 2, v1
	s_wait_kmcnt 0x0
	v_cmp_gt_u32_e32 vcc_lo, s2, v2
	s_and_saveexec_b32 s2, vcc_lo
	s_cbranch_execz .LBB44_7
; %bb.1:
	s_load_b32 s6, s[0:1], 0x0
	v_mov_b64_e32 v[4:5], 0
	v_mov_b64_e32 v[6:7], 0
	v_and_b32_e32 v0, 0x3ff, v0
	v_mov_b32_e32 v3, 0
	s_mov_b32 s7, exec_lo
	s_wait_kmcnt 0x0
	s_delay_alu instid0(VALU_DEP_2)
	v_cmpx_gt_i32_e64 s6, v0
	s_cbranch_execz .LBB44_5
; %bb.2:
	s_clause 0x3
	s_load_b64 s[2:3], s[0:1], 0x40
	s_load_b128 s[8:11], s[0:1], 0x20
	s_load_b96 s[16:18], s[0:1], 0x30
	s_load_b32 s4, s[0:1], 0x18
	v_mov_b32_e32 v1, v3
	s_load_b128 s[12:15], s[0:1], 0x8
	s_wait_kmcnt 0x0
	v_mul_u64_e32 v[4:5], s[2:3], v[2:3]
	v_mul_u64_e32 v[6:7], s[8:9], v[2:3]
	s_ashr_i32 s3, s18, 31
	s_mov_b32 s2, s18
	s_ashr_i32 s5, s4, 31
	v_mul_u64_e32 v[8:9], s[2:3], v[0:1]
	v_mul_u64_e32 v[10:11], s[4:5], v[0:1]
	s_lshl_b64 s[8:9], s[16:17], 4
	s_lshl_b64 s[14:15], s[14:15], 4
	s_add_nc_u64 s[8:9], s[10:11], s[8:9]
	s_add_nc_u64 s[10:11], s[12:13], s[14:15]
	v_mov_b32_e32 v1, v0
	s_lshl_b64 s[2:3], s[2:3], 10
	s_lshl_b64 s[4:5], s[4:5], 10
	v_lshlrev_b64_e32 v[4:5], 4, v[4:5]
	v_lshlrev_b64_e32 v[6:7], 4, v[6:7]
	s_delay_alu instid0(VALU_DEP_2) | instskip(NEXT) | instid1(VALU_DEP_2)
	v_lshl_add_u64 v[4:5], v[8:9], 4, v[4:5]
	v_lshl_add_u64 v[6:7], v[10:11], 4, v[6:7]
	s_delay_alu instid0(VALU_DEP_2) | instskip(NEXT) | instid1(VALU_DEP_2)
	v_add_nc_u64_e32 v[8:9], s[8:9], v[4:5]
	v_add_nc_u64_e32 v[6:7], s[10:11], v[6:7]
	v_mov_b64_e32 v[4:5], 0
	s_mov_b32 s8, 0
	s_delay_alu instid0(VALU_DEP_3) | instskip(NEXT) | instid1(VALU_DEP_3)
	v_add_nc_u64_e32 v[8:9], 8, v[8:9]
	v_add_nc_u64_e32 v[10:11], 8, v[6:7]
	v_mov_b64_e32 v[6:7], 0
.LBB44_3:                               ; =>This Inner Loop Header: Depth=1
	global_load_b128 v[12:15], v[10:11], off offset:-8
	global_load_b128 v[16:19], v[8:9], off offset:-8
	s_wait_xcnt 0x0
	v_add_nc_u64_e32 v[8:9], s[2:3], v[8:9]
	v_add_nc_u64_e32 v[10:11], s[4:5], v[10:11]
	v_add_nc_u32_e32 v1, 64, v1
	s_delay_alu instid0(VALU_DEP_1) | instskip(SKIP_4) | instid1(VALU_DEP_2)
	v_cmp_le_i32_e32 vcc_lo, s6, v1
	s_or_b32 s8, vcc_lo, s8
	s_wait_loadcnt 0x0
	v_mul_f64_e32 v[20:21], v[14:15], v[18:19]
	v_mul_f64_e32 v[18:19], v[12:13], v[18:19]
	v_fma_f64 v[12:13], v[12:13], v[16:17], -v[20:21]
	s_delay_alu instid0(VALU_DEP_2) | instskip(NEXT) | instid1(VALU_DEP_2)
	v_fmac_f64_e32 v[18:19], v[14:15], v[16:17]
	v_add_f64_e32 v[4:5], v[4:5], v[12:13]
	s_delay_alu instid0(VALU_DEP_2)
	v_add_f64_e32 v[6:7], v[6:7], v[18:19]
	s_and_not1_b32 exec_lo, exec_lo, s8
	s_cbranch_execnz .LBB44_3
; %bb.4:
	s_or_b32 exec_lo, exec_lo, s8
.LBB44_5:
	s_delay_alu instid0(SALU_CYCLE_1) | instskip(SKIP_4) | instid1(VALU_DEP_1)
	s_or_b32 exec_lo, exec_lo, s7
	v_mbcnt_lo_u32_b32 v1, -1, 0
	s_load_b64 s[0:1], s[0:1], 0x50
	s_barrier_signal -1
	s_barrier_wait -1
	v_lshlrev_b32_e32 v12, 2, v1
	v_cmp_gt_u32_e32 vcc_lo, 24, v1
	ds_bpermute_b32 v10, v12, v6
	ds_bpermute_b32 v11, v12, v7
	s_wait_dscnt 0x0
	v_add_f64_e32 v[6:7], v[6:7], v[10:11]
	ds_bpermute_b32 v8, v12, v4
	ds_bpermute_b32 v9, v12, v5
	v_or_b32_e32 v11, 64, v12
	s_wait_dscnt 0x0
	v_add_f64_e32 v[4:5], v[4:5], v[8:9]
	ds_bpermute_b32 v10, v11, v6
	ds_bpermute_b32 v8, v11, v4
	;; [unrolled: 1-line block ×4, first 2 shown]
	s_wait_dscnt 0x1
	v_add_f64_e32 v[4:5], v[4:5], v[8:9]
	s_wait_dscnt 0x0
	v_add_f64_e32 v[6:7], v[6:7], v[10:11]
	v_cndmask_b32_e64 v8, 0, 8, vcc_lo
	v_cmp_gt_u32_e32 vcc_lo, 28, v1
	s_delay_alu instid0(VALU_DEP_2)
	v_add_lshl_u32 v11, v8, v1, 2
	ds_bpermute_b32 v8, v11, v4
	ds_bpermute_b32 v9, v11, v5
	;; [unrolled: 1-line block ×4, first 2 shown]
	s_wait_dscnt 0x2
	v_add_f64_e32 v[4:5], v[4:5], v[8:9]
	v_cndmask_b32_e64 v8, 0, 4, vcc_lo
	s_wait_dscnt 0x0
	v_add_f64_e32 v[6:7], v[6:7], v[10:11]
	v_cmp_gt_u32_e32 vcc_lo, 30, v1
	s_delay_alu instid0(VALU_DEP_3)
	v_add_lshl_u32 v11, v8, v1, 2
	ds_bpermute_b32 v8, v11, v4
	ds_bpermute_b32 v9, v11, v5
	;; [unrolled: 1-line block ×4, first 2 shown]
	s_wait_dscnt 0x2
	v_add_f64_e32 v[4:5], v[4:5], v[8:9]
	v_cndmask_b32_e64 v8, 0, 2, vcc_lo
	s_wait_dscnt 0x0
	v_add_f64_e32 v[6:7], v[6:7], v[10:11]
	v_cmp_ne_u32_e32 vcc_lo, 31, v1
	s_delay_alu instid0(VALU_DEP_3) | instskip(SKIP_2) | instid1(VALU_DEP_2)
	v_add_lshl_u32 v11, v8, v1, 2
	v_add_co_ci_u32_e64 v1, null, 0, v1, vcc_lo
	v_cmp_eq_u32_e32 vcc_lo, 0, v0
	v_lshlrev_b32_e32 v1, 2, v1
	ds_bpermute_b32 v8, v11, v4
	ds_bpermute_b32 v9, v11, v5
	;; [unrolled: 1-line block ×4, first 2 shown]
	s_wait_dscnt 0x2
	v_add_f64_e32 v[4:5], v[4:5], v[8:9]
	s_wait_dscnt 0x0
	v_add_f64_e32 v[6:7], v[6:7], v[10:11]
	ds_bpermute_b32 v8, v1, v4
	ds_bpermute_b32 v9, v1, v5
	;; [unrolled: 1-line block ×4, first 2 shown]
	s_and_b32 exec_lo, exec_lo, vcc_lo
	s_cbranch_execz .LBB44_7
; %bb.6:
	s_wait_dscnt 0x0
	v_add_f64_e32 v[6:7], v[6:7], v[10:11]
	v_add_f64_e32 v[4:5], v[4:5], v[8:9]
	s_wait_kmcnt 0x0
	v_lshl_add_u64 v[0:1], v[2:3], 4, s[0:1]
	global_store_b128 v[0:1], v[4:7], off
.LBB44_7:
	s_endpgm
	.section	.rodata,"a",@progbits
	.p2align	6, 0x0
	.amdhsa_kernel _ZL28rocblas_dot_batched_4_kernelIiLi64ELi4ELb0E19rocblas_complex_numIdES1_PKS1_EviT5_lT_lS4_lS5_liPT4_
		.amdhsa_group_segment_fixed_size 0
		.amdhsa_private_segment_fixed_size 0
		.amdhsa_kernarg_size 88
		.amdhsa_user_sgpr_count 2
		.amdhsa_user_sgpr_dispatch_ptr 0
		.amdhsa_user_sgpr_queue_ptr 0
		.amdhsa_user_sgpr_kernarg_segment_ptr 1
		.amdhsa_user_sgpr_dispatch_id 0
		.amdhsa_user_sgpr_kernarg_preload_length 0
		.amdhsa_user_sgpr_kernarg_preload_offset 0
		.amdhsa_user_sgpr_private_segment_size 0
		.amdhsa_wavefront_size32 1
		.amdhsa_uses_dynamic_stack 0
		.amdhsa_enable_private_segment 0
		.amdhsa_system_sgpr_workgroup_id_x 1
		.amdhsa_system_sgpr_workgroup_id_y 0
		.amdhsa_system_sgpr_workgroup_id_z 0
		.amdhsa_system_sgpr_workgroup_info 0
		.amdhsa_system_vgpr_workitem_id 1
		.amdhsa_next_free_vgpr 22
		.amdhsa_next_free_sgpr 19
		.amdhsa_named_barrier_count 0
		.amdhsa_reserve_vcc 1
		.amdhsa_float_round_mode_32 0
		.amdhsa_float_round_mode_16_64 0
		.amdhsa_float_denorm_mode_32 3
		.amdhsa_float_denorm_mode_16_64 3
		.amdhsa_fp16_overflow 0
		.amdhsa_memory_ordered 1
		.amdhsa_forward_progress 1
		.amdhsa_inst_pref_size 7
		.amdhsa_round_robin_scheduling 0
		.amdhsa_exception_fp_ieee_invalid_op 0
		.amdhsa_exception_fp_denorm_src 0
		.amdhsa_exception_fp_ieee_div_zero 0
		.amdhsa_exception_fp_ieee_overflow 0
		.amdhsa_exception_fp_ieee_underflow 0
		.amdhsa_exception_fp_ieee_inexact 0
		.amdhsa_exception_int_div_zero 0
	.end_amdhsa_kernel
	.section	.text._ZL28rocblas_dot_batched_4_kernelIiLi64ELi4ELb0E19rocblas_complex_numIdES1_PKS1_EviT5_lT_lS4_lS5_liPT4_,"axG",@progbits,_ZL28rocblas_dot_batched_4_kernelIiLi64ELi4ELb0E19rocblas_complex_numIdES1_PKS1_EviT5_lT_lS4_lS5_liPT4_,comdat
.Lfunc_end44:
	.size	_ZL28rocblas_dot_batched_4_kernelIiLi64ELi4ELb0E19rocblas_complex_numIdES1_PKS1_EviT5_lT_lS4_lS5_liPT4_, .Lfunc_end44-_ZL28rocblas_dot_batched_4_kernelIiLi64ELi4ELb0E19rocblas_complex_numIdES1_PKS1_EviT5_lT_lS4_lS5_liPT4_
                                        ; -- End function
	.set _ZL28rocblas_dot_batched_4_kernelIiLi64ELi4ELb0E19rocblas_complex_numIdES1_PKS1_EviT5_lT_lS4_lS5_liPT4_.num_vgpr, 22
	.set _ZL28rocblas_dot_batched_4_kernelIiLi64ELi4ELb0E19rocblas_complex_numIdES1_PKS1_EviT5_lT_lS4_lS5_liPT4_.num_agpr, 0
	.set _ZL28rocblas_dot_batched_4_kernelIiLi64ELi4ELb0E19rocblas_complex_numIdES1_PKS1_EviT5_lT_lS4_lS5_liPT4_.numbered_sgpr, 19
	.set _ZL28rocblas_dot_batched_4_kernelIiLi64ELi4ELb0E19rocblas_complex_numIdES1_PKS1_EviT5_lT_lS4_lS5_liPT4_.num_named_barrier, 0
	.set _ZL28rocblas_dot_batched_4_kernelIiLi64ELi4ELb0E19rocblas_complex_numIdES1_PKS1_EviT5_lT_lS4_lS5_liPT4_.private_seg_size, 0
	.set _ZL28rocblas_dot_batched_4_kernelIiLi64ELi4ELb0E19rocblas_complex_numIdES1_PKS1_EviT5_lT_lS4_lS5_liPT4_.uses_vcc, 1
	.set _ZL28rocblas_dot_batched_4_kernelIiLi64ELi4ELb0E19rocblas_complex_numIdES1_PKS1_EviT5_lT_lS4_lS5_liPT4_.uses_flat_scratch, 0
	.set _ZL28rocblas_dot_batched_4_kernelIiLi64ELi4ELb0E19rocblas_complex_numIdES1_PKS1_EviT5_lT_lS4_lS5_liPT4_.has_dyn_sized_stack, 0
	.set _ZL28rocblas_dot_batched_4_kernelIiLi64ELi4ELb0E19rocblas_complex_numIdES1_PKS1_EviT5_lT_lS4_lS5_liPT4_.has_recursion, 0
	.set _ZL28rocblas_dot_batched_4_kernelIiLi64ELi4ELb0E19rocblas_complex_numIdES1_PKS1_EviT5_lT_lS4_lS5_liPT4_.has_indirect_call, 0
	.section	.AMDGPU.csdata,"",@progbits
; Kernel info:
; codeLenInByte = 864
; TotalNumSgprs: 21
; NumVgprs: 22
; ScratchSize: 0
; MemoryBound: 0
; FloatMode: 240
; IeeeMode: 1
; LDSByteSize: 0 bytes/workgroup (compile time only)
; SGPRBlocks: 0
; VGPRBlocks: 1
; NumSGPRsForWavesPerEU: 21
; NumVGPRsForWavesPerEU: 22
; NamedBarCnt: 0
; Occupancy: 16
; WaveLimiterHint : 0
; COMPUTE_PGM_RSRC2:SCRATCH_EN: 0
; COMPUTE_PGM_RSRC2:USER_SGPR: 2
; COMPUTE_PGM_RSRC2:TRAP_HANDLER: 0
; COMPUTE_PGM_RSRC2:TGID_X_EN: 1
; COMPUTE_PGM_RSRC2:TGID_Y_EN: 0
; COMPUTE_PGM_RSRC2:TGID_Z_EN: 0
; COMPUTE_PGM_RSRC2:TIDIG_COMP_CNT: 1
	.section	.text._ZL26rocblas_dot_kernel_inc1by2ILb1ELi1024ELi32ELb0E19rocblas_complex_numIdEPKS1_S1_EviT4_llS4_lliPT5_PT3_,"axG",@progbits,_ZL26rocblas_dot_kernel_inc1by2ILb1ELi1024ELi32ELb0E19rocblas_complex_numIdEPKS1_S1_EviT4_llS4_lliPT5_PT3_,comdat
	.globl	_ZL26rocblas_dot_kernel_inc1by2ILb1ELi1024ELi32ELb0E19rocblas_complex_numIdEPKS1_S1_EviT4_llS4_lliPT5_PT3_ ; -- Begin function _ZL26rocblas_dot_kernel_inc1by2ILb1ELi1024ELi32ELb0E19rocblas_complex_numIdEPKS1_S1_EviT4_llS4_lliPT5_PT3_
	.p2align	8
	.type	_ZL26rocblas_dot_kernel_inc1by2ILb1ELi1024ELi32ELb0E19rocblas_complex_numIdEPKS1_S1_EviT4_llS4_lliPT5_PT3_,@function
_ZL26rocblas_dot_kernel_inc1by2ILb1ELi1024ELi32ELb0E19rocblas_complex_numIdEPKS1_S1_EviT4_llS4_lliPT5_PT3_: ; @_ZL26rocblas_dot_kernel_inc1by2ILb1ELi1024ELi32ELb0E19rocblas_complex_numIdEPKS1_S1_EviT4_llS4_lliPT5_PT3_
; %bb.0:
	s_load_b32 s3, s[0:1], 0x38
	s_bfe_u32 s2, ttmp6, 0x40014
	s_lshr_b32 s4, ttmp7, 16
	s_add_co_i32 s2, s2, 1
	s_bfe_u32 s5, ttmp6, 0x40008
	s_mul_i32 s2, s4, s2
	s_getreg_b32 s6, hwreg(HW_REG_IB_STS2, 6, 4)
	s_add_co_i32 s5, s5, s2
	s_cmp_eq_u32 s6, 0
	s_mov_b32 s9, 0
	s_cselect_b32 s8, s4, s5
	s_wait_kmcnt 0x0
	s_cmp_ge_u32 s8, s3
	s_cbranch_scc1 .LBB45_17
; %bb.1:
	v_mbcnt_lo_u32_b32 v2, -1, 0
	s_clause 0x5
	s_load_b64 s[18:19], s[0:1], 0x8
	s_load_b32 s16, s[0:1], 0x0
	s_load_b64 s[20:21], s[0:1], 0x20
	s_load_b128 s[4:7], s[0:1], 0x10
	s_load_b64 s[10:11], s[0:1], 0x48
	s_load_b128 s[12:15], s[0:1], 0x28
	v_and_b32_e32 v1, 31, v0
	s_wait_xcnt 0x0
	v_cmp_eq_u32_e64 s1, 0, v0
	v_cmp_gt_u32_e64 s0, 24, v2
	v_lshl_or_b32 v13, v2, 2, 64
	v_cmp_gt_u32_e32 vcc_lo, 32, v0
	s_delay_alu instid0(VALU_DEP_3) | instskip(SKIP_1) | instid1(VALU_DEP_2)
	v_cndmask_b32_e64 v3, 0, 8, s0
	v_cmp_gt_u32_e64 s0, 28, v2
	v_add_lshl_u32 v14, v3, v2, 2
	s_delay_alu instid0(VALU_DEP_2) | instskip(SKIP_2) | instid1(VALU_DEP_3)
	v_cndmask_b32_e64 v4, 0, 4, s0
	v_cmp_gt_u32_e64 s0, 30, v2
	v_lshrrev_b32_e32 v3, 1, v0
	v_add_lshl_u32 v15, v4, v2, 2
	s_delay_alu instid0(VALU_DEP_3)
	v_cndmask_b32_e64 v5, 0, 2, s0
	v_cmp_ne_u32_e64 s0, 31, v2
	s_wait_kmcnt 0x0
	s_lshl_b64 s[12:13], s[12:13], 4
	v_and_b32_e32 v18, 0x1f0, v3
	s_add_nc_u64 s[12:13], s[20:21], s[12:13]
	s_lshl_b64 s[20:21], s[4:5], 4
	v_add_co_ci_u32_e64 v6, null, 0, v2, s0
	v_lshlrev_b32_e32 v12, 4, v1
	v_add_lshl_u32 v16, v5, v2, 2
	v_cmp_eq_u32_e64 s0, 0, v1
	s_delay_alu instid0(VALU_DEP_4)
	v_dual_mov_b32 v2, 0 :: v_dual_lshlrev_b32 v17, 2, v6
	s_add_nc_u64 s[18:19], s[18:19], s[20:21]
	s_add_nc_u64 s[4:5], s[12:13], 8
	s_lshl_b64 s[12:13], s[14:15], 4
	s_add_nc_u64 s[14:15], s[18:19], 8
	s_lshl_b64 s[6:7], s[6:7], 4
	s_branch .LBB45_3
.LBB45_2:                               ;   in Loop: Header=BB45_3 Depth=1
	s_wait_xcnt 0x0
	s_or_b32 exec_lo, exec_lo, s2
	s_add_co_i32 s8, s8, 0x10000
	s_delay_alu instid0(SALU_CYCLE_1)
	s_cmp_lt_u32 s8, s3
	s_cbranch_scc0 .LBB45_17
.LBB45_3:                               ; =>This Loop Header: Depth=1
                                        ;     Child Loop BB45_5 Depth 2
	s_wait_dscnt 0x0
	v_mov_b64_e32 v[6:7], 0
	v_mov_b64_e32 v[8:9], 0
	s_mov_b32 s17, exec_lo
	v_cmpx_gt_i32_e64 s16, v0
	s_cbranch_execz .LBB45_7
; %bb.4:                                ;   in Loop: Header=BB45_3 Depth=1
	v_ashrrev_i32_e32 v1, 31, v0
	s_mul_u64 s[18:19], s[12:13], s[8:9]
	s_mul_u64 s[20:21], s[6:7], s[8:9]
	s_add_nc_u64 s[18:19], s[4:5], s[18:19]
	s_add_nc_u64 s[20:21], s[14:15], s[20:21]
	v_lshlrev_b64_e32 v[8:9], 4, v[0:1]
	v_mov_b64_e32 v[6:7], 0
	s_delay_alu instid0(VALU_DEP_2)
	v_add_nc_u64_e32 v[4:5], s[18:19], v[8:9]
	v_add_nc_u64_e32 v[10:11], s[20:21], v[8:9]
	v_mov_b64_e32 v[8:9], 0
	s_mov_b32 s18, 0
	s_mov_b32 s19, 0
.LBB45_5:                               ;   Parent Loop BB45_3 Depth=1
                                        ; =>  This Inner Loop Header: Depth=2
	global_load_b128 v[20:23], v[4:5], off offset:-8
	global_load_b128 v[24:27], v[10:11], off offset:-8
	v_add_nc_u32_e32 v0, 0x400, v0
	s_add_co_i32 s20, s19, 1
	s_cmp_gt_u32 s19, 30
	s_wait_xcnt 0x1
	v_add_nc_u64_e32 v[4:5], 0x4000, v[4:5]
	s_cselect_b32 s19, -1, 0
	v_cmp_le_i32_e64 s2, s16, v0
	s_wait_xcnt 0x0
	v_add_nc_u64_e32 v[10:11], 0x4000, v[10:11]
	s_or_b32 s2, s19, s2
	s_mov_b32 s19, s20
	s_and_b32 s2, exec_lo, s2
	s_delay_alu instid0(SALU_CYCLE_1) | instskip(SKIP_3) | instid1(VALU_DEP_2)
	s_or_b32 s18, s2, s18
	s_wait_loadcnt 0x0
	v_mul_f64_e32 v[28:29], v[22:23], v[26:27]
	v_mul_f64_e32 v[26:27], v[20:21], v[26:27]
	v_fma_f64 v[20:21], v[20:21], v[24:25], -v[28:29]
	s_delay_alu instid0(VALU_DEP_2) | instskip(NEXT) | instid1(VALU_DEP_2)
	v_fmac_f64_e32 v[26:27], v[22:23], v[24:25]
	v_add_f64_e32 v[8:9], v[8:9], v[20:21]
	s_delay_alu instid0(VALU_DEP_2)
	v_add_f64_e32 v[6:7], v[6:7], v[26:27]
	s_and_not1_b32 exec_lo, exec_lo, s18
	s_cbranch_execnz .LBB45_5
; %bb.6:                                ;   in Loop: Header=BB45_3 Depth=1
	s_or_b32 exec_lo, exec_lo, s18
.LBB45_7:                               ;   in Loop: Header=BB45_3 Depth=1
	s_delay_alu instid0(SALU_CYCLE_1)
	s_or_b32 exec_lo, exec_lo, s17
	s_and_saveexec_b32 s2, vcc_lo
; %bb.8:                                ;   in Loop: Header=BB45_3 Depth=1
	v_dual_mov_b32 v3, v2 :: v_dual_mov_b32 v4, v2
	v_mov_b32_e32 v5, v2
	ds_store_b128 v12, v[2:5]
; %bb.9:                                ;   in Loop: Header=BB45_3 Depth=1
	s_or_b32 exec_lo, exec_lo, s2
	ds_bpermute_b32 v4, v13, v8
	ds_bpermute_b32 v5, v13, v9
	;; [unrolled: 1-line block ×4, first 2 shown]
	s_wait_dscnt 0x0
	s_barrier_signal -1
	s_barrier_wait -1
	v_add_f64_e32 v[4:5], v[8:9], v[4:5]
	v_add_f64_e32 v[6:7], v[6:7], v[10:11]
	ds_bpermute_b32 v8, v14, v4
	ds_bpermute_b32 v9, v14, v5
	ds_bpermute_b32 v10, v14, v6
	ds_bpermute_b32 v11, v14, v7
	s_wait_dscnt 0x2
	v_add_f64_e32 v[4:5], v[4:5], v[8:9]
	s_wait_dscnt 0x0
	v_add_f64_e32 v[6:7], v[6:7], v[10:11]
	ds_bpermute_b32 v8, v15, v4
	ds_bpermute_b32 v9, v15, v5
	ds_bpermute_b32 v10, v15, v6
	ds_bpermute_b32 v11, v15, v7
	s_wait_dscnt 0x2
	v_add_f64_e32 v[4:5], v[4:5], v[8:9]
	s_wait_dscnt 0x0
	;; [unrolled: 8-line block ×3, first 2 shown]
	v_add_f64_e32 v[8:9], v[6:7], v[10:11]
	ds_bpermute_b32 v6, v17, v4
	ds_bpermute_b32 v7, v17, v5
	;; [unrolled: 1-line block ×4, first 2 shown]
	s_and_saveexec_b32 s2, s0
	s_cbranch_execz .LBB45_11
; %bb.10:                               ;   in Loop: Header=BB45_3 Depth=1
	s_wait_dscnt 0x0
	v_add_f64_e32 v[8:9], v[8:9], v[10:11]
	v_add_f64_e32 v[6:7], v[4:5], v[6:7]
	ds_store_b128 v18, v[6:9]
.LBB45_11:                              ;   in Loop: Header=BB45_3 Depth=1
	s_or_b32 exec_lo, exec_lo, s2
	s_wait_dscnt 0x2
	v_mov_b64_e32 v[6:7], 0
	v_mov_b64_e32 v[4:5], 0
	s_wait_dscnt 0x0
	s_barrier_signal -1
	s_barrier_wait -1
	s_and_saveexec_b32 s2, vcc_lo
	s_cbranch_execnz .LBB45_14
; %bb.12:                               ;   in Loop: Header=BB45_3 Depth=1
	s_or_b32 exec_lo, exec_lo, s2
	s_and_saveexec_b32 s2, vcc_lo
	s_cbranch_execnz .LBB45_15
.LBB45_13:                              ;   in Loop: Header=BB45_3 Depth=1
	s_or_b32 exec_lo, exec_lo, s2
	s_and_saveexec_b32 s2, s1
	s_cbranch_execz .LBB45_2
	s_branch .LBB45_16
.LBB45_14:                              ;   in Loop: Header=BB45_3 Depth=1
	ds_load_b128 v[4:7], v12
	s_or_b32 exec_lo, exec_lo, s2
	s_and_saveexec_b32 s2, vcc_lo
	s_cbranch_execz .LBB45_13
.LBB45_15:                              ;   in Loop: Header=BB45_3 Depth=1
	s_wait_dscnt 0x0
	ds_bpermute_b32 v8, v13, v4
	ds_bpermute_b32 v9, v13, v5
	ds_bpermute_b32 v10, v13, v6
	ds_bpermute_b32 v11, v13, v7
	s_wait_dscnt 0x2
	v_add_f64_e32 v[4:5], v[4:5], v[8:9]
	s_wait_dscnt 0x0
	v_add_f64_e32 v[6:7], v[6:7], v[10:11]
	ds_bpermute_b32 v8, v14, v4
	ds_bpermute_b32 v9, v14, v5
	ds_bpermute_b32 v10, v14, v6
	ds_bpermute_b32 v11, v14, v7
	s_wait_dscnt 0x2
	v_add_f64_e32 v[4:5], v[4:5], v[8:9]
	s_wait_dscnt 0x0
	v_add_f64_e32 v[6:7], v[6:7], v[10:11]
	;; [unrolled: 8-line block ×5, first 2 shown]
	s_or_b32 exec_lo, exec_lo, s2
	s_and_saveexec_b32 s2, s1
	s_cbranch_execz .LBB45_2
.LBB45_16:                              ;   in Loop: Header=BB45_3 Depth=1
	s_lshl_b64 s[18:19], s[8:9], 4
	s_delay_alu instid0(SALU_CYCLE_1)
	s_add_nc_u64 s[18:19], s[10:11], s[18:19]
	s_wait_dscnt 0x0
	global_store_b128 v2, v[4:7], s[18:19]
	s_branch .LBB45_2
.LBB45_17:
	s_endpgm
	.section	.rodata,"a",@progbits
	.p2align	6, 0x0
	.amdhsa_kernel _ZL26rocblas_dot_kernel_inc1by2ILb1ELi1024ELi32ELb0E19rocblas_complex_numIdEPKS1_S1_EviT4_llS4_lliPT5_PT3_
		.amdhsa_group_segment_fixed_size 512
		.amdhsa_private_segment_fixed_size 0
		.amdhsa_kernarg_size 80
		.amdhsa_user_sgpr_count 2
		.amdhsa_user_sgpr_dispatch_ptr 0
		.amdhsa_user_sgpr_queue_ptr 0
		.amdhsa_user_sgpr_kernarg_segment_ptr 1
		.amdhsa_user_sgpr_dispatch_id 0
		.amdhsa_user_sgpr_kernarg_preload_length 0
		.amdhsa_user_sgpr_kernarg_preload_offset 0
		.amdhsa_user_sgpr_private_segment_size 0
		.amdhsa_wavefront_size32 1
		.amdhsa_uses_dynamic_stack 0
		.amdhsa_enable_private_segment 0
		.amdhsa_system_sgpr_workgroup_id_x 1
		.amdhsa_system_sgpr_workgroup_id_y 0
		.amdhsa_system_sgpr_workgroup_id_z 1
		.amdhsa_system_sgpr_workgroup_info 0
		.amdhsa_system_vgpr_workitem_id 0
		.amdhsa_next_free_vgpr 30
		.amdhsa_next_free_sgpr 22
		.amdhsa_named_barrier_count 0
		.amdhsa_reserve_vcc 1
		.amdhsa_float_round_mode_32 0
		.amdhsa_float_round_mode_16_64 0
		.amdhsa_float_denorm_mode_32 3
		.amdhsa_float_denorm_mode_16_64 3
		.amdhsa_fp16_overflow 0
		.amdhsa_memory_ordered 1
		.amdhsa_forward_progress 1
		.amdhsa_inst_pref_size 10
		.amdhsa_round_robin_scheduling 0
		.amdhsa_exception_fp_ieee_invalid_op 0
		.amdhsa_exception_fp_denorm_src 0
		.amdhsa_exception_fp_ieee_div_zero 0
		.amdhsa_exception_fp_ieee_overflow 0
		.amdhsa_exception_fp_ieee_underflow 0
		.amdhsa_exception_fp_ieee_inexact 0
		.amdhsa_exception_int_div_zero 0
	.end_amdhsa_kernel
	.section	.text._ZL26rocblas_dot_kernel_inc1by2ILb1ELi1024ELi32ELb0E19rocblas_complex_numIdEPKS1_S1_EviT4_llS4_lliPT5_PT3_,"axG",@progbits,_ZL26rocblas_dot_kernel_inc1by2ILb1ELi1024ELi32ELb0E19rocblas_complex_numIdEPKS1_S1_EviT4_llS4_lliPT5_PT3_,comdat
.Lfunc_end45:
	.size	_ZL26rocblas_dot_kernel_inc1by2ILb1ELi1024ELi32ELb0E19rocblas_complex_numIdEPKS1_S1_EviT4_llS4_lliPT5_PT3_, .Lfunc_end45-_ZL26rocblas_dot_kernel_inc1by2ILb1ELi1024ELi32ELb0E19rocblas_complex_numIdEPKS1_S1_EviT4_llS4_lliPT5_PT3_
                                        ; -- End function
	.set _ZL26rocblas_dot_kernel_inc1by2ILb1ELi1024ELi32ELb0E19rocblas_complex_numIdEPKS1_S1_EviT4_llS4_lliPT5_PT3_.num_vgpr, 30
	.set _ZL26rocblas_dot_kernel_inc1by2ILb1ELi1024ELi32ELb0E19rocblas_complex_numIdEPKS1_S1_EviT4_llS4_lliPT5_PT3_.num_agpr, 0
	.set _ZL26rocblas_dot_kernel_inc1by2ILb1ELi1024ELi32ELb0E19rocblas_complex_numIdEPKS1_S1_EviT4_llS4_lliPT5_PT3_.numbered_sgpr, 22
	.set _ZL26rocblas_dot_kernel_inc1by2ILb1ELi1024ELi32ELb0E19rocblas_complex_numIdEPKS1_S1_EviT4_llS4_lliPT5_PT3_.num_named_barrier, 0
	.set _ZL26rocblas_dot_kernel_inc1by2ILb1ELi1024ELi32ELb0E19rocblas_complex_numIdEPKS1_S1_EviT4_llS4_lliPT5_PT3_.private_seg_size, 0
	.set _ZL26rocblas_dot_kernel_inc1by2ILb1ELi1024ELi32ELb0E19rocblas_complex_numIdEPKS1_S1_EviT4_llS4_lliPT5_PT3_.uses_vcc, 1
	.set _ZL26rocblas_dot_kernel_inc1by2ILb1ELi1024ELi32ELb0E19rocblas_complex_numIdEPKS1_S1_EviT4_llS4_lliPT5_PT3_.uses_flat_scratch, 0
	.set _ZL26rocblas_dot_kernel_inc1by2ILb1ELi1024ELi32ELb0E19rocblas_complex_numIdEPKS1_S1_EviT4_llS4_lliPT5_PT3_.has_dyn_sized_stack, 0
	.set _ZL26rocblas_dot_kernel_inc1by2ILb1ELi1024ELi32ELb0E19rocblas_complex_numIdEPKS1_S1_EviT4_llS4_lliPT5_PT3_.has_recursion, 0
	.set _ZL26rocblas_dot_kernel_inc1by2ILb1ELi1024ELi32ELb0E19rocblas_complex_numIdEPKS1_S1_EviT4_llS4_lliPT5_PT3_.has_indirect_call, 0
	.section	.AMDGPU.csdata,"",@progbits
; Kernel info:
; codeLenInByte = 1256
; TotalNumSgprs: 24
; NumVgprs: 30
; ScratchSize: 0
; MemoryBound: 0
; FloatMode: 240
; IeeeMode: 1
; LDSByteSize: 512 bytes/workgroup (compile time only)
; SGPRBlocks: 0
; VGPRBlocks: 1
; NumSGPRsForWavesPerEU: 24
; NumVGPRsForWavesPerEU: 30
; NamedBarCnt: 0
; Occupancy: 16
; WaveLimiterHint : 0
; COMPUTE_PGM_RSRC2:SCRATCH_EN: 0
; COMPUTE_PGM_RSRC2:USER_SGPR: 2
; COMPUTE_PGM_RSRC2:TRAP_HANDLER: 0
; COMPUTE_PGM_RSRC2:TGID_X_EN: 1
; COMPUTE_PGM_RSRC2:TGID_Y_EN: 0
; COMPUTE_PGM_RSRC2:TGID_Z_EN: 1
; COMPUTE_PGM_RSRC2:TIDIG_COMP_CNT: 0
	.section	.text._ZL18rocblas_dot_kernelIiLb1ELi1024ELi32ELb0E19rocblas_complex_numIdEPKS1_S1_EviT5_lT_lS4_lS5_liPT6_PT4_,"axG",@progbits,_ZL18rocblas_dot_kernelIiLb1ELi1024ELi32ELb0E19rocblas_complex_numIdEPKS1_S1_EviT5_lT_lS4_lS5_liPT6_PT4_,comdat
	.globl	_ZL18rocblas_dot_kernelIiLb1ELi1024ELi32ELb0E19rocblas_complex_numIdEPKS1_S1_EviT5_lT_lS4_lS5_liPT6_PT4_ ; -- Begin function _ZL18rocblas_dot_kernelIiLb1ELi1024ELi32ELb0E19rocblas_complex_numIdEPKS1_S1_EviT5_lT_lS4_lS5_liPT6_PT4_
	.p2align	8
	.type	_ZL18rocblas_dot_kernelIiLb1ELi1024ELi32ELb0E19rocblas_complex_numIdEPKS1_S1_EviT5_lT_lS4_lS5_liPT6_PT4_,@function
_ZL18rocblas_dot_kernelIiLb1ELi1024ELi32ELb0E19rocblas_complex_numIdEPKS1_S1_EviT5_lT_lS4_lS5_liPT6_PT4_: ; @_ZL18rocblas_dot_kernelIiLb1ELi1024ELi32ELb0E19rocblas_complex_numIdEPKS1_S1_EviT5_lT_lS4_lS5_liPT6_PT4_
; %bb.0:
	s_load_b32 s3, s[0:1], 0x48
	s_bfe_u32 s2, ttmp6, 0x40014
	s_lshr_b32 s4, ttmp7, 16
	s_add_co_i32 s2, s2, 1
	s_bfe_u32 s5, ttmp6, 0x40008
	s_mul_i32 s2, s4, s2
	s_getreg_b32 s6, hwreg(HW_REG_IB_STS2, 6, 4)
	s_add_co_i32 s5, s5, s2
	s_cmp_eq_u32 s6, 0
	s_mov_b32 s17, 0
	s_cselect_b32 s16, s4, s5
	s_wait_kmcnt 0x0
	s_cmp_ge_u32 s16, s3
	s_cbranch_scc1 .LBB46_17
; %bb.1:
	v_mbcnt_lo_u32_b32 v3, -1, 0
	s_clause 0x6
	s_load_b32 s24, s[0:1], 0x18
	s_load_b96 s[12:14], s[0:1], 0x30
	s_load_b96 s[8:10], s[0:1], 0x58
	s_load_b128 s[4:7], s[0:1], 0x20
	s_load_b128 s[20:23], s[0:1], 0x8
	s_load_b32 s26, s[0:1], 0x0
	s_load_b64 s[28:29], s[0:1], 0x40
	v_and_b32_e32 v2, 31, v0
	s_wait_xcnt 0x0
	v_cmp_eq_u32_e64 s1, 0, v0
	v_cmp_gt_u32_e64 s0, 24, v3
	v_lshl_or_b32 v12, v3, 2, 64
	v_cmp_gt_u32_e32 vcc_lo, 32, v0
	s_delay_alu instid0(VALU_DEP_3) | instskip(SKIP_1) | instid1(VALU_DEP_2)
	v_cndmask_b32_e64 v4, 0, 8, s0
	v_cmp_gt_u32_e64 s0, 28, v3
	v_add_lshl_u32 v13, v4, v3, 2
	s_delay_alu instid0(VALU_DEP_2)
	v_cndmask_b32_e64 v5, 0, 4, s0
	v_cmp_gt_u32_e64 s0, 30, v3
	v_lshrrev_b32_e32 v4, 1, v0
	s_wait_kmcnt 0x0
	s_ashr_i32 s25, s24, 31
	s_lshl_b32 s10, s10, 10
	s_ashr_i32 s31, s14, 31
	v_cndmask_b32_e64 v6, 0, 2, s0
	v_cmp_ne_u32_e64 s0, 31, v3
	s_mov_b32 s30, s14
	s_lshl_b64 s[14:15], s[22:23], 4
	s_ashr_i32 s11, s10, 31
	s_lshl_b64 s[12:13], s[12:13], 4
	v_add_co_ci_u32_e64 v7, null, 0, v3, s0
	v_lshlrev_b32_e32 v1, 4, v2
	v_add_lshl_u32 v14, v5, v3, 2
	v_add_lshl_u32 v15, v6, v3, 2
	s_delay_alu instid0(VALU_DEP_4)
	v_lshlrev_b32_e32 v16, 2, v7
	v_cmp_eq_u32_e64 s0, 0, v2
	v_and_b32_e32 v17, 0x1f0, v4
	v_mov_b32_e32 v2, 0
	s_add_nc_u64 s[14:15], s[20:21], s[14:15]
	s_lshl_b64 s[18:19], s[24:25], 4
	s_mul_u64 s[20:21], s[24:25], s[10:11]
	s_add_nc_u64 s[12:13], s[6:7], s[12:13]
	s_mul_u64 s[24:25], s[30:31], s[10:11]
	s_add_nc_u64 s[14:15], s[14:15], 8
	s_lshl_b64 s[4:5], s[4:5], 4
	s_lshl_b64 s[6:7], s[20:21], 4
	s_add_nc_u64 s[12:13], s[12:13], 8
	s_lshl_b64 s[20:21], s[30:31], 4
	s_lshl_b64 s[22:23], s[28:29], 4
	;; [unrolled: 1-line block ×3, first 2 shown]
	s_branch .LBB46_3
.LBB46_2:                               ;   in Loop: Header=BB46_3 Depth=1
	s_wait_xcnt 0x0
	s_or_b32 exec_lo, exec_lo, s2
	s_add_co_i32 s16, s16, 0x10000
	s_delay_alu instid0(SALU_CYCLE_1)
	s_cmp_lt_u32 s16, s3
	s_cbranch_scc0 .LBB46_17
.LBB46_3:                               ; =>This Loop Header: Depth=1
                                        ;     Child Loop BB46_5 Depth 2
	s_wait_dscnt 0x0
	v_mov_b64_e32 v[6:7], 0
	v_mov_b64_e32 v[8:9], 0
	s_mov_b32 s11, exec_lo
	v_cmpx_gt_i32_e64 s26, v0
	s_cbranch_execz .LBB46_7
; %bb.4:                                ;   in Loop: Header=BB46_3 Depth=1
	s_mul_u64 s[28:29], s[4:5], s[16:17]
	s_mul_u64 s[30:31], s[22:23], s[16:17]
	s_add_nc_u64 s[28:29], s[14:15], s[28:29]
	s_add_nc_u64 s[30:31], s[12:13], s[30:31]
	v_mad_nc_u64_u32 v[4:5], s18, v0, s[28:29]
	v_mad_nc_u64_u32 v[10:11], s20, v0, s[30:31]
	v_ashrrev_i32_e32 v7, 31, v0
	v_mov_b64_e32 v[8:9], 0
	s_mov_b32 s27, 0
	s_mov_b32 s28, 0
	s_delay_alu instid0(VALU_DEP_4) | instskip(NEXT) | instid1(VALU_DEP_4)
	v_mad_u32 v3, s19, v0, v5
	v_mad_u32 v6, s21, v0, v11
	s_delay_alu instid0(VALU_DEP_2) | instskip(NEXT) | instid1(VALU_DEP_2)
	v_mad_u32 v5, s18, v7, v3
	v_mad_u32 v11, s20, v7, v6
	v_mov_b64_e32 v[6:7], 0
.LBB46_5:                               ;   Parent Loop BB46_3 Depth=1
                                        ; =>  This Inner Loop Header: Depth=2
	global_load_b128 v[18:21], v[10:11], off offset:-8
	global_load_b128 v[22:25], v[4:5], off offset:-8
	s_add_co_i32 s29, s28, 1
	s_cmp_gt_u32 s28, 30
	s_wait_xcnt 0x0
	v_add_nc_u64_e32 v[4:5], s[6:7], v[4:5]
	s_cselect_b32 s28, -1, 0
	v_add_nc_u64_e32 v[10:11], s[24:25], v[10:11]
	v_add_nc_u32_e32 v0, s10, v0
	s_delay_alu instid0(VALU_DEP_1) | instskip(SKIP_3) | instid1(SALU_CYCLE_1)
	v_cmp_le_i32_e64 s2, s26, v0
	s_or_b32 s2, s28, s2
	s_mov_b32 s28, s29
	s_and_b32 s2, exec_lo, s2
	s_or_b32 s27, s2, s27
	s_wait_loadcnt 0x0
	v_mul_f64_e32 v[26:27], v[20:21], v[24:25]
	v_mul_f64_e32 v[24:25], v[18:19], v[24:25]
	s_delay_alu instid0(VALU_DEP_2) | instskip(NEXT) | instid1(VALU_DEP_2)
	v_fma_f64 v[18:19], v[18:19], v[22:23], -v[26:27]
	v_fmac_f64_e32 v[24:25], v[20:21], v[22:23]
	s_delay_alu instid0(VALU_DEP_2) | instskip(NEXT) | instid1(VALU_DEP_2)
	v_add_f64_e32 v[8:9], v[8:9], v[18:19]
	v_add_f64_e32 v[6:7], v[6:7], v[24:25]
	s_and_not1_b32 exec_lo, exec_lo, s27
	s_cbranch_execnz .LBB46_5
; %bb.6:                                ;   in Loop: Header=BB46_3 Depth=1
	s_or_b32 exec_lo, exec_lo, s27
.LBB46_7:                               ;   in Loop: Header=BB46_3 Depth=1
	s_delay_alu instid0(SALU_CYCLE_1)
	s_or_b32 exec_lo, exec_lo, s11
	s_and_saveexec_b32 s2, vcc_lo
; %bb.8:                                ;   in Loop: Header=BB46_3 Depth=1
	v_dual_mov_b32 v3, v2 :: v_dual_mov_b32 v4, v2
	v_mov_b32_e32 v5, v2
	ds_store_b128 v1, v[2:5]
; %bb.9:                                ;   in Loop: Header=BB46_3 Depth=1
	s_or_b32 exec_lo, exec_lo, s2
	ds_bpermute_b32 v4, v12, v8
	ds_bpermute_b32 v5, v12, v9
	;; [unrolled: 1-line block ×4, first 2 shown]
	s_wait_dscnt 0x0
	s_barrier_signal -1
	s_barrier_wait -1
	v_add_f64_e32 v[4:5], v[8:9], v[4:5]
	v_add_f64_e32 v[6:7], v[6:7], v[10:11]
	ds_bpermute_b32 v8, v13, v4
	ds_bpermute_b32 v9, v13, v5
	ds_bpermute_b32 v10, v13, v6
	ds_bpermute_b32 v11, v13, v7
	s_wait_dscnt 0x2
	v_add_f64_e32 v[4:5], v[4:5], v[8:9]
	s_wait_dscnt 0x0
	v_add_f64_e32 v[6:7], v[6:7], v[10:11]
	ds_bpermute_b32 v8, v14, v4
	ds_bpermute_b32 v9, v14, v5
	ds_bpermute_b32 v10, v14, v6
	ds_bpermute_b32 v11, v14, v7
	s_wait_dscnt 0x2
	v_add_f64_e32 v[4:5], v[4:5], v[8:9]
	s_wait_dscnt 0x0
	;; [unrolled: 8-line block ×3, first 2 shown]
	v_add_f64_e32 v[8:9], v[6:7], v[10:11]
	ds_bpermute_b32 v6, v16, v4
	ds_bpermute_b32 v7, v16, v5
	;; [unrolled: 1-line block ×4, first 2 shown]
	s_and_saveexec_b32 s2, s0
	s_cbranch_execz .LBB46_11
; %bb.10:                               ;   in Loop: Header=BB46_3 Depth=1
	s_wait_dscnt 0x0
	v_add_f64_e32 v[8:9], v[8:9], v[10:11]
	v_add_f64_e32 v[6:7], v[4:5], v[6:7]
	ds_store_b128 v17, v[6:9]
.LBB46_11:                              ;   in Loop: Header=BB46_3 Depth=1
	s_or_b32 exec_lo, exec_lo, s2
	s_wait_dscnt 0x2
	v_mov_b64_e32 v[6:7], 0
	v_mov_b64_e32 v[4:5], 0
	s_wait_dscnt 0x0
	s_barrier_signal -1
	s_barrier_wait -1
	s_and_saveexec_b32 s2, vcc_lo
	s_cbranch_execnz .LBB46_14
; %bb.12:                               ;   in Loop: Header=BB46_3 Depth=1
	s_or_b32 exec_lo, exec_lo, s2
	s_and_saveexec_b32 s2, vcc_lo
	s_cbranch_execnz .LBB46_15
.LBB46_13:                              ;   in Loop: Header=BB46_3 Depth=1
	s_or_b32 exec_lo, exec_lo, s2
	s_and_saveexec_b32 s2, s1
	s_cbranch_execz .LBB46_2
	s_branch .LBB46_16
.LBB46_14:                              ;   in Loop: Header=BB46_3 Depth=1
	ds_load_b128 v[4:7], v1
	s_or_b32 exec_lo, exec_lo, s2
	s_and_saveexec_b32 s2, vcc_lo
	s_cbranch_execz .LBB46_13
.LBB46_15:                              ;   in Loop: Header=BB46_3 Depth=1
	s_wait_dscnt 0x0
	ds_bpermute_b32 v8, v12, v4
	ds_bpermute_b32 v9, v12, v5
	ds_bpermute_b32 v10, v12, v6
	ds_bpermute_b32 v11, v12, v7
	s_wait_dscnt 0x2
	v_add_f64_e32 v[4:5], v[4:5], v[8:9]
	s_wait_dscnt 0x0
	v_add_f64_e32 v[6:7], v[6:7], v[10:11]
	ds_bpermute_b32 v8, v13, v4
	ds_bpermute_b32 v9, v13, v5
	ds_bpermute_b32 v10, v13, v6
	ds_bpermute_b32 v11, v13, v7
	s_wait_dscnt 0x2
	v_add_f64_e32 v[4:5], v[4:5], v[8:9]
	s_wait_dscnt 0x0
	v_add_f64_e32 v[6:7], v[6:7], v[10:11]
	;; [unrolled: 8-line block ×5, first 2 shown]
	s_or_b32 exec_lo, exec_lo, s2
	s_and_saveexec_b32 s2, s1
	s_cbranch_execz .LBB46_2
.LBB46_16:                              ;   in Loop: Header=BB46_3 Depth=1
	s_lshl_b64 s[28:29], s[16:17], 4
	s_delay_alu instid0(SALU_CYCLE_1)
	s_add_nc_u64 s[28:29], s[8:9], s[28:29]
	s_wait_dscnt 0x0
	global_store_b128 v2, v[4:7], s[28:29]
	s_branch .LBB46_2
.LBB46_17:
	s_endpgm
	.section	.rodata,"a",@progbits
	.p2align	6, 0x0
	.amdhsa_kernel _ZL18rocblas_dot_kernelIiLb1ELi1024ELi32ELb0E19rocblas_complex_numIdEPKS1_S1_EviT5_lT_lS4_lS5_liPT6_PT4_
		.amdhsa_group_segment_fixed_size 512
		.amdhsa_private_segment_fixed_size 0
		.amdhsa_kernarg_size 352
		.amdhsa_user_sgpr_count 2
		.amdhsa_user_sgpr_dispatch_ptr 0
		.amdhsa_user_sgpr_queue_ptr 0
		.amdhsa_user_sgpr_kernarg_segment_ptr 1
		.amdhsa_user_sgpr_dispatch_id 0
		.amdhsa_user_sgpr_kernarg_preload_length 0
		.amdhsa_user_sgpr_kernarg_preload_offset 0
		.amdhsa_user_sgpr_private_segment_size 0
		.amdhsa_wavefront_size32 1
		.amdhsa_uses_dynamic_stack 0
		.amdhsa_enable_private_segment 0
		.amdhsa_system_sgpr_workgroup_id_x 1
		.amdhsa_system_sgpr_workgroup_id_y 0
		.amdhsa_system_sgpr_workgroup_id_z 1
		.amdhsa_system_sgpr_workgroup_info 0
		.amdhsa_system_vgpr_workitem_id 0
		.amdhsa_next_free_vgpr 28
		.amdhsa_next_free_sgpr 32
		.amdhsa_named_barrier_count 0
		.amdhsa_reserve_vcc 1
		.amdhsa_float_round_mode_32 0
		.amdhsa_float_round_mode_16_64 0
		.amdhsa_float_denorm_mode_32 3
		.amdhsa_float_denorm_mode_16_64 3
		.amdhsa_fp16_overflow 0
		.amdhsa_memory_ordered 1
		.amdhsa_forward_progress 1
		.amdhsa_inst_pref_size 11
		.amdhsa_round_robin_scheduling 0
		.amdhsa_exception_fp_ieee_invalid_op 0
		.amdhsa_exception_fp_denorm_src 0
		.amdhsa_exception_fp_ieee_div_zero 0
		.amdhsa_exception_fp_ieee_overflow 0
		.amdhsa_exception_fp_ieee_underflow 0
		.amdhsa_exception_fp_ieee_inexact 0
		.amdhsa_exception_int_div_zero 0
	.end_amdhsa_kernel
	.section	.text._ZL18rocblas_dot_kernelIiLb1ELi1024ELi32ELb0E19rocblas_complex_numIdEPKS1_S1_EviT5_lT_lS4_lS5_liPT6_PT4_,"axG",@progbits,_ZL18rocblas_dot_kernelIiLb1ELi1024ELi32ELb0E19rocblas_complex_numIdEPKS1_S1_EviT5_lT_lS4_lS5_liPT6_PT4_,comdat
.Lfunc_end46:
	.size	_ZL18rocblas_dot_kernelIiLb1ELi1024ELi32ELb0E19rocblas_complex_numIdEPKS1_S1_EviT5_lT_lS4_lS5_liPT6_PT4_, .Lfunc_end46-_ZL18rocblas_dot_kernelIiLb1ELi1024ELi32ELb0E19rocblas_complex_numIdEPKS1_S1_EviT5_lT_lS4_lS5_liPT6_PT4_
                                        ; -- End function
	.set _ZL18rocblas_dot_kernelIiLb1ELi1024ELi32ELb0E19rocblas_complex_numIdEPKS1_S1_EviT5_lT_lS4_lS5_liPT6_PT4_.num_vgpr, 28
	.set _ZL18rocblas_dot_kernelIiLb1ELi1024ELi32ELb0E19rocblas_complex_numIdEPKS1_S1_EviT5_lT_lS4_lS5_liPT6_PT4_.num_agpr, 0
	.set _ZL18rocblas_dot_kernelIiLb1ELi1024ELi32ELb0E19rocblas_complex_numIdEPKS1_S1_EviT5_lT_lS4_lS5_liPT6_PT4_.numbered_sgpr, 32
	.set _ZL18rocblas_dot_kernelIiLb1ELi1024ELi32ELb0E19rocblas_complex_numIdEPKS1_S1_EviT5_lT_lS4_lS5_liPT6_PT4_.num_named_barrier, 0
	.set _ZL18rocblas_dot_kernelIiLb1ELi1024ELi32ELb0E19rocblas_complex_numIdEPKS1_S1_EviT5_lT_lS4_lS5_liPT6_PT4_.private_seg_size, 0
	.set _ZL18rocblas_dot_kernelIiLb1ELi1024ELi32ELb0E19rocblas_complex_numIdEPKS1_S1_EviT5_lT_lS4_lS5_liPT6_PT4_.uses_vcc, 1
	.set _ZL18rocblas_dot_kernelIiLb1ELi1024ELi32ELb0E19rocblas_complex_numIdEPKS1_S1_EviT5_lT_lS4_lS5_liPT6_PT4_.uses_flat_scratch, 0
	.set _ZL18rocblas_dot_kernelIiLb1ELi1024ELi32ELb0E19rocblas_complex_numIdEPKS1_S1_EviT5_lT_lS4_lS5_liPT6_PT4_.has_dyn_sized_stack, 0
	.set _ZL18rocblas_dot_kernelIiLb1ELi1024ELi32ELb0E19rocblas_complex_numIdEPKS1_S1_EviT5_lT_lS4_lS5_liPT6_PT4_.has_recursion, 0
	.set _ZL18rocblas_dot_kernelIiLb1ELi1024ELi32ELb0E19rocblas_complex_numIdEPKS1_S1_EviT5_lT_lS4_lS5_liPT6_PT4_.has_indirect_call, 0
	.section	.AMDGPU.csdata,"",@progbits
; Kernel info:
; codeLenInByte = 1328
; TotalNumSgprs: 34
; NumVgprs: 28
; ScratchSize: 0
; MemoryBound: 0
; FloatMode: 240
; IeeeMode: 1
; LDSByteSize: 512 bytes/workgroup (compile time only)
; SGPRBlocks: 0
; VGPRBlocks: 1
; NumSGPRsForWavesPerEU: 34
; NumVGPRsForWavesPerEU: 28
; NamedBarCnt: 0
; Occupancy: 16
; WaveLimiterHint : 0
; COMPUTE_PGM_RSRC2:SCRATCH_EN: 0
; COMPUTE_PGM_RSRC2:USER_SGPR: 2
; COMPUTE_PGM_RSRC2:TRAP_HANDLER: 0
; COMPUTE_PGM_RSRC2:TGID_X_EN: 1
; COMPUTE_PGM_RSRC2:TGID_Y_EN: 0
; COMPUTE_PGM_RSRC2:TGID_Z_EN: 1
; COMPUTE_PGM_RSRC2:TIDIG_COMP_CNT: 0
	.section	.text._ZL24rocblas_dot_kernel_magsqIiLb1ELi1024ELi32ELb0E19rocblas_complex_numIdEPKS1_S1_EviT5_lT_liPT6_PT4_,"axG",@progbits,_ZL24rocblas_dot_kernel_magsqIiLb1ELi1024ELi32ELb0E19rocblas_complex_numIdEPKS1_S1_EviT5_lT_liPT6_PT4_,comdat
	.globl	_ZL24rocblas_dot_kernel_magsqIiLb1ELi1024ELi32ELb0E19rocblas_complex_numIdEPKS1_S1_EviT5_lT_liPT6_PT4_ ; -- Begin function _ZL24rocblas_dot_kernel_magsqIiLb1ELi1024ELi32ELb0E19rocblas_complex_numIdEPKS1_S1_EviT5_lT_liPT6_PT4_
	.p2align	8
	.type	_ZL24rocblas_dot_kernel_magsqIiLb1ELi1024ELi32ELb0E19rocblas_complex_numIdEPKS1_S1_EviT5_lT_liPT6_PT4_,@function
_ZL24rocblas_dot_kernel_magsqIiLb1ELi1024ELi32ELb0E19rocblas_complex_numIdEPKS1_S1_EviT5_lT_liPT6_PT4_: ; @_ZL24rocblas_dot_kernel_magsqIiLb1ELi1024ELi32ELb0E19rocblas_complex_numIdEPKS1_S1_EviT5_lT_liPT6_PT4_
; %bb.0:
	s_load_b32 s3, s[0:1], 0x28
	s_bfe_u32 s2, ttmp6, 0x40014
	s_lshr_b32 s4, ttmp7, 16
	s_add_co_i32 s2, s2, 1
	s_bfe_u32 s5, ttmp6, 0x40008
	s_mul_i32 s2, s4, s2
	s_getreg_b32 s6, hwreg(HW_REG_IB_STS2, 6, 4)
	s_add_co_i32 s5, s5, s2
	s_cmp_eq_u32 s6, 0
	s_mov_b32 s9, 0
	s_cselect_b32 s8, s4, s5
	s_wait_kmcnt 0x0
	s_cmp_ge_u32 s8, s3
	s_cbranch_scc1 .LBB47_17
; %bb.1:
	v_mbcnt_lo_u32_b32 v3, -1, 0
	s_clause 0x4
	s_load_b32 s16, s[0:1], 0x18
	s_load_b96 s[4:6], s[0:1], 0x38
	s_load_b128 s[12:15], s[0:1], 0x8
	s_load_b64 s[20:21], s[0:1], 0x20
	s_load_b32 s18, s[0:1], 0x0
	v_and_b32_e32 v2, 31, v0
	s_wait_xcnt 0x0
	v_cmp_eq_u32_e64 s1, 0, v0
	v_cmp_gt_u32_e64 s0, 24, v3
	v_lshl_or_b32 v12, v3, 2, 64
	v_cmp_gt_u32_e32 vcc_lo, 32, v0
	s_delay_alu instid0(VALU_DEP_3) | instskip(SKIP_1) | instid1(VALU_DEP_2)
	v_cndmask_b32_e64 v4, 0, 8, s0
	v_cmp_gt_u32_e64 s0, 28, v3
	v_add_lshl_u32 v13, v4, v3, 2
	s_delay_alu instid0(VALU_DEP_2)
	v_cndmask_b32_e64 v5, 0, 4, s0
	v_cmp_gt_u32_e64 s0, 30, v3
	v_lshrrev_b32_e32 v4, 1, v0
	s_wait_kmcnt 0x0
	s_ashr_i32 s17, s16, 31
	s_lshl_b32 s6, s6, 10
	v_cndmask_b32_e64 v6, 0, 2, s0
	v_cmp_ne_u32_e64 s0, 31, v3
	s_lshl_b64 s[10:11], s[14:15], 4
	s_ashr_i32 s7, s6, 31
	v_add_lshl_u32 v14, v5, v3, 2
	v_add_lshl_u32 v15, v6, v3, 2
	v_add_co_ci_u32_e64 v7, null, 0, v3, s0
	v_lshlrev_b32_e32 v1, 4, v2
	v_cmp_eq_u32_e64 s0, 0, v2
	v_and_b32_e32 v17, 0x1f0, v4
	s_delay_alu instid0(VALU_DEP_4)
	v_dual_lshlrev_b32 v16, 2, v7 :: v_dual_mov_b32 v2, 0
	s_add_nc_u64 s[10:11], s[12:13], s[10:11]
	s_lshl_b64 s[12:13], s[16:17], 4
	s_mul_u64 s[16:17], s[16:17], s[6:7]
	s_lshl_b64 s[14:15], s[20:21], 4
	s_lshl_b64 s[16:17], s[16:17], 4
	s_branch .LBB47_3
.LBB47_2:                               ;   in Loop: Header=BB47_3 Depth=1
	s_wait_xcnt 0x0
	s_or_b32 exec_lo, exec_lo, s2
	s_add_co_i32 s8, s8, 0x10000
	s_delay_alu instid0(SALU_CYCLE_1)
	s_cmp_lt_u32 s8, s3
	s_cbranch_scc0 .LBB47_17
.LBB47_3:                               ; =>This Loop Header: Depth=1
                                        ;     Child Loop BB47_5 Depth 2
	s_wait_dscnt 0x0
	v_mov_b64_e32 v[6:7], 0
	v_mov_b64_e32 v[8:9], 0
	s_mov_b32 s7, exec_lo
	v_cmpx_gt_i32_e64 s18, v0
	s_cbranch_execz .LBB47_7
; %bb.4:                                ;   in Loop: Header=BB47_3 Depth=1
	s_mul_u64 s[20:21], s[14:15], s[8:9]
	v_mov_b64_e32 v[6:7], 0
	s_add_nc_u64 s[20:21], s[10:11], s[20:21]
	v_mov_b64_e32 v[8:9], 0
	v_mad_nc_u64_u32 v[4:5], s12, v0, s[20:21]
	s_mov_b32 s19, 0
	s_mov_b32 s20, 0
	s_delay_alu instid0(VALU_DEP_1) | instskip(SKIP_1) | instid1(VALU_DEP_1)
	v_mad_u32 v3, s13, v0, v5
	v_ashrrev_i32_e32 v5, 31, v0
	v_mad_u32 v5, s12, v5, v3
.LBB47_5:                               ;   Parent Loop BB47_3 Depth=1
                                        ; =>  This Inner Loop Header: Depth=2
	global_load_b128 v[18:21], v[4:5], off
	s_add_co_i32 s21, s20, 1
	s_cmp_gt_u32 s20, 30
	s_wait_xcnt 0x0
	v_add_nc_u64_e32 v[4:5], s[16:17], v[4:5]
	s_cselect_b32 s20, -1, 0
	v_add_nc_u32_e32 v0, s6, v0
	s_delay_alu instid0(VALU_DEP_1) | instskip(SKIP_3) | instid1(SALU_CYCLE_1)
	v_cmp_le_i32_e64 s2, s18, v0
	s_or_b32 s2, s20, s2
	s_mov_b32 s20, s21
	s_and_b32 s2, exec_lo, s2
	s_or_b32 s19, s2, s19
	s_wait_loadcnt 0x0
	v_mul_f64_e32 v[10:11], v[20:21], v[20:21]
	v_mul_f64_e32 v[20:21], v[18:19], v[20:21]
	s_delay_alu instid0(VALU_DEP_2) | instskip(NEXT) | instid1(VALU_DEP_2)
	v_fma_f64 v[10:11], v[18:19], v[18:19], -v[10:11]
	v_fmac_f64_e32 v[6:7], 2.0, v[20:21]
	s_delay_alu instid0(VALU_DEP_2)
	v_add_f64_e32 v[8:9], v[8:9], v[10:11]
	s_and_not1_b32 exec_lo, exec_lo, s19
	s_cbranch_execnz .LBB47_5
; %bb.6:                                ;   in Loop: Header=BB47_3 Depth=1
	s_or_b32 exec_lo, exec_lo, s19
.LBB47_7:                               ;   in Loop: Header=BB47_3 Depth=1
	s_delay_alu instid0(SALU_CYCLE_1)
	s_or_b32 exec_lo, exec_lo, s7
	s_and_saveexec_b32 s2, vcc_lo
; %bb.8:                                ;   in Loop: Header=BB47_3 Depth=1
	v_dual_mov_b32 v3, v2 :: v_dual_mov_b32 v4, v2
	v_mov_b32_e32 v5, v2
	ds_store_b128 v1, v[2:5]
; %bb.9:                                ;   in Loop: Header=BB47_3 Depth=1
	s_or_b32 exec_lo, exec_lo, s2
	ds_bpermute_b32 v4, v12, v8
	ds_bpermute_b32 v5, v12, v9
	;; [unrolled: 1-line block ×4, first 2 shown]
	s_wait_dscnt 0x0
	s_barrier_signal -1
	s_barrier_wait -1
	v_add_f64_e32 v[4:5], v[8:9], v[4:5]
	v_add_f64_e32 v[6:7], v[6:7], v[10:11]
	ds_bpermute_b32 v8, v13, v4
	ds_bpermute_b32 v9, v13, v5
	ds_bpermute_b32 v10, v13, v6
	ds_bpermute_b32 v11, v13, v7
	s_wait_dscnt 0x2
	v_add_f64_e32 v[4:5], v[4:5], v[8:9]
	s_wait_dscnt 0x0
	v_add_f64_e32 v[6:7], v[6:7], v[10:11]
	ds_bpermute_b32 v8, v14, v4
	ds_bpermute_b32 v9, v14, v5
	ds_bpermute_b32 v10, v14, v6
	ds_bpermute_b32 v11, v14, v7
	s_wait_dscnt 0x2
	v_add_f64_e32 v[4:5], v[4:5], v[8:9]
	s_wait_dscnt 0x0
	;; [unrolled: 8-line block ×3, first 2 shown]
	v_add_f64_e32 v[8:9], v[6:7], v[10:11]
	ds_bpermute_b32 v6, v16, v4
	ds_bpermute_b32 v7, v16, v5
	ds_bpermute_b32 v10, v16, v8
	ds_bpermute_b32 v11, v16, v9
	s_and_saveexec_b32 s2, s0
	s_cbranch_execz .LBB47_11
; %bb.10:                               ;   in Loop: Header=BB47_3 Depth=1
	s_wait_dscnt 0x0
	v_add_f64_e32 v[8:9], v[8:9], v[10:11]
	v_add_f64_e32 v[6:7], v[4:5], v[6:7]
	ds_store_b128 v17, v[6:9]
.LBB47_11:                              ;   in Loop: Header=BB47_3 Depth=1
	s_or_b32 exec_lo, exec_lo, s2
	s_wait_dscnt 0x2
	v_mov_b64_e32 v[6:7], 0
	v_mov_b64_e32 v[4:5], 0
	s_wait_dscnt 0x0
	s_barrier_signal -1
	s_barrier_wait -1
	s_and_saveexec_b32 s2, vcc_lo
	s_cbranch_execnz .LBB47_14
; %bb.12:                               ;   in Loop: Header=BB47_3 Depth=1
	s_or_b32 exec_lo, exec_lo, s2
	s_and_saveexec_b32 s2, vcc_lo
	s_cbranch_execnz .LBB47_15
.LBB47_13:                              ;   in Loop: Header=BB47_3 Depth=1
	s_or_b32 exec_lo, exec_lo, s2
	s_and_saveexec_b32 s2, s1
	s_cbranch_execz .LBB47_2
	s_branch .LBB47_16
.LBB47_14:                              ;   in Loop: Header=BB47_3 Depth=1
	ds_load_b128 v[4:7], v1
	s_or_b32 exec_lo, exec_lo, s2
	s_and_saveexec_b32 s2, vcc_lo
	s_cbranch_execz .LBB47_13
.LBB47_15:                              ;   in Loop: Header=BB47_3 Depth=1
	s_wait_dscnt 0x0
	ds_bpermute_b32 v8, v12, v4
	ds_bpermute_b32 v9, v12, v5
	ds_bpermute_b32 v10, v12, v6
	ds_bpermute_b32 v11, v12, v7
	s_wait_dscnt 0x2
	v_add_f64_e32 v[4:5], v[4:5], v[8:9]
	s_wait_dscnt 0x0
	v_add_f64_e32 v[6:7], v[6:7], v[10:11]
	ds_bpermute_b32 v8, v13, v4
	ds_bpermute_b32 v9, v13, v5
	ds_bpermute_b32 v10, v13, v6
	ds_bpermute_b32 v11, v13, v7
	s_wait_dscnt 0x2
	v_add_f64_e32 v[4:5], v[4:5], v[8:9]
	s_wait_dscnt 0x0
	v_add_f64_e32 v[6:7], v[6:7], v[10:11]
	;; [unrolled: 8-line block ×5, first 2 shown]
	s_or_b32 exec_lo, exec_lo, s2
	s_and_saveexec_b32 s2, s1
	s_cbranch_execz .LBB47_2
.LBB47_16:                              ;   in Loop: Header=BB47_3 Depth=1
	s_lshl_b64 s[20:21], s[8:9], 4
	s_delay_alu instid0(SALU_CYCLE_1)
	s_add_nc_u64 s[20:21], s[4:5], s[20:21]
	s_wait_dscnt 0x0
	global_store_b128 v2, v[4:7], s[20:21]
	s_branch .LBB47_2
.LBB47_17:
	s_endpgm
	.section	.rodata,"a",@progbits
	.p2align	6, 0x0
	.amdhsa_kernel _ZL24rocblas_dot_kernel_magsqIiLb1ELi1024ELi32ELb0E19rocblas_complex_numIdEPKS1_S1_EviT5_lT_liPT6_PT4_
		.amdhsa_group_segment_fixed_size 512
		.amdhsa_private_segment_fixed_size 0
		.amdhsa_kernarg_size 320
		.amdhsa_user_sgpr_count 2
		.amdhsa_user_sgpr_dispatch_ptr 0
		.amdhsa_user_sgpr_queue_ptr 0
		.amdhsa_user_sgpr_kernarg_segment_ptr 1
		.amdhsa_user_sgpr_dispatch_id 0
		.amdhsa_user_sgpr_kernarg_preload_length 0
		.amdhsa_user_sgpr_kernarg_preload_offset 0
		.amdhsa_user_sgpr_private_segment_size 0
		.amdhsa_wavefront_size32 1
		.amdhsa_uses_dynamic_stack 0
		.amdhsa_enable_private_segment 0
		.amdhsa_system_sgpr_workgroup_id_x 1
		.amdhsa_system_sgpr_workgroup_id_y 0
		.amdhsa_system_sgpr_workgroup_id_z 1
		.amdhsa_system_sgpr_workgroup_info 0
		.amdhsa_system_vgpr_workitem_id 0
		.amdhsa_next_free_vgpr 22
		.amdhsa_next_free_sgpr 22
		.amdhsa_named_barrier_count 0
		.amdhsa_reserve_vcc 1
		.amdhsa_float_round_mode_32 0
		.amdhsa_float_round_mode_16_64 0
		.amdhsa_float_denorm_mode_32 3
		.amdhsa_float_denorm_mode_16_64 3
		.amdhsa_fp16_overflow 0
		.amdhsa_memory_ordered 1
		.amdhsa_forward_progress 1
		.amdhsa_inst_pref_size 10
		.amdhsa_round_robin_scheduling 0
		.amdhsa_exception_fp_ieee_invalid_op 0
		.amdhsa_exception_fp_denorm_src 0
		.amdhsa_exception_fp_ieee_div_zero 0
		.amdhsa_exception_fp_ieee_overflow 0
		.amdhsa_exception_fp_ieee_underflow 0
		.amdhsa_exception_fp_ieee_inexact 0
		.amdhsa_exception_int_div_zero 0
	.end_amdhsa_kernel
	.section	.text._ZL24rocblas_dot_kernel_magsqIiLb1ELi1024ELi32ELb0E19rocblas_complex_numIdEPKS1_S1_EviT5_lT_liPT6_PT4_,"axG",@progbits,_ZL24rocblas_dot_kernel_magsqIiLb1ELi1024ELi32ELb0E19rocblas_complex_numIdEPKS1_S1_EviT5_lT_liPT6_PT4_,comdat
.Lfunc_end47:
	.size	_ZL24rocblas_dot_kernel_magsqIiLb1ELi1024ELi32ELb0E19rocblas_complex_numIdEPKS1_S1_EviT5_lT_liPT6_PT4_, .Lfunc_end47-_ZL24rocblas_dot_kernel_magsqIiLb1ELi1024ELi32ELb0E19rocblas_complex_numIdEPKS1_S1_EviT5_lT_liPT6_PT4_
                                        ; -- End function
	.set _ZL24rocblas_dot_kernel_magsqIiLb1ELi1024ELi32ELb0E19rocblas_complex_numIdEPKS1_S1_EviT5_lT_liPT6_PT4_.num_vgpr, 22
	.set _ZL24rocblas_dot_kernel_magsqIiLb1ELi1024ELi32ELb0E19rocblas_complex_numIdEPKS1_S1_EviT5_lT_liPT6_PT4_.num_agpr, 0
	.set _ZL24rocblas_dot_kernel_magsqIiLb1ELi1024ELi32ELb0E19rocblas_complex_numIdEPKS1_S1_EviT5_lT_liPT6_PT4_.numbered_sgpr, 22
	.set _ZL24rocblas_dot_kernel_magsqIiLb1ELi1024ELi32ELb0E19rocblas_complex_numIdEPKS1_S1_EviT5_lT_liPT6_PT4_.num_named_barrier, 0
	.set _ZL24rocblas_dot_kernel_magsqIiLb1ELi1024ELi32ELb0E19rocblas_complex_numIdEPKS1_S1_EviT5_lT_liPT6_PT4_.private_seg_size, 0
	.set _ZL24rocblas_dot_kernel_magsqIiLb1ELi1024ELi32ELb0E19rocblas_complex_numIdEPKS1_S1_EviT5_lT_liPT6_PT4_.uses_vcc, 1
	.set _ZL24rocblas_dot_kernel_magsqIiLb1ELi1024ELi32ELb0E19rocblas_complex_numIdEPKS1_S1_EviT5_lT_liPT6_PT4_.uses_flat_scratch, 0
	.set _ZL24rocblas_dot_kernel_magsqIiLb1ELi1024ELi32ELb0E19rocblas_complex_numIdEPKS1_S1_EviT5_lT_liPT6_PT4_.has_dyn_sized_stack, 0
	.set _ZL24rocblas_dot_kernel_magsqIiLb1ELi1024ELi32ELb0E19rocblas_complex_numIdEPKS1_S1_EviT5_lT_liPT6_PT4_.has_recursion, 0
	.set _ZL24rocblas_dot_kernel_magsqIiLb1ELi1024ELi32ELb0E19rocblas_complex_numIdEPKS1_S1_EviT5_lT_liPT6_PT4_.has_indirect_call, 0
	.section	.AMDGPU.csdata,"",@progbits
; Kernel info:
; codeLenInByte = 1220
; TotalNumSgprs: 24
; NumVgprs: 22
; ScratchSize: 0
; MemoryBound: 0
; FloatMode: 240
; IeeeMode: 1
; LDSByteSize: 512 bytes/workgroup (compile time only)
; SGPRBlocks: 0
; VGPRBlocks: 1
; NumSGPRsForWavesPerEU: 24
; NumVGPRsForWavesPerEU: 22
; NamedBarCnt: 0
; Occupancy: 16
; WaveLimiterHint : 0
; COMPUTE_PGM_RSRC2:SCRATCH_EN: 0
; COMPUTE_PGM_RSRC2:USER_SGPR: 2
; COMPUTE_PGM_RSRC2:TRAP_HANDLER: 0
; COMPUTE_PGM_RSRC2:TGID_X_EN: 1
; COMPUTE_PGM_RSRC2:TGID_Y_EN: 0
; COMPUTE_PGM_RSRC2:TGID_Z_EN: 1
; COMPUTE_PGM_RSRC2:TIDIG_COMP_CNT: 0
	.section	.text._ZL38rocblas_dot_kernel_gfx942_float_doubleIiLi1024E19rocblas_complex_numIdEPKS1_S1_EviT2_lT_lS4_lS5_lPT3_PT1_,"axG",@progbits,_ZL38rocblas_dot_kernel_gfx942_float_doubleIiLi1024E19rocblas_complex_numIdEPKS1_S1_EviT2_lT_lS4_lS5_lPT3_PT1_,comdat
	.globl	_ZL38rocblas_dot_kernel_gfx942_float_doubleIiLi1024E19rocblas_complex_numIdEPKS1_S1_EviT2_lT_lS4_lS5_lPT3_PT1_ ; -- Begin function _ZL38rocblas_dot_kernel_gfx942_float_doubleIiLi1024E19rocblas_complex_numIdEPKS1_S1_EviT2_lT_lS4_lS5_lPT3_PT1_
	.p2align	8
	.type	_ZL38rocblas_dot_kernel_gfx942_float_doubleIiLi1024E19rocblas_complex_numIdEPKS1_S1_EviT2_lT_lS4_lS5_lPT3_PT1_,@function
_ZL38rocblas_dot_kernel_gfx942_float_doubleIiLi1024E19rocblas_complex_numIdEPKS1_S1_EviT2_lT_lS4_lS5_lPT3_PT1_: ; @_ZL38rocblas_dot_kernel_gfx942_float_doubleIiLi1024E19rocblas_complex_numIdEPKS1_S1_EviT2_lT_lS4_lS5_lPT3_PT1_
; %bb.0:
	s_endpgm
	.section	.rodata,"a",@progbits
	.p2align	6, 0x0
	.amdhsa_kernel _ZL38rocblas_dot_kernel_gfx942_float_doubleIiLi1024E19rocblas_complex_numIdEPKS1_S1_EviT2_lT_lS4_lS5_lPT3_PT1_
		.amdhsa_group_segment_fixed_size 0
		.amdhsa_private_segment_fixed_size 0
		.amdhsa_kernarg_size 88
		.amdhsa_user_sgpr_count 2
		.amdhsa_user_sgpr_dispatch_ptr 0
		.amdhsa_user_sgpr_queue_ptr 0
		.amdhsa_user_sgpr_kernarg_segment_ptr 1
		.amdhsa_user_sgpr_dispatch_id 0
		.amdhsa_user_sgpr_kernarg_preload_length 0
		.amdhsa_user_sgpr_kernarg_preload_offset 0
		.amdhsa_user_sgpr_private_segment_size 0
		.amdhsa_wavefront_size32 1
		.amdhsa_uses_dynamic_stack 0
		.amdhsa_enable_private_segment 0
		.amdhsa_system_sgpr_workgroup_id_x 1
		.amdhsa_system_sgpr_workgroup_id_y 0
		.amdhsa_system_sgpr_workgroup_id_z 0
		.amdhsa_system_sgpr_workgroup_info 0
		.amdhsa_system_vgpr_workitem_id 0
		.amdhsa_next_free_vgpr 1
		.amdhsa_next_free_sgpr 1
		.amdhsa_named_barrier_count 0
		.amdhsa_reserve_vcc 0
		.amdhsa_float_round_mode_32 0
		.amdhsa_float_round_mode_16_64 0
		.amdhsa_float_denorm_mode_32 3
		.amdhsa_float_denorm_mode_16_64 3
		.amdhsa_fp16_overflow 0
		.amdhsa_memory_ordered 1
		.amdhsa_forward_progress 1
		.amdhsa_inst_pref_size 1
		.amdhsa_round_robin_scheduling 0
		.amdhsa_exception_fp_ieee_invalid_op 0
		.amdhsa_exception_fp_denorm_src 0
		.amdhsa_exception_fp_ieee_div_zero 0
		.amdhsa_exception_fp_ieee_overflow 0
		.amdhsa_exception_fp_ieee_underflow 0
		.amdhsa_exception_fp_ieee_inexact 0
		.amdhsa_exception_int_div_zero 0
	.end_amdhsa_kernel
	.section	.text._ZL38rocblas_dot_kernel_gfx942_float_doubleIiLi1024E19rocblas_complex_numIdEPKS1_S1_EviT2_lT_lS4_lS5_lPT3_PT1_,"axG",@progbits,_ZL38rocblas_dot_kernel_gfx942_float_doubleIiLi1024E19rocblas_complex_numIdEPKS1_S1_EviT2_lT_lS4_lS5_lPT3_PT1_,comdat
.Lfunc_end48:
	.size	_ZL38rocblas_dot_kernel_gfx942_float_doubleIiLi1024E19rocblas_complex_numIdEPKS1_S1_EviT2_lT_lS4_lS5_lPT3_PT1_, .Lfunc_end48-_ZL38rocblas_dot_kernel_gfx942_float_doubleIiLi1024E19rocblas_complex_numIdEPKS1_S1_EviT2_lT_lS4_lS5_lPT3_PT1_
                                        ; -- End function
	.set _ZL38rocblas_dot_kernel_gfx942_float_doubleIiLi1024E19rocblas_complex_numIdEPKS1_S1_EviT2_lT_lS4_lS5_lPT3_PT1_.num_vgpr, 0
	.set _ZL38rocblas_dot_kernel_gfx942_float_doubleIiLi1024E19rocblas_complex_numIdEPKS1_S1_EviT2_lT_lS4_lS5_lPT3_PT1_.num_agpr, 0
	.set _ZL38rocblas_dot_kernel_gfx942_float_doubleIiLi1024E19rocblas_complex_numIdEPKS1_S1_EviT2_lT_lS4_lS5_lPT3_PT1_.numbered_sgpr, 0
	.set _ZL38rocblas_dot_kernel_gfx942_float_doubleIiLi1024E19rocblas_complex_numIdEPKS1_S1_EviT2_lT_lS4_lS5_lPT3_PT1_.num_named_barrier, 0
	.set _ZL38rocblas_dot_kernel_gfx942_float_doubleIiLi1024E19rocblas_complex_numIdEPKS1_S1_EviT2_lT_lS4_lS5_lPT3_PT1_.private_seg_size, 0
	.set _ZL38rocblas_dot_kernel_gfx942_float_doubleIiLi1024E19rocblas_complex_numIdEPKS1_S1_EviT2_lT_lS4_lS5_lPT3_PT1_.uses_vcc, 0
	.set _ZL38rocblas_dot_kernel_gfx942_float_doubleIiLi1024E19rocblas_complex_numIdEPKS1_S1_EviT2_lT_lS4_lS5_lPT3_PT1_.uses_flat_scratch, 0
	.set _ZL38rocblas_dot_kernel_gfx942_float_doubleIiLi1024E19rocblas_complex_numIdEPKS1_S1_EviT2_lT_lS4_lS5_lPT3_PT1_.has_dyn_sized_stack, 0
	.set _ZL38rocblas_dot_kernel_gfx942_float_doubleIiLi1024E19rocblas_complex_numIdEPKS1_S1_EviT2_lT_lS4_lS5_lPT3_PT1_.has_recursion, 0
	.set _ZL38rocblas_dot_kernel_gfx942_float_doubleIiLi1024E19rocblas_complex_numIdEPKS1_S1_EviT2_lT_lS4_lS5_lPT3_PT1_.has_indirect_call, 0
	.section	.AMDGPU.csdata,"",@progbits
; Kernel info:
; codeLenInByte = 4
; TotalNumSgprs: 0
; NumVgprs: 0
; ScratchSize: 0
; MemoryBound: 0
; FloatMode: 240
; IeeeMode: 1
; LDSByteSize: 0 bytes/workgroup (compile time only)
; SGPRBlocks: 0
; VGPRBlocks: 0
; NumSGPRsForWavesPerEU: 1
; NumVGPRsForWavesPerEU: 1
; NamedBarCnt: 0
; Occupancy: 16
; WaveLimiterHint : 0
; COMPUTE_PGM_RSRC2:SCRATCH_EN: 0
; COMPUTE_PGM_RSRC2:USER_SGPR: 2
; COMPUTE_PGM_RSRC2:TRAP_HANDLER: 0
; COMPUTE_PGM_RSRC2:TGID_X_EN: 1
; COMPUTE_PGM_RSRC2:TGID_Y_EN: 0
; COMPUTE_PGM_RSRC2:TGID_Z_EN: 0
; COMPUTE_PGM_RSRC2:TIDIG_COMP_CNT: 0
	.section	.text._ZL30rocblas_reduction_kernel_part2ILi1024ELi4E25rocblas_finalize_identity19rocblas_complex_numIdES2_EviPT2_PT3_,"axG",@progbits,_ZL30rocblas_reduction_kernel_part2ILi1024ELi4E25rocblas_finalize_identity19rocblas_complex_numIdES2_EviPT2_PT3_,comdat
	.globl	_ZL30rocblas_reduction_kernel_part2ILi1024ELi4E25rocblas_finalize_identity19rocblas_complex_numIdES2_EviPT2_PT3_ ; -- Begin function _ZL30rocblas_reduction_kernel_part2ILi1024ELi4E25rocblas_finalize_identity19rocblas_complex_numIdES2_EviPT2_PT3_
	.p2align	8
	.type	_ZL30rocblas_reduction_kernel_part2ILi1024ELi4E25rocblas_finalize_identity19rocblas_complex_numIdES2_EviPT2_PT3_,@function
_ZL30rocblas_reduction_kernel_part2ILi1024ELi4E25rocblas_finalize_identity19rocblas_complex_numIdES2_EviPT2_PT3_: ; @_ZL30rocblas_reduction_kernel_part2ILi1024ELi4E25rocblas_finalize_identity19rocblas_complex_numIdES2_EviPT2_PT3_
; %bb.0:
	s_clause 0x1
	s_load_b32 s6, s[0:1], 0x0
	s_load_b64 s[8:9], s[0:1], 0x8
	s_bfe_u32 s2, ttmp6, 0x4000c
	s_and_b32 s3, ttmp6, 15
	s_add_co_i32 s2, s2, 1
	s_getreg_b32 s4, hwreg(HW_REG_IB_STS2, 6, 4)
	s_mul_i32 s2, ttmp9, s2
	v_mov_b64_e32 v[2:3], 0
	s_add_co_i32 s3, s3, s2
	v_mov_b64_e32 v[4:5], 0
	v_lshlrev_b32_e32 v1, 2, v0
	s_wait_kmcnt 0x0
	s_ashr_i32 s7, s6, 31
	s_cmp_eq_u32 s4, 0
	s_mov_b32 s4, exec_lo
	s_cselect_b32 s2, ttmp9, s3
	s_lshr_b32 s3, s7, 30
	s_delay_alu instid0(SALU_CYCLE_1) | instskip(NEXT) | instid1(SALU_CYCLE_1)
	s_add_co_i32 s3, s6, s3
	s_and_b32 s12, s3, -4
	s_mov_b32 s3, 0
	s_delay_alu instid0(SALU_CYCLE_1)
	s_mul_u64 s[10:11], s[6:7], s[2:3]
	v_cmpx_gt_i32_e64 s12, v1
	s_cbranch_execz .LBB49_4
; %bb.1:
	v_dual_mov_b32 v3, 0 :: v_dual_lshlrev_b32 v2, 6, v0
	s_lshl_b64 s[14:15], s[10:11], 4
	s_mov_b32 s5, s3
	s_add_nc_u64 s[14:15], s[8:9], s[14:15]
	s_delay_alu instid0(VALU_DEP_1) | instid1(SALU_CYCLE_1)
	v_add_nc_u64_e32 v[4:5], s[14:15], v[2:3]
	v_mov_b64_e32 v[2:3], 0
	s_delay_alu instid0(VALU_DEP_2)
	v_add_nc_u64_e32 v[6:7], 56, v[4:5]
	v_mov_b64_e32 v[4:5], 0
.LBB49_2:                               ; =>This Inner Loop Header: Depth=1
	s_clause 0x3
	global_load_b128 v[8:11], v[6:7], off offset:-56
	global_load_b128 v[12:15], v[6:7], off offset:-40
	;; [unrolled: 1-line block ×4, first 2 shown]
	v_add_nc_u32_e32 v1, 0x1000, v1
	s_wait_xcnt 0x0
	v_add_nc_u64_e32 v[6:7], 0x10000, v[6:7]
	s_delay_alu instid0(VALU_DEP_2)
	v_cmp_le_i32_e32 vcc_lo, s12, v1
	s_or_b32 s5, vcc_lo, s5
	s_wait_loadcnt 0x3
	v_add_f64_e32 v[4:5], v[4:5], v[8:9]
	v_add_f64_e32 v[2:3], v[2:3], v[10:11]
	s_wait_loadcnt 0x2
	s_delay_alu instid0(VALU_DEP_2) | instskip(NEXT) | instid1(VALU_DEP_2)
	v_add_f64_e32 v[4:5], v[4:5], v[12:13]
	v_add_f64_e32 v[2:3], v[2:3], v[14:15]
	s_wait_loadcnt 0x1
	s_delay_alu instid0(VALU_DEP_2) | instskip(NEXT) | instid1(VALU_DEP_2)
	;; [unrolled: 4-line block ×3, first 2 shown]
	v_add_f64_e32 v[4:5], v[4:5], v[20:21]
	v_add_f64_e32 v[2:3], v[2:3], v[22:23]
	s_and_not1_b32 exec_lo, exec_lo, s5
	s_cbranch_execnz .LBB49_2
; %bb.3:
	s_or_b32 exec_lo, exec_lo, s5
.LBB49_4:
	s_delay_alu instid0(SALU_CYCLE_1) | instskip(SKIP_3) | instid1(SALU_CYCLE_1)
	s_or_b32 exec_lo, exec_lo, s4
	s_load_b64 s[4:5], s[0:1], 0x10
	s_wait_xcnt 0x0
	s_sub_co_i32 s0, s6, s12
	v_cmp_gt_u32_e32 vcc_lo, s0, v0
	s_and_saveexec_b32 s0, vcc_lo
	s_cbranch_execz .LBB49_6
; %bb.5:
	v_xad_u32 v1, v0, -1, s6
	s_lshl_b64 s[6:7], s[10:11], 4
	s_delay_alu instid0(SALU_CYCLE_1)
	s_add_nc_u64 s[6:7], s[8:9], s[6:7]
	global_load_b128 v[6:9], v1, s[6:7] scale_offset
	s_wait_loadcnt 0x0
	v_add_f64_e32 v[4:5], v[4:5], v[6:7]
	v_add_f64_e32 v[2:3], v[2:3], v[8:9]
.LBB49_6:
	s_or_b32 exec_lo, exec_lo, s0
	v_and_b32_e32 v15, 31, v0
	v_cmp_gt_u32_e32 vcc_lo, 32, v0
	s_delay_alu instid0(VALU_DEP_2)
	v_lshlrev_b32_e32 v12, 4, v15
	s_and_saveexec_b32 s0, vcc_lo
	s_cbranch_execz .LBB49_8
; %bb.7:
	v_mov_b32_e32 v6, 0
	s_delay_alu instid0(VALU_DEP_1)
	v_dual_mov_b32 v7, v6 :: v_dual_mov_b32 v8, v6
	v_mov_b32_e32 v9, v6
	ds_store_b128 v12, v[6:9]
.LBB49_8:
	s_or_b32 exec_lo, exec_lo, s0
	v_mbcnt_lo_u32_b32 v14, -1, 0
	s_mov_b32 s1, exec_lo
	s_wait_dscnt 0x0
	s_barrier_signal -1
	s_barrier_wait -1
	v_lshl_or_b32 v1, v14, 2, 64
	v_cmp_gt_u32_e64 s0, 24, v14
	ds_bpermute_b32 v6, v1, v4
	ds_bpermute_b32 v7, v1, v5
	;; [unrolled: 1-line block ×4, first 2 shown]
	s_wait_dscnt 0x2
	v_add_f64_e32 v[4:5], v[4:5], v[6:7]
	v_cndmask_b32_e64 v6, 0, 8, s0
	s_wait_dscnt 0x0
	v_add_f64_e32 v[2:3], v[2:3], v[8:9]
	v_cmp_gt_u32_e64 s0, 28, v14
	s_delay_alu instid0(VALU_DEP_3)
	v_add_lshl_u32 v10, v6, v14, 2
	ds_bpermute_b32 v6, v10, v4
	ds_bpermute_b32 v7, v10, v5
	;; [unrolled: 1-line block ×4, first 2 shown]
	s_wait_dscnt 0x2
	v_add_f64_e32 v[4:5], v[4:5], v[6:7]
	v_cndmask_b32_e64 v6, 0, 4, s0
	s_wait_dscnt 0x0
	v_add_f64_e32 v[2:3], v[2:3], v[8:9]
	v_cmp_gt_u32_e64 s0, 30, v14
	s_delay_alu instid0(VALU_DEP_3)
	v_add_lshl_u32 v11, v6, v14, 2
	ds_bpermute_b32 v6, v11, v4
	ds_bpermute_b32 v7, v11, v5
	;; [unrolled: 1-line block ×4, first 2 shown]
	s_wait_dscnt 0x2
	v_add_f64_e32 v[4:5], v[4:5], v[6:7]
	s_wait_dscnt 0x0
	v_add_f64_e32 v[6:7], v[2:3], v[8:9]
	v_cndmask_b32_e64 v2, 0, 2, s0
	v_cmp_ne_u32_e64 s0, 31, v14
	s_delay_alu instid0(VALU_DEP_2)
	v_add_lshl_u32 v13, v2, v14, 2
	ds_bpermute_b32 v2, v13, v4
	ds_bpermute_b32 v3, v13, v5
	;; [unrolled: 1-line block ×4, first 2 shown]
	s_wait_dscnt 0x2
	v_add_f64_e32 v[2:3], v[4:5], v[2:3]
	s_wait_dscnt 0x0
	v_add_f64_e32 v[4:5], v[6:7], v[8:9]
	v_add_co_ci_u32_e64 v6, null, 0, v14, s0
	s_delay_alu instid0(VALU_DEP_1)
	v_lshlrev_b32_e32 v14, 2, v6
	ds_bpermute_b32 v6, v14, v2
	ds_bpermute_b32 v7, v14, v3
	;; [unrolled: 1-line block ×4, first 2 shown]
	v_cmpx_eq_u32_e32 0, v15
	s_cbranch_execz .LBB49_10
; %bb.9:
	s_wait_dscnt 0x0
	v_add_f64_e32 v[4:5], v[4:5], v[8:9]
	v_dual_add_f64 v[2:3], v[2:3], v[6:7] :: v_dual_lshrrev_b32 v6, 1, v0
	s_delay_alu instid0(VALU_DEP_1)
	v_and_b32_e32 v6, 0x1f0, v6
	ds_store_b128 v6, v[2:5]
.LBB49_10:
	s_or_b32 exec_lo, exec_lo, s1
	v_mov_b64_e32 v[4:5], 0
	v_mov_b64_e32 v[2:3], 0
	s_wait_dscnt 0x0
	s_barrier_signal -1
	s_barrier_wait -1
	s_and_saveexec_b32 s0, vcc_lo
; %bb.11:
	ds_load_b128 v[2:5], v12
; %bb.12:
	s_or_b32 exec_lo, exec_lo, s0
	s_and_saveexec_b32 s0, vcc_lo
	s_cbranch_execz .LBB49_14
; %bb.13:
	s_wait_dscnt 0x0
	ds_bpermute_b32 v6, v1, v2
	ds_bpermute_b32 v7, v1, v3
	ds_bpermute_b32 v8, v1, v4
	ds_bpermute_b32 v9, v1, v5
	s_wait_dscnt 0x2
	v_add_f64_e32 v[2:3], v[2:3], v[6:7]
	s_wait_dscnt 0x0
	v_add_f64_e32 v[4:5], v[4:5], v[8:9]
	ds_bpermute_b32 v6, v10, v2
	ds_bpermute_b32 v7, v10, v3
	ds_bpermute_b32 v8, v10, v4
	ds_bpermute_b32 v9, v10, v5
	s_wait_dscnt 0x2
	v_add_f64_e32 v[2:3], v[2:3], v[6:7]
	s_wait_dscnt 0x0
	v_add_f64_e32 v[4:5], v[4:5], v[8:9]
	;; [unrolled: 8-line block ×5, first 2 shown]
.LBB49_14:
	s_or_b32 exec_lo, exec_lo, s0
	s_delay_alu instid0(SALU_CYCLE_1)
	s_mov_b32 s0, exec_lo
	v_cmpx_eq_u32_e32 0, v0
	s_cbranch_execz .LBB49_16
; %bb.15:
	v_mov_b32_e32 v0, 0
	s_lshl_b64 s[0:1], s[2:3], 4
	s_wait_kmcnt 0x0
	s_add_nc_u64 s[0:1], s[4:5], s[0:1]
	s_wait_dscnt 0x0
	global_store_b128 v0, v[2:5], s[0:1]
.LBB49_16:
	s_endpgm
	.section	.rodata,"a",@progbits
	.p2align	6, 0x0
	.amdhsa_kernel _ZL30rocblas_reduction_kernel_part2ILi1024ELi4E25rocblas_finalize_identity19rocblas_complex_numIdES2_EviPT2_PT3_
		.amdhsa_group_segment_fixed_size 512
		.amdhsa_private_segment_fixed_size 0
		.amdhsa_kernarg_size 24
		.amdhsa_user_sgpr_count 2
		.amdhsa_user_sgpr_dispatch_ptr 0
		.amdhsa_user_sgpr_queue_ptr 0
		.amdhsa_user_sgpr_kernarg_segment_ptr 1
		.amdhsa_user_sgpr_dispatch_id 0
		.amdhsa_user_sgpr_kernarg_preload_length 0
		.amdhsa_user_sgpr_kernarg_preload_offset 0
		.amdhsa_user_sgpr_private_segment_size 0
		.amdhsa_wavefront_size32 1
		.amdhsa_uses_dynamic_stack 0
		.amdhsa_enable_private_segment 0
		.amdhsa_system_sgpr_workgroup_id_x 1
		.amdhsa_system_sgpr_workgroup_id_y 0
		.amdhsa_system_sgpr_workgroup_id_z 0
		.amdhsa_system_sgpr_workgroup_info 0
		.amdhsa_system_vgpr_workitem_id 0
		.amdhsa_next_free_vgpr 24
		.amdhsa_next_free_sgpr 16
		.amdhsa_named_barrier_count 0
		.amdhsa_reserve_vcc 1
		.amdhsa_float_round_mode_32 0
		.amdhsa_float_round_mode_16_64 0
		.amdhsa_float_denorm_mode_32 3
		.amdhsa_float_denorm_mode_16_64 3
		.amdhsa_fp16_overflow 0
		.amdhsa_memory_ordered 1
		.amdhsa_forward_progress 1
		.amdhsa_inst_pref_size 10
		.amdhsa_round_robin_scheduling 0
		.amdhsa_exception_fp_ieee_invalid_op 0
		.amdhsa_exception_fp_denorm_src 0
		.amdhsa_exception_fp_ieee_div_zero 0
		.amdhsa_exception_fp_ieee_overflow 0
		.amdhsa_exception_fp_ieee_underflow 0
		.amdhsa_exception_fp_ieee_inexact 0
		.amdhsa_exception_int_div_zero 0
	.end_amdhsa_kernel
	.section	.text._ZL30rocblas_reduction_kernel_part2ILi1024ELi4E25rocblas_finalize_identity19rocblas_complex_numIdES2_EviPT2_PT3_,"axG",@progbits,_ZL30rocblas_reduction_kernel_part2ILi1024ELi4E25rocblas_finalize_identity19rocblas_complex_numIdES2_EviPT2_PT3_,comdat
.Lfunc_end49:
	.size	_ZL30rocblas_reduction_kernel_part2ILi1024ELi4E25rocblas_finalize_identity19rocblas_complex_numIdES2_EviPT2_PT3_, .Lfunc_end49-_ZL30rocblas_reduction_kernel_part2ILi1024ELi4E25rocblas_finalize_identity19rocblas_complex_numIdES2_EviPT2_PT3_
                                        ; -- End function
	.set _ZL30rocblas_reduction_kernel_part2ILi1024ELi4E25rocblas_finalize_identity19rocblas_complex_numIdES2_EviPT2_PT3_.num_vgpr, 24
	.set _ZL30rocblas_reduction_kernel_part2ILi1024ELi4E25rocblas_finalize_identity19rocblas_complex_numIdES2_EviPT2_PT3_.num_agpr, 0
	.set _ZL30rocblas_reduction_kernel_part2ILi1024ELi4E25rocblas_finalize_identity19rocblas_complex_numIdES2_EviPT2_PT3_.numbered_sgpr, 16
	.set _ZL30rocblas_reduction_kernel_part2ILi1024ELi4E25rocblas_finalize_identity19rocblas_complex_numIdES2_EviPT2_PT3_.num_named_barrier, 0
	.set _ZL30rocblas_reduction_kernel_part2ILi1024ELi4E25rocblas_finalize_identity19rocblas_complex_numIdES2_EviPT2_PT3_.private_seg_size, 0
	.set _ZL30rocblas_reduction_kernel_part2ILi1024ELi4E25rocblas_finalize_identity19rocblas_complex_numIdES2_EviPT2_PT3_.uses_vcc, 1
	.set _ZL30rocblas_reduction_kernel_part2ILi1024ELi4E25rocblas_finalize_identity19rocblas_complex_numIdES2_EviPT2_PT3_.uses_flat_scratch, 0
	.set _ZL30rocblas_reduction_kernel_part2ILi1024ELi4E25rocblas_finalize_identity19rocblas_complex_numIdES2_EviPT2_PT3_.has_dyn_sized_stack, 0
	.set _ZL30rocblas_reduction_kernel_part2ILi1024ELi4E25rocblas_finalize_identity19rocblas_complex_numIdES2_EviPT2_PT3_.has_recursion, 0
	.set _ZL30rocblas_reduction_kernel_part2ILi1024ELi4E25rocblas_finalize_identity19rocblas_complex_numIdES2_EviPT2_PT3_.has_indirect_call, 0
	.section	.AMDGPU.csdata,"",@progbits
; Kernel info:
; codeLenInByte = 1220
; TotalNumSgprs: 18
; NumVgprs: 24
; ScratchSize: 0
; MemoryBound: 1
; FloatMode: 240
; IeeeMode: 1
; LDSByteSize: 512 bytes/workgroup (compile time only)
; SGPRBlocks: 0
; VGPRBlocks: 1
; NumSGPRsForWavesPerEU: 18
; NumVGPRsForWavesPerEU: 24
; NamedBarCnt: 0
; Occupancy: 16
; WaveLimiterHint : 0
; COMPUTE_PGM_RSRC2:SCRATCH_EN: 0
; COMPUTE_PGM_RSRC2:USER_SGPR: 2
; COMPUTE_PGM_RSRC2:TRAP_HANDLER: 0
; COMPUTE_PGM_RSRC2:TGID_X_EN: 1
; COMPUTE_PGM_RSRC2:TGID_Y_EN: 0
; COMPUTE_PGM_RSRC2:TGID_Z_EN: 0
; COMPUTE_PGM_RSRC2:TIDIG_COMP_CNT: 0
	.section	.text._ZL23rocblas_dot_kernel_inc1ILb0ELi512ELi2ELb0E19rocblas_complex_numIdEPKS1_S1_EviT4_llS4_lliPT5_PT3_,"axG",@progbits,_ZL23rocblas_dot_kernel_inc1ILb0ELi512ELi2ELb0E19rocblas_complex_numIdEPKS1_S1_EviT4_llS4_lliPT5_PT3_,comdat
	.globl	_ZL23rocblas_dot_kernel_inc1ILb0ELi512ELi2ELb0E19rocblas_complex_numIdEPKS1_S1_EviT4_llS4_lliPT5_PT3_ ; -- Begin function _ZL23rocblas_dot_kernel_inc1ILb0ELi512ELi2ELb0E19rocblas_complex_numIdEPKS1_S1_EviT4_llS4_lliPT5_PT3_
	.p2align	8
	.type	_ZL23rocblas_dot_kernel_inc1ILb0ELi512ELi2ELb0E19rocblas_complex_numIdEPKS1_S1_EviT4_llS4_lliPT5_PT3_,@function
_ZL23rocblas_dot_kernel_inc1ILb0ELi512ELi2ELb0E19rocblas_complex_numIdEPKS1_S1_EviT4_llS4_lliPT5_PT3_: ; @_ZL23rocblas_dot_kernel_inc1ILb0ELi512ELi2ELb0E19rocblas_complex_numIdEPKS1_S1_EviT4_llS4_lliPT5_PT3_
; %bb.0:
	s_load_b32 s28, s[0:1], 0x38
	s_bfe_u32 s2, ttmp6, 0x40014
	s_lshr_b32 s3, ttmp7, 16
	s_add_co_i32 s2, s2, 1
	s_bfe_u32 s5, ttmp6, 0x40008
	s_mul_i32 s4, s3, s2
	s_getreg_b32 s2, hwreg(HW_REG_IB_STS2, 6, 4)
	s_add_co_i32 s5, s5, s4
	s_cmp_eq_u32 s2, 0
	s_mov_b32 s17, 0
	s_cselect_b32 s16, s3, s5
	s_wait_kmcnt 0x0
	s_cmp_ge_u32 s16, s28
	s_cbranch_scc1 .LBB50_21
; %bb.1:
	v_mbcnt_lo_u32_b32 v2, -1, 0
	s_clause 0x6
	s_load_b128 s[4:7], s[0:1], 0x10
	s_load_b128 s[8:11], s[0:1], 0x28
	s_load_b64 s[20:21], s[0:1], 0x8
	s_load_b64 s[22:23], s[0:1], 0x20
	s_load_b32 s18, s[0:1], 0x50
	s_load_b128 s[12:15], s[0:1], 0x40
	s_load_b32 s29, s[0:1], 0x0
	s_wait_xcnt 0x0
	s_bfe_u32 s0, ttmp6, 0x4000c
	s_and_b32 s1, ttmp6, 15
	s_add_co_i32 s3, s0, 1
	v_cmp_gt_u32_e32 vcc_lo, 24, v2
	s_mul_i32 s3, ttmp9, s3
	v_and_b32_e32 v1, 31, v0
	s_add_co_i32 s1, s1, s3
	v_cmp_gt_u32_e64 s0, 32, v0
	v_cndmask_b32_e64 v3, 0, 8, vcc_lo
	v_cmp_gt_u32_e32 vcc_lo, 28, v2
	v_lshl_or_b32 v13, v2, 2, 64
	v_cmp_eq_u32_e64 s3, 0, v0
	s_mov_b32 s19, s17
	s_wait_kmcnt 0x0
	s_lshl_b64 s[4:5], s[4:5], 4
	v_cndmask_b32_e64 v4, 0, 4, vcc_lo
	v_cmp_gt_u32_e32 vcc_lo, 30, v2
	s_lshl_b64 s[8:9], s[8:9], 4
	s_cmp_eq_u32 s2, 0
	v_add_lshl_u32 v14, v3, v2, 2
	v_lshrrev_b32_e32 v3, 1, v0
	v_cndmask_b32_e64 v5, 0, 2, vcc_lo
	v_cmp_ne_u32_e32 vcc_lo, 31, v2
	s_add_nc_u64 s[8:9], s[22:23], s[8:9]
	s_cselect_b32 s22, ttmp9, s1
	s_cmp_lg_u32 s18, 1
	s_add_nc_u64 s[4:5], s[20:21], s[4:5]
	v_add_co_ci_u32_e64 v7, null, 0, v2, vcc_lo
	s_cselect_b32 s30, -1, 0
	s_lshl_b32 s20, s18, 9
	s_mov_b32 s23, s17
	v_lshl_or_b32 v6, s22, 9, v0
	v_dual_lshlrev_b32 v12, 4, v1 :: v_dual_lshlrev_b32 v17, 2, v7
	v_add_lshl_u32 v15, v4, v2, 2
	v_add_lshl_u32 v16, v5, v2, 2
	v_cmp_eq_u32_e64 s1, 0, v1
	v_and_b32_e32 v18, 0xf0, v3
	v_cmp_gt_u32_e64 s2, 16, v0
	v_mov_b32_e32 v0, 0
	s_lshl_b64 s[22:23], s[22:23], 4
	s_ashr_i32 s21, s20, 31
	s_add_nc_u64 s[12:13], s[12:13], s[22:23]
	s_lshl_b64 s[22:23], s[20:21], 4
	s_branch .LBB50_4
.LBB50_2:                               ;   in Loop: Header=BB50_4 Depth=1
	s_wait_dscnt 0x0
	global_store_b64 v0, v[4:5], s[24:25] offset:8
.LBB50_3:                               ;   in Loop: Header=BB50_4 Depth=1
	s_wait_xcnt 0x0
	s_or_b32 exec_lo, exec_lo, s21
	s_add_co_i32 s16, s16, 0x10000
	s_delay_alu instid0(SALU_CYCLE_1)
	s_cmp_lt_u32 s16, s28
	s_cbranch_scc0 .LBB50_21
.LBB50_4:                               ; =>This Inner Loop Header: Depth=1
	s_wait_dscnt 0x0
	v_mov_b64_e32 v[4:5], 0
	v_mov_b64_e32 v[8:9], 0
	s_mov_b32 s21, exec_lo
	v_cmpx_gt_i32_e64 s29, v6
	s_cbranch_execz .LBB50_8
; %bb.5:                                ;   in Loop: Header=BB50_4 Depth=1
	s_mul_u64 s[24:25], s[10:11], s[16:17]
	s_mul_u64 s[26:27], s[6:7], s[16:17]
	s_lshl_b64 s[24:25], s[24:25], 4
	s_lshl_b64 s[34:35], s[26:27], 4
	s_add_nc_u64 s[26:27], s[8:9], s[24:25]
	s_add_nc_u64 s[24:25], s[4:5], s[34:35]
	s_clause 0x1
	global_load_b128 v[2:5], v6, s[26:27] scale_offset
	global_load_b128 v[8:11], v6, s[24:25] scale_offset
	s_mov_b32 s31, exec_lo
	v_add_nc_u32_e32 v1, s20, v6
	s_wait_loadcnt 0x0
	v_mul_f64_e32 v[20:21], v[4:5], v[10:11]
	v_mul_f64_e32 v[10:11], v[2:3], v[10:11]
	s_delay_alu instid0(VALU_DEP_2) | instskip(NEXT) | instid1(VALU_DEP_2)
	v_fma_f64 v[2:3], v[2:3], v[8:9], -v[20:21]
	v_fmac_f64_e32 v[10:11], v[4:5], v[8:9]
	s_delay_alu instid0(VALU_DEP_2) | instskip(NEXT) | instid1(VALU_DEP_2)
	v_add_f64_e32 v[4:5], 0, v[2:3]
	v_add_f64_e32 v[8:9], 0, v[10:11]
	s_wait_xcnt 0x0
	v_cmpx_gt_i32_e64 s29, v1
	s_cbranch_execz .LBB50_7
; %bb.6:                                ;   in Loop: Header=BB50_4 Depth=1
	v_dual_ashrrev_i32 v7, 31, v6 :: v_dual_add_nc_u32 v1, s20, v1
	s_delay_alu instid0(VALU_DEP_1) | instskip(NEXT) | instid1(VALU_DEP_1)
	v_lshlrev_b64_e32 v[2:3], 4, v[6:7]
	v_add_nc_u64_e32 v[6:7], s[26:27], v[2:3]
	v_add_nc_u64_e32 v[2:3], s[24:25], v[2:3]
	s_delay_alu instid0(VALU_DEP_2) | instskip(NEXT) | instid1(VALU_DEP_2)
	v_add_nc_u64_e32 v[6:7], s[22:23], v[6:7]
	v_add_nc_u64_e32 v[2:3], s[22:23], v[2:3]
	global_load_b128 v[20:23], v[6:7], off
	global_load_b128 v[24:27], v[2:3], off
	s_wait_loadcnt 0x0
	s_wait_xcnt 0x0
	v_mul_f64_e32 v[2:3], v[20:21], v[26:27]
	v_mul_f64_e32 v[6:7], v[22:23], v[26:27]
	s_delay_alu instid0(VALU_DEP_2) | instskip(NEXT) | instid1(VALU_DEP_2)
	v_fmac_f64_e32 v[2:3], v[22:23], v[24:25]
	v_fma_f64 v[6:7], v[20:21], v[24:25], -v[6:7]
	s_delay_alu instid0(VALU_DEP_2) | instskip(NEXT) | instid1(VALU_DEP_2)
	v_add_f64_e32 v[8:9], v[8:9], v[2:3]
	v_add_f64_e32 v[4:5], v[4:5], v[6:7]
.LBB50_7:                               ;   in Loop: Header=BB50_4 Depth=1
	s_or_b32 exec_lo, exec_lo, s31
	v_mov_b32_e32 v6, v1
.LBB50_8:                               ;   in Loop: Header=BB50_4 Depth=1
	s_or_b32 exec_lo, exec_lo, s21
	s_and_saveexec_b32 s21, s0
; %bb.9:                                ;   in Loop: Header=BB50_4 Depth=1
	v_dual_mov_b32 v1, v0 :: v_dual_mov_b32 v2, v0
	v_mov_b32_e32 v3, v0
	ds_store_b128 v12, v[0:3]
; %bb.10:                               ;   in Loop: Header=BB50_4 Depth=1
	s_or_b32 exec_lo, exec_lo, s21
	ds_bpermute_b32 v2, v13, v4
	ds_bpermute_b32 v3, v13, v5
	;; [unrolled: 1-line block ×4, first 2 shown]
	s_wait_dscnt 0x0
	s_barrier_signal -1
	s_barrier_wait -1
	v_add_f64_e32 v[2:3], v[4:5], v[2:3]
	v_add_f64_e32 v[4:5], v[8:9], v[10:11]
	ds_bpermute_b32 v8, v14, v2
	ds_bpermute_b32 v9, v14, v3
	ds_bpermute_b32 v10, v14, v4
	ds_bpermute_b32 v11, v14, v5
	s_wait_dscnt 0x2
	v_add_f64_e32 v[2:3], v[2:3], v[8:9]
	s_wait_dscnt 0x0
	v_add_f64_e32 v[4:5], v[4:5], v[10:11]
	ds_bpermute_b32 v8, v15, v2
	ds_bpermute_b32 v9, v15, v3
	ds_bpermute_b32 v10, v15, v4
	ds_bpermute_b32 v11, v15, v5
	s_wait_dscnt 0x2
	v_add_f64_e32 v[2:3], v[2:3], v[8:9]
	s_wait_dscnt 0x0
	v_add_f64_e32 v[4:5], v[4:5], v[10:11]
	ds_bpermute_b32 v8, v16, v2
	ds_bpermute_b32 v9, v16, v3
	ds_bpermute_b32 v10, v16, v4
	ds_bpermute_b32 v11, v16, v5
	s_wait_dscnt 0x2
	v_add_f64_e32 v[2:3], v[2:3], v[8:9]
	s_wait_dscnt 0x0
	v_add_f64_e32 v[8:9], v[4:5], v[10:11]
	ds_bpermute_b32 v4, v17, v2
	ds_bpermute_b32 v5, v17, v3
	;; [unrolled: 1-line block ×4, first 2 shown]
	s_and_saveexec_b32 s21, s1
	s_cbranch_execz .LBB50_12
; %bb.11:                               ;   in Loop: Header=BB50_4 Depth=1
	s_wait_dscnt 0x0
	v_add_f64_e32 v[10:11], v[8:9], v[10:11]
	v_add_f64_e32 v[8:9], v[2:3], v[4:5]
	ds_store_b128 v18, v[8:11]
.LBB50_12:                              ;   in Loop: Header=BB50_4 Depth=1
	s_or_b32 exec_lo, exec_lo, s21
	s_wait_dscnt 0x2
	v_mov_b64_e32 v[4:5], 0
	v_mov_b64_e32 v[2:3], 0
	s_wait_dscnt 0x0
	s_barrier_signal -1
	s_barrier_wait -1
	s_and_saveexec_b32 s21, s2
	s_cbranch_execnz .LBB50_15
; %bb.13:                               ;   in Loop: Header=BB50_4 Depth=1
	s_or_b32 exec_lo, exec_lo, s21
	s_and_saveexec_b32 s21, s0
	s_cbranch_execnz .LBB50_16
.LBB50_14:                              ;   in Loop: Header=BB50_4 Depth=1
	s_or_b32 exec_lo, exec_lo, s21
	s_and_saveexec_b32 s21, s3
	s_cbranch_execz .LBB50_3
	s_branch .LBB50_17
.LBB50_15:                              ;   in Loop: Header=BB50_4 Depth=1
	ds_load_b128 v[2:5], v12
	s_or_b32 exec_lo, exec_lo, s21
	s_and_saveexec_b32 s21, s0
	s_cbranch_execz .LBB50_14
.LBB50_16:                              ;   in Loop: Header=BB50_4 Depth=1
	s_wait_dscnt 0x0
	ds_bpermute_b32 v8, v14, v2
	ds_bpermute_b32 v9, v14, v3
	ds_bpermute_b32 v10, v14, v4
	ds_bpermute_b32 v11, v14, v5
	s_wait_dscnt 0x2
	v_add_f64_e32 v[2:3], v[2:3], v[8:9]
	s_wait_dscnt 0x0
	v_add_f64_e32 v[4:5], v[4:5], v[10:11]
	ds_bpermute_b32 v8, v15, v2
	ds_bpermute_b32 v9, v15, v3
	ds_bpermute_b32 v10, v15, v4
	ds_bpermute_b32 v11, v15, v5
	s_wait_dscnt 0x2
	v_add_f64_e32 v[2:3], v[2:3], v[8:9]
	s_wait_dscnt 0x0
	v_add_f64_e32 v[4:5], v[4:5], v[10:11]
	;; [unrolled: 8-line block ×4, first 2 shown]
	s_or_b32 exec_lo, exec_lo, s21
	s_and_saveexec_b32 s21, s3
	s_cbranch_execz .LBB50_3
.LBB50_17:                              ;   in Loop: Header=BB50_4 Depth=1
	s_and_b32 vcc_lo, exec_lo, s30
	s_mov_b32 s26, -1
                                        ; implicit-def: $sgpr24_sgpr25
	s_cbranch_vccz .LBB50_19
; %bb.18:                               ;   in Loop: Header=BB50_4 Depth=1
	s_mul_u64 s[24:25], s[18:19], s[16:17]
	s_mov_b32 s26, 0
	s_lshl_b64 s[24:25], s[24:25], 4
	s_delay_alu instid0(SALU_CYCLE_1)
	s_add_nc_u64 s[24:25], s[12:13], s[24:25]
	s_wait_dscnt 0x0
	global_store_b64 v0, v[2:3], s[24:25]
.LBB50_19:                              ;   in Loop: Header=BB50_4 Depth=1
	s_and_not1_b32 vcc_lo, exec_lo, s26
	s_cbranch_vccnz .LBB50_2
; %bb.20:                               ;   in Loop: Header=BB50_4 Depth=1
	s_wait_xcnt 0x0
	s_lshl_b64 s[24:25], s[16:17], 4
	s_delay_alu instid0(SALU_CYCLE_1)
	s_add_nc_u64 s[24:25], s[14:15], s[24:25]
	s_wait_dscnt 0x0
	global_store_b64 v0, v[2:3], s[24:25]
	s_branch .LBB50_2
.LBB50_21:
	s_endpgm
	.section	.rodata,"a",@progbits
	.p2align	6, 0x0
	.amdhsa_kernel _ZL23rocblas_dot_kernel_inc1ILb0ELi512ELi2ELb0E19rocblas_complex_numIdEPKS1_S1_EviT4_llS4_lliPT5_PT3_
		.amdhsa_group_segment_fixed_size 512
		.amdhsa_private_segment_fixed_size 0
		.amdhsa_kernarg_size 336
		.amdhsa_user_sgpr_count 2
		.amdhsa_user_sgpr_dispatch_ptr 0
		.amdhsa_user_sgpr_queue_ptr 0
		.amdhsa_user_sgpr_kernarg_segment_ptr 1
		.amdhsa_user_sgpr_dispatch_id 0
		.amdhsa_user_sgpr_kernarg_preload_length 0
		.amdhsa_user_sgpr_kernarg_preload_offset 0
		.amdhsa_user_sgpr_private_segment_size 0
		.amdhsa_wavefront_size32 1
		.amdhsa_uses_dynamic_stack 0
		.amdhsa_enable_private_segment 0
		.amdhsa_system_sgpr_workgroup_id_x 1
		.amdhsa_system_sgpr_workgroup_id_y 0
		.amdhsa_system_sgpr_workgroup_id_z 1
		.amdhsa_system_sgpr_workgroup_info 0
		.amdhsa_system_vgpr_workitem_id 0
		.amdhsa_next_free_vgpr 28
		.amdhsa_next_free_sgpr 36
		.amdhsa_named_barrier_count 0
		.amdhsa_reserve_vcc 1
		.amdhsa_float_round_mode_32 0
		.amdhsa_float_round_mode_16_64 0
		.amdhsa_float_denorm_mode_32 3
		.amdhsa_float_denorm_mode_16_64 3
		.amdhsa_fp16_overflow 0
		.amdhsa_memory_ordered 1
		.amdhsa_forward_progress 1
		.amdhsa_inst_pref_size 11
		.amdhsa_round_robin_scheduling 0
		.amdhsa_exception_fp_ieee_invalid_op 0
		.amdhsa_exception_fp_denorm_src 0
		.amdhsa_exception_fp_ieee_div_zero 0
		.amdhsa_exception_fp_ieee_overflow 0
		.amdhsa_exception_fp_ieee_underflow 0
		.amdhsa_exception_fp_ieee_inexact 0
		.amdhsa_exception_int_div_zero 0
	.end_amdhsa_kernel
	.section	.text._ZL23rocblas_dot_kernel_inc1ILb0ELi512ELi2ELb0E19rocblas_complex_numIdEPKS1_S1_EviT4_llS4_lliPT5_PT3_,"axG",@progbits,_ZL23rocblas_dot_kernel_inc1ILb0ELi512ELi2ELb0E19rocblas_complex_numIdEPKS1_S1_EviT4_llS4_lliPT5_PT3_,comdat
.Lfunc_end50:
	.size	_ZL23rocblas_dot_kernel_inc1ILb0ELi512ELi2ELb0E19rocblas_complex_numIdEPKS1_S1_EviT4_llS4_lliPT5_PT3_, .Lfunc_end50-_ZL23rocblas_dot_kernel_inc1ILb0ELi512ELi2ELb0E19rocblas_complex_numIdEPKS1_S1_EviT4_llS4_lliPT5_PT3_
                                        ; -- End function
	.set _ZL23rocblas_dot_kernel_inc1ILb0ELi512ELi2ELb0E19rocblas_complex_numIdEPKS1_S1_EviT4_llS4_lliPT5_PT3_.num_vgpr, 28
	.set _ZL23rocblas_dot_kernel_inc1ILb0ELi512ELi2ELb0E19rocblas_complex_numIdEPKS1_S1_EviT4_llS4_lliPT5_PT3_.num_agpr, 0
	.set _ZL23rocblas_dot_kernel_inc1ILb0ELi512ELi2ELb0E19rocblas_complex_numIdEPKS1_S1_EviT4_llS4_lliPT5_PT3_.numbered_sgpr, 36
	.set _ZL23rocblas_dot_kernel_inc1ILb0ELi512ELi2ELb0E19rocblas_complex_numIdEPKS1_S1_EviT4_llS4_lliPT5_PT3_.num_named_barrier, 0
	.set _ZL23rocblas_dot_kernel_inc1ILb0ELi512ELi2ELb0E19rocblas_complex_numIdEPKS1_S1_EviT4_llS4_lliPT5_PT3_.private_seg_size, 0
	.set _ZL23rocblas_dot_kernel_inc1ILb0ELi512ELi2ELb0E19rocblas_complex_numIdEPKS1_S1_EviT4_llS4_lliPT5_PT3_.uses_vcc, 1
	.set _ZL23rocblas_dot_kernel_inc1ILb0ELi512ELi2ELb0E19rocblas_complex_numIdEPKS1_S1_EviT4_llS4_lliPT5_PT3_.uses_flat_scratch, 0
	.set _ZL23rocblas_dot_kernel_inc1ILb0ELi512ELi2ELb0E19rocblas_complex_numIdEPKS1_S1_EviT4_llS4_lliPT5_PT3_.has_dyn_sized_stack, 0
	.set _ZL23rocblas_dot_kernel_inc1ILb0ELi512ELi2ELb0E19rocblas_complex_numIdEPKS1_S1_EviT4_llS4_lliPT5_PT3_.has_recursion, 0
	.set _ZL23rocblas_dot_kernel_inc1ILb0ELi512ELi2ELb0E19rocblas_complex_numIdEPKS1_S1_EviT4_llS4_lliPT5_PT3_.has_indirect_call, 0
	.section	.AMDGPU.csdata,"",@progbits
; Kernel info:
; codeLenInByte = 1364
; TotalNumSgprs: 38
; NumVgprs: 28
; ScratchSize: 0
; MemoryBound: 0
; FloatMode: 240
; IeeeMode: 1
; LDSByteSize: 512 bytes/workgroup (compile time only)
; SGPRBlocks: 0
; VGPRBlocks: 1
; NumSGPRsForWavesPerEU: 38
; NumVGPRsForWavesPerEU: 28
; NamedBarCnt: 0
; Occupancy: 16
; WaveLimiterHint : 0
; COMPUTE_PGM_RSRC2:SCRATCH_EN: 0
; COMPUTE_PGM_RSRC2:USER_SGPR: 2
; COMPUTE_PGM_RSRC2:TRAP_HANDLER: 0
; COMPUTE_PGM_RSRC2:TGID_X_EN: 1
; COMPUTE_PGM_RSRC2:TGID_Y_EN: 0
; COMPUTE_PGM_RSRC2:TGID_Z_EN: 1
; COMPUTE_PGM_RSRC2:TIDIG_COMP_CNT: 0
	.section	.text._ZL18rocblas_dot_kernelIiLb0ELi512ELi2ELb0E19rocblas_complex_numIdEPKS1_S1_EviT5_lT_lS4_lS5_liPT6_PT4_,"axG",@progbits,_ZL18rocblas_dot_kernelIiLb0ELi512ELi2ELb0E19rocblas_complex_numIdEPKS1_S1_EviT5_lT_lS4_lS5_liPT6_PT4_,comdat
	.globl	_ZL18rocblas_dot_kernelIiLb0ELi512ELi2ELb0E19rocblas_complex_numIdEPKS1_S1_EviT5_lT_lS4_lS5_liPT6_PT4_ ; -- Begin function _ZL18rocblas_dot_kernelIiLb0ELi512ELi2ELb0E19rocblas_complex_numIdEPKS1_S1_EviT5_lT_lS4_lS5_liPT6_PT4_
	.p2align	8
	.type	_ZL18rocblas_dot_kernelIiLb0ELi512ELi2ELb0E19rocblas_complex_numIdEPKS1_S1_EviT5_lT_lS4_lS5_liPT6_PT4_,@function
_ZL18rocblas_dot_kernelIiLb0ELi512ELi2ELb0E19rocblas_complex_numIdEPKS1_S1_EviT5_lT_lS4_lS5_liPT6_PT4_: ; @_ZL18rocblas_dot_kernelIiLb0ELi512ELi2ELb0E19rocblas_complex_numIdEPKS1_S1_EviT5_lT_lS4_lS5_liPT6_PT4_
; %bb.0:
	s_load_b32 s28, s[0:1], 0x48
	s_bfe_u32 s2, ttmp6, 0x40014
	s_lshr_b32 s3, ttmp7, 16
	s_add_co_i32 s2, s2, 1
	s_bfe_u32 s5, ttmp6, 0x40008
	s_mul_i32 s4, s3, s2
	s_getreg_b32 s2, hwreg(HW_REG_IB_STS2, 6, 4)
	s_add_co_i32 s5, s5, s4
	s_cmp_eq_u32 s2, 0
	s_mov_b32 s13, 0
	s_cselect_b32 s12, s3, s5
	s_wait_kmcnt 0x0
	s_cmp_ge_u32 s12, s28
	s_cbranch_scc1 .LBB51_21
; %bb.1:
	v_mbcnt_lo_u32_b32 v2, -1, 0
	s_clause 0x7
	s_load_b32 s14, s[0:1], 0x18
	s_load_b96 s[36:38], s[0:1], 0x30
	s_load_b128 s[24:27], s[0:1], 0x8
	s_load_b128 s[4:7], s[0:1], 0x20
	s_load_b32 s16, s[0:1], 0x60
	s_load_b32 s29, s[0:1], 0x0
	s_load_b128 s[8:11], s[0:1], 0x50
	s_load_b64 s[18:19], s[0:1], 0x40
	s_wait_xcnt 0x0
	s_bfe_u32 s0, ttmp6, 0x4000c
	s_and_b32 s1, ttmp6, 15
	s_add_co_i32 s0, s0, 1
	v_cmp_gt_u32_e32 vcc_lo, 24, v2
	s_mul_i32 s0, ttmp9, s0
	v_and_b32_e32 v1, 31, v0
	s_add_co_i32 s3, s1, s0
	v_lshl_or_b32 v13, v2, 2, 64
	v_cndmask_b32_e64 v3, 0, 8, vcc_lo
	v_cmp_gt_u32_e32 vcc_lo, 28, v2
	s_mov_b32 s17, s13
	s_wait_kmcnt 0x0
	s_ashr_i32 s15, s14, 31
	s_ashr_i32 s21, s38, 31
	v_cndmask_b32_e64 v4, 0, 4, vcc_lo
	v_cmp_gt_u32_e32 vcc_lo, 30, v2
	s_lshl_b64 s[0:1], s[26:27], 4
	s_lshl_b64 s[26:27], s[36:37], 4
	v_add_lshl_u32 v14, v3, v2, 2
	v_lshrrev_b32_e32 v3, 1, v0
	v_cndmask_b32_e64 v5, 0, 2, vcc_lo
	v_cmp_ne_u32_e32 vcc_lo, 31, v2
	s_cmp_eq_u32 s2, 0
	s_add_nc_u64 s[22:23], s[24:25], s[0:1]
	s_cselect_b32 s24, ttmp9, s3
	s_cmp_lg_u32 s16, 1
	v_add_co_ci_u32_e64 v7, null, 0, v2, vcc_lo
	s_mov_b32 s25, s13
	v_lshl_or_b32 v6, s24, 9, v0
	v_cmp_gt_u32_e64 s0, 32, v0
	v_dual_lshlrev_b32 v12, 4, v1 :: v_dual_lshlrev_b32 v17, 2, v7
	v_add_lshl_u32 v15, v4, v2, 2
	v_add_lshl_u32 v16, v5, v2, 2
	v_cmp_eq_u32_e64 s1, 0, v1
	v_and_b32_e32 v18, 0xf0, v3
	v_cmp_gt_u32_e64 s2, 16, v0
	v_cmp_eq_u32_e64 s3, 0, v0
	v_mov_b32_e32 v0, 0
	s_cselect_b32 s30, -1, 0
	s_lshl_b64 s[24:25], s[24:25], 4
	s_mov_b32 s20, s38
	s_add_nc_u64 s[6:7], s[6:7], s[26:27]
	s_lshl_b32 s31, s16, 9
	s_add_nc_u64 s[8:9], s[8:9], s[24:25]
	s_branch .LBB51_4
.LBB51_2:                               ;   in Loop: Header=BB51_4 Depth=1
	s_wait_dscnt 0x0
	global_store_b64 v0, v[4:5], s[24:25] offset:8
.LBB51_3:                               ;   in Loop: Header=BB51_4 Depth=1
	s_wait_xcnt 0x0
	s_or_b32 exec_lo, exec_lo, s26
	s_add_co_i32 s12, s12, 0x10000
	s_delay_alu instid0(SALU_CYCLE_1)
	s_cmp_lt_u32 s12, s28
	s_cbranch_scc0 .LBB51_21
.LBB51_4:                               ; =>This Inner Loop Header: Depth=1
	s_wait_dscnt 0x0
	v_mov_b64_e32 v[4:5], 0
	v_mov_b64_e32 v[8:9], 0
	s_mov_b32 s33, exec_lo
	v_cmpx_gt_i32_e64 s29, v6
	s_cbranch_execz .LBB51_8
; %bb.5:                                ;   in Loop: Header=BB51_4 Depth=1
	v_ashrrev_i32_e32 v7, 31, v6
	s_mul_u64 s[24:25], s[18:19], s[12:13]
	s_mul_u64 s[26:27], s[4:5], s[12:13]
	s_lshl_b64 s[24:25], s[24:25], 4
	s_lshl_b64 s[34:35], s[26:27], 4
	v_mul_u64_e32 v[2:3], s[20:21], v[6:7]
	v_mul_u64_e32 v[4:5], s[14:15], v[6:7]
	s_add_nc_u64 s[26:27], s[6:7], s[24:25]
	s_add_nc_u64 s[24:25], s[22:23], s[34:35]
	v_add_nc_u32_e32 v6, s31, v6
	s_mov_b32 s34, exec_lo
	s_delay_alu instid0(VALU_DEP_3) | instskip(NEXT) | instid1(VALU_DEP_3)
	v_lshl_add_u64 v[20:21], v[2:3], 4, s[26:27]
	v_lshl_add_u64 v[22:23], v[4:5], 4, s[24:25]
	global_load_b128 v[2:5], v[20:21], off
	global_load_b128 v[8:11], v[22:23], off
	s_wait_loadcnt 0x0
	s_wait_xcnt 0x1
	v_mul_f64_e32 v[20:21], v[4:5], v[10:11]
	v_mul_f64_e32 v[10:11], v[2:3], v[10:11]
	s_delay_alu instid0(VALU_DEP_2) | instskip(NEXT) | instid1(VALU_DEP_2)
	v_fma_f64 v[2:3], v[2:3], v[8:9], -v[20:21]
	v_fmac_f64_e32 v[10:11], v[4:5], v[8:9]
	s_delay_alu instid0(VALU_DEP_2) | instskip(NEXT) | instid1(VALU_DEP_2)
	v_add_f64_e32 v[4:5], 0, v[2:3]
	v_add_f64_e32 v[8:9], 0, v[10:11]
	s_wait_xcnt 0x0
	v_cmpx_gt_i32_e64 s29, v6
	s_cbranch_execz .LBB51_7
; %bb.6:                                ;   in Loop: Header=BB51_4 Depth=1
	v_ashrrev_i32_e32 v7, 31, v6
	s_delay_alu instid0(VALU_DEP_1) | instskip(SKIP_2) | instid1(VALU_DEP_3)
	v_mul_u64_e32 v[2:3], s[20:21], v[6:7]
	v_mul_u64_e32 v[10:11], s[14:15], v[6:7]
	v_add_nc_u32_e32 v6, s31, v6
	v_lshl_add_u64 v[2:3], v[2:3], 4, s[26:27]
	s_delay_alu instid0(VALU_DEP_3)
	v_lshl_add_u64 v[10:11], v[10:11], 4, s[24:25]
	global_load_b128 v[20:23], v[2:3], off
	global_load_b128 v[24:27], v[10:11], off
	s_wait_loadcnt 0x0
	s_wait_xcnt 0x1
	v_mul_f64_e32 v[2:3], v[20:21], v[26:27]
	s_wait_xcnt 0x0
	v_mul_f64_e32 v[10:11], v[22:23], v[26:27]
	s_delay_alu instid0(VALU_DEP_2) | instskip(NEXT) | instid1(VALU_DEP_2)
	v_fmac_f64_e32 v[2:3], v[22:23], v[24:25]
	v_fma_f64 v[10:11], v[20:21], v[24:25], -v[10:11]
	s_delay_alu instid0(VALU_DEP_2) | instskip(NEXT) | instid1(VALU_DEP_2)
	v_add_f64_e32 v[8:9], v[8:9], v[2:3]
	v_add_f64_e32 v[4:5], v[4:5], v[10:11]
.LBB51_7:                               ;   in Loop: Header=BB51_4 Depth=1
	s_or_b32 exec_lo, exec_lo, s34
.LBB51_8:                               ;   in Loop: Header=BB51_4 Depth=1
	s_delay_alu instid0(SALU_CYCLE_1)
	s_or_b32 exec_lo, exec_lo, s33
	s_and_saveexec_b32 s24, s0
; %bb.9:                                ;   in Loop: Header=BB51_4 Depth=1
	v_dual_mov_b32 v1, v0 :: v_dual_mov_b32 v2, v0
	v_mov_b32_e32 v3, v0
	ds_store_b128 v12, v[0:3]
; %bb.10:                               ;   in Loop: Header=BB51_4 Depth=1
	s_or_b32 exec_lo, exec_lo, s24
	ds_bpermute_b32 v2, v13, v4
	ds_bpermute_b32 v3, v13, v5
	;; [unrolled: 1-line block ×4, first 2 shown]
	s_wait_dscnt 0x0
	s_barrier_signal -1
	s_barrier_wait -1
	v_add_f64_e32 v[2:3], v[4:5], v[2:3]
	v_add_f64_e32 v[4:5], v[8:9], v[10:11]
	ds_bpermute_b32 v8, v14, v2
	ds_bpermute_b32 v9, v14, v3
	ds_bpermute_b32 v10, v14, v4
	ds_bpermute_b32 v11, v14, v5
	s_wait_dscnt 0x2
	v_add_f64_e32 v[2:3], v[2:3], v[8:9]
	s_wait_dscnt 0x0
	v_add_f64_e32 v[4:5], v[4:5], v[10:11]
	ds_bpermute_b32 v8, v15, v2
	ds_bpermute_b32 v9, v15, v3
	ds_bpermute_b32 v10, v15, v4
	ds_bpermute_b32 v11, v15, v5
	s_wait_dscnt 0x2
	v_add_f64_e32 v[2:3], v[2:3], v[8:9]
	s_wait_dscnt 0x0
	;; [unrolled: 8-line block ×3, first 2 shown]
	v_add_f64_e32 v[8:9], v[4:5], v[10:11]
	ds_bpermute_b32 v4, v17, v2
	ds_bpermute_b32 v5, v17, v3
	;; [unrolled: 1-line block ×4, first 2 shown]
	s_and_saveexec_b32 s24, s1
	s_cbranch_execz .LBB51_12
; %bb.11:                               ;   in Loop: Header=BB51_4 Depth=1
	s_wait_dscnt 0x0
	v_add_f64_e32 v[10:11], v[8:9], v[10:11]
	v_add_f64_e32 v[8:9], v[2:3], v[4:5]
	ds_store_b128 v18, v[8:11]
.LBB51_12:                              ;   in Loop: Header=BB51_4 Depth=1
	s_or_b32 exec_lo, exec_lo, s24
	s_wait_dscnt 0x2
	v_mov_b64_e32 v[4:5], 0
	v_mov_b64_e32 v[2:3], 0
	s_wait_dscnt 0x0
	s_barrier_signal -1
	s_barrier_wait -1
	s_and_saveexec_b32 s24, s2
	s_cbranch_execnz .LBB51_15
; %bb.13:                               ;   in Loop: Header=BB51_4 Depth=1
	s_or_b32 exec_lo, exec_lo, s24
	s_and_saveexec_b32 s24, s0
	s_cbranch_execnz .LBB51_16
.LBB51_14:                              ;   in Loop: Header=BB51_4 Depth=1
	s_or_b32 exec_lo, exec_lo, s24
	s_and_saveexec_b32 s26, s3
	s_cbranch_execz .LBB51_3
	s_branch .LBB51_17
.LBB51_15:                              ;   in Loop: Header=BB51_4 Depth=1
	ds_load_b128 v[2:5], v12
	s_or_b32 exec_lo, exec_lo, s24
	s_and_saveexec_b32 s24, s0
	s_cbranch_execz .LBB51_14
.LBB51_16:                              ;   in Loop: Header=BB51_4 Depth=1
	s_wait_dscnt 0x0
	ds_bpermute_b32 v8, v14, v2
	ds_bpermute_b32 v9, v14, v3
	ds_bpermute_b32 v10, v14, v4
	ds_bpermute_b32 v11, v14, v5
	s_wait_dscnt 0x2
	v_add_f64_e32 v[2:3], v[2:3], v[8:9]
	s_wait_dscnt 0x0
	v_add_f64_e32 v[4:5], v[4:5], v[10:11]
	ds_bpermute_b32 v8, v15, v2
	ds_bpermute_b32 v9, v15, v3
	ds_bpermute_b32 v10, v15, v4
	ds_bpermute_b32 v11, v15, v5
	s_wait_dscnt 0x2
	v_add_f64_e32 v[2:3], v[2:3], v[8:9]
	s_wait_dscnt 0x0
	v_add_f64_e32 v[4:5], v[4:5], v[10:11]
	;; [unrolled: 8-line block ×4, first 2 shown]
	s_or_b32 exec_lo, exec_lo, s24
	s_and_saveexec_b32 s26, s3
	s_cbranch_execz .LBB51_3
.LBB51_17:                              ;   in Loop: Header=BB51_4 Depth=1
	s_and_b32 vcc_lo, exec_lo, s30
	s_mov_b32 s27, -1
                                        ; implicit-def: $sgpr24_sgpr25
	s_cbranch_vccz .LBB51_19
; %bb.18:                               ;   in Loop: Header=BB51_4 Depth=1
	s_mul_u64 s[24:25], s[16:17], s[12:13]
	s_mov_b32 s27, 0
	s_lshl_b64 s[24:25], s[24:25], 4
	s_delay_alu instid0(SALU_CYCLE_1)
	s_add_nc_u64 s[24:25], s[8:9], s[24:25]
	s_wait_dscnt 0x0
	global_store_b64 v0, v[2:3], s[24:25]
.LBB51_19:                              ;   in Loop: Header=BB51_4 Depth=1
	s_and_not1_b32 vcc_lo, exec_lo, s27
	s_cbranch_vccnz .LBB51_2
; %bb.20:                               ;   in Loop: Header=BB51_4 Depth=1
	s_wait_xcnt 0x0
	s_lshl_b64 s[24:25], s[12:13], 4
	s_delay_alu instid0(SALU_CYCLE_1)
	s_add_nc_u64 s[24:25], s[10:11], s[24:25]
	s_wait_dscnt 0x0
	global_store_b64 v0, v[2:3], s[24:25]
	s_branch .LBB51_2
.LBB51_21:
	s_endpgm
	.section	.rodata,"a",@progbits
	.p2align	6, 0x0
	.amdhsa_kernel _ZL18rocblas_dot_kernelIiLb0ELi512ELi2ELb0E19rocblas_complex_numIdEPKS1_S1_EviT5_lT_lS4_lS5_liPT6_PT4_
		.amdhsa_group_segment_fixed_size 512
		.amdhsa_private_segment_fixed_size 0
		.amdhsa_kernarg_size 352
		.amdhsa_user_sgpr_count 2
		.amdhsa_user_sgpr_dispatch_ptr 0
		.amdhsa_user_sgpr_queue_ptr 0
		.amdhsa_user_sgpr_kernarg_segment_ptr 1
		.amdhsa_user_sgpr_dispatch_id 0
		.amdhsa_user_sgpr_kernarg_preload_length 0
		.amdhsa_user_sgpr_kernarg_preload_offset 0
		.amdhsa_user_sgpr_private_segment_size 0
		.amdhsa_wavefront_size32 1
		.amdhsa_uses_dynamic_stack 0
		.amdhsa_enable_private_segment 0
		.amdhsa_system_sgpr_workgroup_id_x 1
		.amdhsa_system_sgpr_workgroup_id_y 0
		.amdhsa_system_sgpr_workgroup_id_z 1
		.amdhsa_system_sgpr_workgroup_info 0
		.amdhsa_system_vgpr_workitem_id 0
		.amdhsa_next_free_vgpr 28
		.amdhsa_next_free_sgpr 39
		.amdhsa_named_barrier_count 0
		.amdhsa_reserve_vcc 1
		.amdhsa_float_round_mode_32 0
		.amdhsa_float_round_mode_16_64 0
		.amdhsa_float_denorm_mode_32 3
		.amdhsa_float_denorm_mode_16_64 3
		.amdhsa_fp16_overflow 0
		.amdhsa_memory_ordered 1
		.amdhsa_forward_progress 1
		.amdhsa_inst_pref_size 12
		.amdhsa_round_robin_scheduling 0
		.amdhsa_exception_fp_ieee_invalid_op 0
		.amdhsa_exception_fp_denorm_src 0
		.amdhsa_exception_fp_ieee_div_zero 0
		.amdhsa_exception_fp_ieee_overflow 0
		.amdhsa_exception_fp_ieee_underflow 0
		.amdhsa_exception_fp_ieee_inexact 0
		.amdhsa_exception_int_div_zero 0
	.end_amdhsa_kernel
	.section	.text._ZL18rocblas_dot_kernelIiLb0ELi512ELi2ELb0E19rocblas_complex_numIdEPKS1_S1_EviT5_lT_lS4_lS5_liPT6_PT4_,"axG",@progbits,_ZL18rocblas_dot_kernelIiLb0ELi512ELi2ELb0E19rocblas_complex_numIdEPKS1_S1_EviT5_lT_lS4_lS5_liPT6_PT4_,comdat
.Lfunc_end51:
	.size	_ZL18rocblas_dot_kernelIiLb0ELi512ELi2ELb0E19rocblas_complex_numIdEPKS1_S1_EviT5_lT_lS4_lS5_liPT6_PT4_, .Lfunc_end51-_ZL18rocblas_dot_kernelIiLb0ELi512ELi2ELb0E19rocblas_complex_numIdEPKS1_S1_EviT5_lT_lS4_lS5_liPT6_PT4_
                                        ; -- End function
	.set _ZL18rocblas_dot_kernelIiLb0ELi512ELi2ELb0E19rocblas_complex_numIdEPKS1_S1_EviT5_lT_lS4_lS5_liPT6_PT4_.num_vgpr, 28
	.set _ZL18rocblas_dot_kernelIiLb0ELi512ELi2ELb0E19rocblas_complex_numIdEPKS1_S1_EviT5_lT_lS4_lS5_liPT6_PT4_.num_agpr, 0
	.set _ZL18rocblas_dot_kernelIiLb0ELi512ELi2ELb0E19rocblas_complex_numIdEPKS1_S1_EviT5_lT_lS4_lS5_liPT6_PT4_.numbered_sgpr, 39
	.set _ZL18rocblas_dot_kernelIiLb0ELi512ELi2ELb0E19rocblas_complex_numIdEPKS1_S1_EviT5_lT_lS4_lS5_liPT6_PT4_.num_named_barrier, 0
	.set _ZL18rocblas_dot_kernelIiLb0ELi512ELi2ELb0E19rocblas_complex_numIdEPKS1_S1_EviT5_lT_lS4_lS5_liPT6_PT4_.private_seg_size, 0
	.set _ZL18rocblas_dot_kernelIiLb0ELi512ELi2ELb0E19rocblas_complex_numIdEPKS1_S1_EviT5_lT_lS4_lS5_liPT6_PT4_.uses_vcc, 1
	.set _ZL18rocblas_dot_kernelIiLb0ELi512ELi2ELb0E19rocblas_complex_numIdEPKS1_S1_EviT5_lT_lS4_lS5_liPT6_PT4_.uses_flat_scratch, 0
	.set _ZL18rocblas_dot_kernelIiLb0ELi512ELi2ELb0E19rocblas_complex_numIdEPKS1_S1_EviT5_lT_lS4_lS5_liPT6_PT4_.has_dyn_sized_stack, 0
	.set _ZL18rocblas_dot_kernelIiLb0ELi512ELi2ELb0E19rocblas_complex_numIdEPKS1_S1_EviT5_lT_lS4_lS5_liPT6_PT4_.has_recursion, 0
	.set _ZL18rocblas_dot_kernelIiLb0ELi512ELi2ELb0E19rocblas_complex_numIdEPKS1_S1_EviT5_lT_lS4_lS5_liPT6_PT4_.has_indirect_call, 0
	.section	.AMDGPU.csdata,"",@progbits
; Kernel info:
; codeLenInByte = 1412
; TotalNumSgprs: 41
; NumVgprs: 28
; ScratchSize: 0
; MemoryBound: 0
; FloatMode: 240
; IeeeMode: 1
; LDSByteSize: 512 bytes/workgroup (compile time only)
; SGPRBlocks: 0
; VGPRBlocks: 1
; NumSGPRsForWavesPerEU: 41
; NumVGPRsForWavesPerEU: 28
; NamedBarCnt: 0
; Occupancy: 16
; WaveLimiterHint : 0
; COMPUTE_PGM_RSRC2:SCRATCH_EN: 0
; COMPUTE_PGM_RSRC2:USER_SGPR: 2
; COMPUTE_PGM_RSRC2:TRAP_HANDLER: 0
; COMPUTE_PGM_RSRC2:TGID_X_EN: 1
; COMPUTE_PGM_RSRC2:TGID_Y_EN: 0
; COMPUTE_PGM_RSRC2:TGID_Z_EN: 1
; COMPUTE_PGM_RSRC2:TIDIG_COMP_CNT: 0
	.section	.text._ZL24rocblas_dot_kernel_magsqIiLb0ELi512ELi2ELb0E19rocblas_complex_numIdEPKS1_S1_EviT5_lT_liPT6_PT4_,"axG",@progbits,_ZL24rocblas_dot_kernel_magsqIiLb0ELi512ELi2ELb0E19rocblas_complex_numIdEPKS1_S1_EviT5_lT_liPT6_PT4_,comdat
	.globl	_ZL24rocblas_dot_kernel_magsqIiLb0ELi512ELi2ELb0E19rocblas_complex_numIdEPKS1_S1_EviT5_lT_liPT6_PT4_ ; -- Begin function _ZL24rocblas_dot_kernel_magsqIiLb0ELi512ELi2ELb0E19rocblas_complex_numIdEPKS1_S1_EviT5_lT_liPT6_PT4_
	.p2align	8
	.type	_ZL24rocblas_dot_kernel_magsqIiLb0ELi512ELi2ELb0E19rocblas_complex_numIdEPKS1_S1_EviT5_lT_liPT6_PT4_,@function
_ZL24rocblas_dot_kernel_magsqIiLb0ELi512ELi2ELb0E19rocblas_complex_numIdEPKS1_S1_EviT5_lT_liPT6_PT4_: ; @_ZL24rocblas_dot_kernel_magsqIiLb0ELi512ELi2ELb0E19rocblas_complex_numIdEPKS1_S1_EviT5_lT_liPT6_PT4_
; %bb.0:
	s_load_b32 s20, s[0:1], 0x28
	s_bfe_u32 s2, ttmp6, 0x40014
	s_lshr_b32 s3, ttmp7, 16
	s_add_co_i32 s2, s2, 1
	s_bfe_u32 s5, ttmp6, 0x40008
	s_mul_i32 s4, s3, s2
	s_getreg_b32 s2, hwreg(HW_REG_IB_STS2, 6, 4)
	s_add_co_i32 s5, s5, s4
	s_cmp_eq_u32 s2, 0
	s_mov_b32 s9, 0
	s_cselect_b32 s8, s3, s5
	s_wait_kmcnt 0x0
	s_cmp_ge_u32 s8, s20
	s_cbranch_scc1 .LBB52_21
; %bb.1:
	v_mbcnt_lo_u32_b32 v2, -1, 0
	s_clause 0x5
	s_load_b32 s10, s[0:1], 0x18
	s_load_b128 s[16:19], s[0:1], 0x8
	s_load_b32 s12, s[0:1], 0x40
	s_load_b128 s[4:7], s[0:1], 0x30
	s_load_b64 s[14:15], s[0:1], 0x20
	s_load_b32 s21, s[0:1], 0x0
	s_wait_xcnt 0x0
	s_bfe_u32 s0, ttmp6, 0x4000c
	s_and_b32 s1, ttmp6, 15
	s_add_co_i32 s3, s0, 1
	v_cmp_gt_u32_e32 vcc_lo, 24, v2
	s_mul_i32 s3, ttmp9, s3
	v_and_b32_e32 v1, 31, v0
	s_add_co_i32 s1, s1, s3
	v_cmp_gt_u32_e64 s0, 32, v0
	v_cndmask_b32_e64 v3, 0, 8, vcc_lo
	v_cmp_gt_u32_e32 vcc_lo, 28, v2
	v_lshl_or_b32 v13, v2, 2, 64
	v_cmp_eq_u32_e64 s3, 0, v0
	s_mov_b32 s13, s9
	v_add_lshl_u32 v14, v3, v2, 2
	v_cndmask_b32_e64 v4, 0, 4, vcc_lo
	v_cmp_gt_u32_e32 vcc_lo, 30, v2
	s_wait_kmcnt 0x0
	s_ashr_i32 s11, s10, 31
	s_lshl_b64 s[18:19], s[18:19], 4
	v_lshrrev_b32_e32 v3, 1, v0
	s_cmp_eq_u32 s2, 0
	v_cndmask_b32_e64 v5, 0, 2, vcc_lo
	v_cmp_ne_u32_e32 vcc_lo, 31, v2
	s_add_nc_u64 s[16:17], s[16:17], s[18:19]
	s_cselect_b32 s18, ttmp9, s1
	s_cmp_lg_u32 s12, 1
	s_mov_b32 s19, s9
	v_add_co_ci_u32_e64 v7, null, 0, v2, vcc_lo
	v_lshlrev_b32_e32 v12, 4, v1
	v_lshl_or_b32 v6, s18, 9, v0
	v_add_lshl_u32 v15, v4, v2, 2
	v_add_lshl_u32 v16, v5, v2, 2
	v_lshlrev_b32_e32 v17, 2, v7
	v_cmp_eq_u32_e64 s1, 0, v1
	v_and_b32_e32 v18, 0xf0, v3
	v_cmp_gt_u32_e64 s2, 16, v0
	v_mov_b32_e32 v0, 0
	s_cselect_b32 s22, -1, 0
	s_lshl_b64 s[18:19], s[18:19], 4
	s_lshl_b32 s23, s12, 9
	s_add_nc_u64 s[4:5], s[4:5], s[18:19]
	s_branch .LBB52_4
.LBB52_2:                               ;   in Loop: Header=BB52_4 Depth=1
	s_wait_dscnt 0x0
	global_store_b64 v0, v[4:5], s[18:19] offset:8
.LBB52_3:                               ;   in Loop: Header=BB52_4 Depth=1
	s_wait_xcnt 0x0
	s_or_b32 exec_lo, exec_lo, s24
	s_add_co_i32 s8, s8, 0x10000
	s_delay_alu instid0(SALU_CYCLE_1)
	s_cmp_lt_u32 s8, s20
	s_cbranch_scc0 .LBB52_21
.LBB52_4:                               ; =>This Inner Loop Header: Depth=1
	v_mov_b64_e32 v[8:9], 0
	s_wait_dscnt 0x0
	v_mov_b64_e32 v[4:5], 0
	s_mov_b32 s24, exec_lo
	v_cmpx_gt_i32_e64 s21, v6
	s_cbranch_execz .LBB52_8
; %bb.5:                                ;   in Loop: Header=BB52_4 Depth=1
	v_ashrrev_i32_e32 v7, 31, v6
	s_mul_u64 s[18:19], s[14:15], s[8:9]
	s_mov_b32 s25, exec_lo
	s_lshl_b64 s[18:19], s[18:19], 4
	s_delay_alu instid0(SALU_CYCLE_1) | instskip(SKIP_2) | instid1(VALU_DEP_2)
	s_add_nc_u64 s[18:19], s[16:17], s[18:19]
	v_mul_u64_e32 v[2:3], s[10:11], v[6:7]
	v_add_nc_u32_e32 v6, s23, v6
	v_lshl_add_u64 v[2:3], v[2:3], 4, s[18:19]
	global_load_b128 v[2:5], v[2:3], off
	s_wait_loadcnt 0x0
	v_mul_f64_e32 v[8:9], v[4:5], v[4:5]
	v_mul_f64_e32 v[4:5], v[2:3], v[4:5]
	s_delay_alu instid0(VALU_DEP_2) | instskip(NEXT) | instid1(VALU_DEP_2)
	v_fma_f64 v[8:9], v[2:3], v[2:3], -v[8:9]
	v_fma_f64 v[4:5], v[4:5], 2.0, 0
	s_wait_xcnt 0x0
	v_cmpx_gt_i32_e64 s21, v6
	s_cbranch_execz .LBB52_7
; %bb.6:                                ;   in Loop: Header=BB52_4 Depth=1
	v_ashrrev_i32_e32 v7, 31, v6
	s_delay_alu instid0(VALU_DEP_1) | instskip(SKIP_1) | instid1(VALU_DEP_2)
	v_mul_u64_e32 v[2:3], s[10:11], v[6:7]
	v_add_nc_u32_e32 v6, s23, v6
	v_lshl_add_u64 v[2:3], v[2:3], 4, s[18:19]
	global_load_b128 v[20:23], v[2:3], off
	s_wait_loadcnt 0x0
	s_wait_xcnt 0x0
	v_mul_f64_e32 v[2:3], v[22:23], v[22:23]
	v_mul_f64_e32 v[10:11], v[20:21], v[22:23]
	s_delay_alu instid0(VALU_DEP_2) | instskip(NEXT) | instid1(VALU_DEP_2)
	v_fma_f64 v[2:3], v[20:21], v[20:21], -v[2:3]
	v_fmac_f64_e32 v[4:5], 2.0, v[10:11]
	s_delay_alu instid0(VALU_DEP_2)
	v_add_f64_e32 v[8:9], v[8:9], v[2:3]
.LBB52_7:                               ;   in Loop: Header=BB52_4 Depth=1
	s_or_b32 exec_lo, exec_lo, s25
.LBB52_8:                               ;   in Loop: Header=BB52_4 Depth=1
	s_delay_alu instid0(SALU_CYCLE_1)
	s_or_b32 exec_lo, exec_lo, s24
	s_and_saveexec_b32 s18, s0
; %bb.9:                                ;   in Loop: Header=BB52_4 Depth=1
	v_dual_mov_b32 v1, v0 :: v_dual_mov_b32 v2, v0
	v_mov_b32_e32 v3, v0
	ds_store_b128 v12, v[0:3]
; %bb.10:                               ;   in Loop: Header=BB52_4 Depth=1
	s_or_b32 exec_lo, exec_lo, s18
	ds_bpermute_b32 v2, v13, v8
	ds_bpermute_b32 v3, v13, v9
	ds_bpermute_b32 v10, v13, v4
	ds_bpermute_b32 v11, v13, v5
	s_wait_dscnt 0x0
	s_barrier_signal -1
	s_barrier_wait -1
	v_add_f64_e32 v[2:3], v[8:9], v[2:3]
	v_add_f64_e32 v[4:5], v[4:5], v[10:11]
	ds_bpermute_b32 v8, v14, v2
	ds_bpermute_b32 v9, v14, v3
	ds_bpermute_b32 v10, v14, v4
	ds_bpermute_b32 v11, v14, v5
	s_wait_dscnt 0x2
	v_add_f64_e32 v[2:3], v[2:3], v[8:9]
	s_wait_dscnt 0x0
	v_add_f64_e32 v[4:5], v[4:5], v[10:11]
	ds_bpermute_b32 v8, v15, v2
	ds_bpermute_b32 v9, v15, v3
	ds_bpermute_b32 v10, v15, v4
	ds_bpermute_b32 v11, v15, v5
	s_wait_dscnt 0x2
	v_add_f64_e32 v[2:3], v[2:3], v[8:9]
	s_wait_dscnt 0x0
	v_add_f64_e32 v[4:5], v[4:5], v[10:11]
	ds_bpermute_b32 v8, v16, v2
	ds_bpermute_b32 v9, v16, v3
	ds_bpermute_b32 v10, v16, v4
	ds_bpermute_b32 v11, v16, v5
	s_wait_dscnt 0x2
	v_add_f64_e32 v[2:3], v[2:3], v[8:9]
	s_wait_dscnt 0x0
	v_add_f64_e32 v[8:9], v[4:5], v[10:11]
	ds_bpermute_b32 v4, v17, v2
	ds_bpermute_b32 v5, v17, v3
	;; [unrolled: 1-line block ×4, first 2 shown]
	s_and_saveexec_b32 s18, s1
	s_cbranch_execz .LBB52_12
; %bb.11:                               ;   in Loop: Header=BB52_4 Depth=1
	s_wait_dscnt 0x0
	v_add_f64_e32 v[10:11], v[8:9], v[10:11]
	v_add_f64_e32 v[8:9], v[2:3], v[4:5]
	ds_store_b128 v18, v[8:11]
.LBB52_12:                              ;   in Loop: Header=BB52_4 Depth=1
	s_or_b32 exec_lo, exec_lo, s18
	s_wait_dscnt 0x2
	v_mov_b64_e32 v[4:5], 0
	v_mov_b64_e32 v[2:3], 0
	s_wait_dscnt 0x0
	s_barrier_signal -1
	s_barrier_wait -1
	s_and_saveexec_b32 s18, s2
	s_cbranch_execnz .LBB52_15
; %bb.13:                               ;   in Loop: Header=BB52_4 Depth=1
	s_or_b32 exec_lo, exec_lo, s18
	s_and_saveexec_b32 s18, s0
	s_cbranch_execnz .LBB52_16
.LBB52_14:                              ;   in Loop: Header=BB52_4 Depth=1
	s_or_b32 exec_lo, exec_lo, s18
	s_and_saveexec_b32 s24, s3
	s_cbranch_execz .LBB52_3
	s_branch .LBB52_17
.LBB52_15:                              ;   in Loop: Header=BB52_4 Depth=1
	ds_load_b128 v[2:5], v12
	s_or_b32 exec_lo, exec_lo, s18
	s_and_saveexec_b32 s18, s0
	s_cbranch_execz .LBB52_14
.LBB52_16:                              ;   in Loop: Header=BB52_4 Depth=1
	s_wait_dscnt 0x0
	ds_bpermute_b32 v8, v14, v2
	ds_bpermute_b32 v9, v14, v3
	ds_bpermute_b32 v10, v14, v4
	ds_bpermute_b32 v11, v14, v5
	s_wait_dscnt 0x2
	v_add_f64_e32 v[2:3], v[2:3], v[8:9]
	s_wait_dscnt 0x0
	v_add_f64_e32 v[4:5], v[4:5], v[10:11]
	ds_bpermute_b32 v8, v15, v2
	ds_bpermute_b32 v9, v15, v3
	ds_bpermute_b32 v10, v15, v4
	ds_bpermute_b32 v11, v15, v5
	s_wait_dscnt 0x2
	v_add_f64_e32 v[2:3], v[2:3], v[8:9]
	s_wait_dscnt 0x0
	v_add_f64_e32 v[4:5], v[4:5], v[10:11]
	;; [unrolled: 8-line block ×4, first 2 shown]
	s_or_b32 exec_lo, exec_lo, s18
	s_and_saveexec_b32 s24, s3
	s_cbranch_execz .LBB52_3
.LBB52_17:                              ;   in Loop: Header=BB52_4 Depth=1
	s_and_b32 vcc_lo, exec_lo, s22
	s_mov_b32 s25, -1
                                        ; implicit-def: $sgpr18_sgpr19
	s_cbranch_vccz .LBB52_19
; %bb.18:                               ;   in Loop: Header=BB52_4 Depth=1
	s_mul_u64 s[18:19], s[12:13], s[8:9]
	s_mov_b32 s25, 0
	s_lshl_b64 s[18:19], s[18:19], 4
	s_delay_alu instid0(SALU_CYCLE_1)
	s_add_nc_u64 s[18:19], s[4:5], s[18:19]
	s_wait_dscnt 0x0
	global_store_b64 v0, v[2:3], s[18:19]
.LBB52_19:                              ;   in Loop: Header=BB52_4 Depth=1
	s_and_not1_b32 vcc_lo, exec_lo, s25
	s_cbranch_vccnz .LBB52_2
; %bb.20:                               ;   in Loop: Header=BB52_4 Depth=1
	s_wait_xcnt 0x0
	s_lshl_b64 s[18:19], s[8:9], 4
	s_delay_alu instid0(SALU_CYCLE_1)
	s_add_nc_u64 s[18:19], s[6:7], s[18:19]
	s_wait_dscnt 0x0
	global_store_b64 v0, v[2:3], s[18:19]
	s_branch .LBB52_2
.LBB52_21:
	s_endpgm
	.section	.rodata,"a",@progbits
	.p2align	6, 0x0
	.amdhsa_kernel _ZL24rocblas_dot_kernel_magsqIiLb0ELi512ELi2ELb0E19rocblas_complex_numIdEPKS1_S1_EviT5_lT_liPT6_PT4_
		.amdhsa_group_segment_fixed_size 512
		.amdhsa_private_segment_fixed_size 0
		.amdhsa_kernarg_size 320
		.amdhsa_user_sgpr_count 2
		.amdhsa_user_sgpr_dispatch_ptr 0
		.amdhsa_user_sgpr_queue_ptr 0
		.amdhsa_user_sgpr_kernarg_segment_ptr 1
		.amdhsa_user_sgpr_dispatch_id 0
		.amdhsa_user_sgpr_kernarg_preload_length 0
		.amdhsa_user_sgpr_kernarg_preload_offset 0
		.amdhsa_user_sgpr_private_segment_size 0
		.amdhsa_wavefront_size32 1
		.amdhsa_uses_dynamic_stack 0
		.amdhsa_enable_private_segment 0
		.amdhsa_system_sgpr_workgroup_id_x 1
		.amdhsa_system_sgpr_workgroup_id_y 0
		.amdhsa_system_sgpr_workgroup_id_z 1
		.amdhsa_system_sgpr_workgroup_info 0
		.amdhsa_system_vgpr_workitem_id 0
		.amdhsa_next_free_vgpr 24
		.amdhsa_next_free_sgpr 26
		.amdhsa_named_barrier_count 0
		.amdhsa_reserve_vcc 1
		.amdhsa_float_round_mode_32 0
		.amdhsa_float_round_mode_16_64 0
		.amdhsa_float_denorm_mode_32 3
		.amdhsa_float_denorm_mode_16_64 3
		.amdhsa_fp16_overflow 0
		.amdhsa_memory_ordered 1
		.amdhsa_forward_progress 1
		.amdhsa_inst_pref_size 11
		.amdhsa_round_robin_scheduling 0
		.amdhsa_exception_fp_ieee_invalid_op 0
		.amdhsa_exception_fp_denorm_src 0
		.amdhsa_exception_fp_ieee_div_zero 0
		.amdhsa_exception_fp_ieee_overflow 0
		.amdhsa_exception_fp_ieee_underflow 0
		.amdhsa_exception_fp_ieee_inexact 0
		.amdhsa_exception_int_div_zero 0
	.end_amdhsa_kernel
	.section	.text._ZL24rocblas_dot_kernel_magsqIiLb0ELi512ELi2ELb0E19rocblas_complex_numIdEPKS1_S1_EviT5_lT_liPT6_PT4_,"axG",@progbits,_ZL24rocblas_dot_kernel_magsqIiLb0ELi512ELi2ELb0E19rocblas_complex_numIdEPKS1_S1_EviT5_lT_liPT6_PT4_,comdat
.Lfunc_end52:
	.size	_ZL24rocblas_dot_kernel_magsqIiLb0ELi512ELi2ELb0E19rocblas_complex_numIdEPKS1_S1_EviT5_lT_liPT6_PT4_, .Lfunc_end52-_ZL24rocblas_dot_kernel_magsqIiLb0ELi512ELi2ELb0E19rocblas_complex_numIdEPKS1_S1_EviT5_lT_liPT6_PT4_
                                        ; -- End function
	.set _ZL24rocblas_dot_kernel_magsqIiLb0ELi512ELi2ELb0E19rocblas_complex_numIdEPKS1_S1_EviT5_lT_liPT6_PT4_.num_vgpr, 24
	.set _ZL24rocblas_dot_kernel_magsqIiLb0ELi512ELi2ELb0E19rocblas_complex_numIdEPKS1_S1_EviT5_lT_liPT6_PT4_.num_agpr, 0
	.set _ZL24rocblas_dot_kernel_magsqIiLb0ELi512ELi2ELb0E19rocblas_complex_numIdEPKS1_S1_EviT5_lT_liPT6_PT4_.numbered_sgpr, 26
	.set _ZL24rocblas_dot_kernel_magsqIiLb0ELi512ELi2ELb0E19rocblas_complex_numIdEPKS1_S1_EviT5_lT_liPT6_PT4_.num_named_barrier, 0
	.set _ZL24rocblas_dot_kernel_magsqIiLb0ELi512ELi2ELb0E19rocblas_complex_numIdEPKS1_S1_EviT5_lT_liPT6_PT4_.private_seg_size, 0
	.set _ZL24rocblas_dot_kernel_magsqIiLb0ELi512ELi2ELb0E19rocblas_complex_numIdEPKS1_S1_EviT5_lT_liPT6_PT4_.uses_vcc, 1
	.set _ZL24rocblas_dot_kernel_magsqIiLb0ELi512ELi2ELb0E19rocblas_complex_numIdEPKS1_S1_EviT5_lT_liPT6_PT4_.uses_flat_scratch, 0
	.set _ZL24rocblas_dot_kernel_magsqIiLb0ELi512ELi2ELb0E19rocblas_complex_numIdEPKS1_S1_EviT5_lT_liPT6_PT4_.has_dyn_sized_stack, 0
	.set _ZL24rocblas_dot_kernel_magsqIiLb0ELi512ELi2ELb0E19rocblas_complex_numIdEPKS1_S1_EviT5_lT_liPT6_PT4_.has_recursion, 0
	.set _ZL24rocblas_dot_kernel_magsqIiLb0ELi512ELi2ELb0E19rocblas_complex_numIdEPKS1_S1_EviT5_lT_liPT6_PT4_.has_indirect_call, 0
	.section	.AMDGPU.csdata,"",@progbits
; Kernel info:
; codeLenInByte = 1292
; TotalNumSgprs: 28
; NumVgprs: 24
; ScratchSize: 0
; MemoryBound: 0
; FloatMode: 240
; IeeeMode: 1
; LDSByteSize: 512 bytes/workgroup (compile time only)
; SGPRBlocks: 0
; VGPRBlocks: 1
; NumSGPRsForWavesPerEU: 28
; NumVGPRsForWavesPerEU: 24
; NamedBarCnt: 0
; Occupancy: 16
; WaveLimiterHint : 0
; COMPUTE_PGM_RSRC2:SCRATCH_EN: 0
; COMPUTE_PGM_RSRC2:USER_SGPR: 2
; COMPUTE_PGM_RSRC2:TRAP_HANDLER: 0
; COMPUTE_PGM_RSRC2:TGID_X_EN: 1
; COMPUTE_PGM_RSRC2:TGID_Y_EN: 0
; COMPUTE_PGM_RSRC2:TGID_Z_EN: 1
; COMPUTE_PGM_RSRC2:TIDIG_COMP_CNT: 0
	.section	.text._ZL30rocblas_reduction_kernel_part2ILi512ELi2E25rocblas_finalize_identity19rocblas_complex_numIdES2_EviPT2_PT3_,"axG",@progbits,_ZL30rocblas_reduction_kernel_part2ILi512ELi2E25rocblas_finalize_identity19rocblas_complex_numIdES2_EviPT2_PT3_,comdat
	.globl	_ZL30rocblas_reduction_kernel_part2ILi512ELi2E25rocblas_finalize_identity19rocblas_complex_numIdES2_EviPT2_PT3_ ; -- Begin function _ZL30rocblas_reduction_kernel_part2ILi512ELi2E25rocblas_finalize_identity19rocblas_complex_numIdES2_EviPT2_PT3_
	.p2align	8
	.type	_ZL30rocblas_reduction_kernel_part2ILi512ELi2E25rocblas_finalize_identity19rocblas_complex_numIdES2_EviPT2_PT3_,@function
_ZL30rocblas_reduction_kernel_part2ILi512ELi2E25rocblas_finalize_identity19rocblas_complex_numIdES2_EviPT2_PT3_: ; @_ZL30rocblas_reduction_kernel_part2ILi512ELi2E25rocblas_finalize_identity19rocblas_complex_numIdES2_EviPT2_PT3_
; %bb.0:
	s_clause 0x1
	s_load_b32 s6, s[0:1], 0x0
	s_load_b64 s[8:9], s[0:1], 0x8
	s_bfe_u32 s2, ttmp6, 0x4000c
	s_and_b32 s3, ttmp6, 15
	s_add_co_i32 s2, s2, 1
	s_getreg_b32 s4, hwreg(HW_REG_IB_STS2, 6, 4)
	s_mul_i32 s2, ttmp9, s2
	v_mov_b64_e32 v[2:3], 0
	s_add_co_i32 s3, s3, s2
	v_mov_b64_e32 v[4:5], 0
	v_lshlrev_b32_e32 v1, 1, v0
	s_wait_kmcnt 0x0
	s_ashr_i32 s7, s6, 31
	s_cmp_eq_u32 s4, 0
	s_mov_b32 s4, exec_lo
	s_cselect_b32 s2, ttmp9, s3
	s_lshr_b32 s3, s6, 31
	s_delay_alu instid0(SALU_CYCLE_1) | instskip(NEXT) | instid1(SALU_CYCLE_1)
	s_add_co_i32 s3, s6, s3
	s_and_b32 s12, s3, -2
	s_mov_b32 s3, 0
	s_delay_alu instid0(SALU_CYCLE_1)
	s_mul_u64 s[10:11], s[6:7], s[2:3]
	v_cmpx_gt_i32_e64 s12, v1
	s_cbranch_execz .LBB53_4
; %bb.1:
	v_dual_mov_b32 v3, 0 :: v_dual_lshlrev_b32 v2, 5, v0
	s_lshl_b64 s[14:15], s[10:11], 4
	s_mov_b32 s5, s3
	s_add_nc_u64 s[14:15], s[8:9], s[14:15]
	s_delay_alu instid0(VALU_DEP_1) | instid1(SALU_CYCLE_1)
	v_add_nc_u64_e32 v[4:5], s[14:15], v[2:3]
	v_mov_b64_e32 v[2:3], 0
	s_delay_alu instid0(VALU_DEP_2)
	v_add_nc_u64_e32 v[6:7], 16, v[4:5]
	v_mov_b64_e32 v[4:5], 0
.LBB53_2:                               ; =>This Inner Loop Header: Depth=1
	s_clause 0x1
	global_load_b128 v[8:11], v[6:7], off offset:-16
	global_load_b128 v[12:15], v[6:7], off
	v_add_nc_u32_e32 v1, 0x400, v1
	s_wait_xcnt 0x0
	v_add_nc_u64_e32 v[6:7], 0x4000, v[6:7]
	s_delay_alu instid0(VALU_DEP_2)
	v_cmp_le_i32_e32 vcc_lo, s12, v1
	s_or_b32 s5, vcc_lo, s5
	s_wait_loadcnt 0x1
	v_add_f64_e32 v[4:5], v[4:5], v[8:9]
	v_add_f64_e32 v[2:3], v[2:3], v[10:11]
	s_wait_loadcnt 0x0
	s_delay_alu instid0(VALU_DEP_2) | instskip(NEXT) | instid1(VALU_DEP_2)
	v_add_f64_e32 v[4:5], v[4:5], v[12:13]
	v_add_f64_e32 v[2:3], v[2:3], v[14:15]
	s_and_not1_b32 exec_lo, exec_lo, s5
	s_cbranch_execnz .LBB53_2
; %bb.3:
	s_or_b32 exec_lo, exec_lo, s5
.LBB53_4:
	s_delay_alu instid0(SALU_CYCLE_1) | instskip(SKIP_3) | instid1(SALU_CYCLE_1)
	s_or_b32 exec_lo, exec_lo, s4
	s_load_b64 s[4:5], s[0:1], 0x10
	s_wait_xcnt 0x0
	s_sub_co_i32 s0, s6, s12
	v_cmp_gt_u32_e32 vcc_lo, s0, v0
	s_and_saveexec_b32 s0, vcc_lo
	s_cbranch_execz .LBB53_6
; %bb.5:
	v_xad_u32 v1, v0, -1, s6
	s_lshl_b64 s[6:7], s[10:11], 4
	s_delay_alu instid0(SALU_CYCLE_1)
	s_add_nc_u64 s[6:7], s[8:9], s[6:7]
	global_load_b128 v[6:9], v1, s[6:7] scale_offset
	s_wait_loadcnt 0x0
	v_add_f64_e32 v[4:5], v[4:5], v[6:7]
	v_add_f64_e32 v[2:3], v[2:3], v[8:9]
.LBB53_6:
	s_or_b32 exec_lo, exec_lo, s0
	v_and_b32_e32 v14, 31, v0
	v_cmp_gt_u32_e32 vcc_lo, 32, v0
	s_delay_alu instid0(VALU_DEP_2)
	v_lshlrev_b32_e32 v1, 4, v14
	s_and_saveexec_b32 s0, vcc_lo
	s_cbranch_execz .LBB53_8
; %bb.7:
	v_mov_b32_e32 v6, 0
	s_delay_alu instid0(VALU_DEP_1)
	v_dual_mov_b32 v7, v6 :: v_dual_mov_b32 v8, v6
	v_mov_b32_e32 v9, v6
	ds_store_b128 v1, v[6:9]
.LBB53_8:
	s_or_b32 exec_lo, exec_lo, s0
	v_mbcnt_lo_u32_b32 v13, -1, 0
	s_mov_b32 s1, exec_lo
	s_wait_dscnt 0x0
	s_barrier_signal -1
	s_barrier_wait -1
	v_lshl_or_b32 v9, v13, 2, 64
	v_cmp_gt_u32_e64 s0, 24, v13
	ds_bpermute_b32 v6, v9, v4
	ds_bpermute_b32 v7, v9, v5
	;; [unrolled: 1-line block ×4, first 2 shown]
	s_wait_dscnt 0x2
	v_add_f64_e32 v[4:5], v[4:5], v[6:7]
	v_cndmask_b32_e64 v6, 0, 8, s0
	s_wait_dscnt 0x0
	v_add_f64_e32 v[2:3], v[2:3], v[8:9]
	v_cmp_gt_u32_e64 s0, 28, v13
	s_delay_alu instid0(VALU_DEP_3)
	v_add_lshl_u32 v10, v6, v13, 2
	ds_bpermute_b32 v6, v10, v4
	ds_bpermute_b32 v7, v10, v5
	;; [unrolled: 1-line block ×4, first 2 shown]
	s_wait_dscnt 0x2
	v_add_f64_e32 v[4:5], v[4:5], v[6:7]
	v_cndmask_b32_e64 v6, 0, 4, s0
	s_wait_dscnt 0x0
	v_add_f64_e32 v[2:3], v[2:3], v[8:9]
	v_cmp_gt_u32_e64 s0, 30, v13
	s_delay_alu instid0(VALU_DEP_3)
	v_add_lshl_u32 v11, v6, v13, 2
	ds_bpermute_b32 v6, v11, v4
	ds_bpermute_b32 v7, v11, v5
	;; [unrolled: 1-line block ×4, first 2 shown]
	s_wait_dscnt 0x2
	v_add_f64_e32 v[4:5], v[4:5], v[6:7]
	s_wait_dscnt 0x0
	v_add_f64_e32 v[6:7], v[2:3], v[8:9]
	v_cndmask_b32_e64 v2, 0, 2, s0
	v_cmp_ne_u32_e64 s0, 31, v13
	s_delay_alu instid0(VALU_DEP_2)
	v_add_lshl_u32 v12, v2, v13, 2
	ds_bpermute_b32 v2, v12, v4
	ds_bpermute_b32 v3, v12, v5
	;; [unrolled: 1-line block ×4, first 2 shown]
	s_wait_dscnt 0x2
	v_add_f64_e32 v[2:3], v[4:5], v[2:3]
	s_wait_dscnt 0x0
	v_add_f64_e32 v[4:5], v[6:7], v[8:9]
	v_add_co_ci_u32_e64 v6, null, 0, v13, s0
	s_delay_alu instid0(VALU_DEP_1)
	v_lshlrev_b32_e32 v13, 2, v6
	ds_bpermute_b32 v6, v13, v2
	ds_bpermute_b32 v7, v13, v3
	;; [unrolled: 1-line block ×4, first 2 shown]
	v_cmpx_eq_u32_e32 0, v14
	s_cbranch_execz .LBB53_10
; %bb.9:
	s_wait_dscnt 0x0
	v_add_f64_e32 v[4:5], v[4:5], v[8:9]
	v_dual_add_f64 v[2:3], v[2:3], v[6:7] :: v_dual_lshrrev_b32 v6, 1, v0
	s_delay_alu instid0(VALU_DEP_1)
	v_and_b32_e32 v6, 0xf0, v6
	ds_store_b128 v6, v[2:5]
.LBB53_10:
	s_or_b32 exec_lo, exec_lo, s1
	v_mov_b64_e32 v[4:5], 0
	v_mov_b64_e32 v[2:3], 0
	s_mov_b32 s1, exec_lo
	s_wait_dscnt 0x0
	s_barrier_signal -1
	s_barrier_wait -1
	v_cmpx_gt_u32_e32 16, v0
; %bb.11:
	ds_load_b128 v[2:5], v1
; %bb.12:
	s_or_b32 exec_lo, exec_lo, s1
	s_and_saveexec_b32 s0, vcc_lo
	s_cbranch_execz .LBB53_14
; %bb.13:
	s_wait_dscnt 0x0
	ds_bpermute_b32 v6, v10, v2
	ds_bpermute_b32 v7, v10, v3
	ds_bpermute_b32 v8, v10, v4
	ds_bpermute_b32 v9, v10, v5
	s_wait_dscnt 0x2
	v_add_f64_e32 v[2:3], v[2:3], v[6:7]
	s_wait_dscnt 0x0
	v_add_f64_e32 v[4:5], v[4:5], v[8:9]
	ds_bpermute_b32 v6, v11, v2
	ds_bpermute_b32 v7, v11, v3
	ds_bpermute_b32 v8, v11, v4
	ds_bpermute_b32 v9, v11, v5
	s_wait_dscnt 0x2
	v_add_f64_e32 v[2:3], v[2:3], v[6:7]
	s_wait_dscnt 0x0
	v_add_f64_e32 v[4:5], v[4:5], v[8:9]
	;; [unrolled: 8-line block ×4, first 2 shown]
.LBB53_14:
	s_or_b32 exec_lo, exec_lo, s0
	s_delay_alu instid0(SALU_CYCLE_1)
	s_mov_b32 s0, exec_lo
	v_cmpx_eq_u32_e32 0, v0
	s_cbranch_execz .LBB53_16
; %bb.15:
	v_mov_b32_e32 v0, 0
	s_lshl_b64 s[0:1], s[2:3], 4
	s_wait_kmcnt 0x0
	s_add_nc_u64 s[0:1], s[4:5], s[0:1]
	s_wait_dscnt 0x0
	global_store_b128 v0, v[2:5], s[0:1]
.LBB53_16:
	s_endpgm
	.section	.rodata,"a",@progbits
	.p2align	6, 0x0
	.amdhsa_kernel _ZL30rocblas_reduction_kernel_part2ILi512ELi2E25rocblas_finalize_identity19rocblas_complex_numIdES2_EviPT2_PT3_
		.amdhsa_group_segment_fixed_size 512
		.amdhsa_private_segment_fixed_size 0
		.amdhsa_kernarg_size 24
		.amdhsa_user_sgpr_count 2
		.amdhsa_user_sgpr_dispatch_ptr 0
		.amdhsa_user_sgpr_queue_ptr 0
		.amdhsa_user_sgpr_kernarg_segment_ptr 1
		.amdhsa_user_sgpr_dispatch_id 0
		.amdhsa_user_sgpr_kernarg_preload_length 0
		.amdhsa_user_sgpr_kernarg_preload_offset 0
		.amdhsa_user_sgpr_private_segment_size 0
		.amdhsa_wavefront_size32 1
		.amdhsa_uses_dynamic_stack 0
		.amdhsa_enable_private_segment 0
		.amdhsa_system_sgpr_workgroup_id_x 1
		.amdhsa_system_sgpr_workgroup_id_y 0
		.amdhsa_system_sgpr_workgroup_id_z 0
		.amdhsa_system_sgpr_workgroup_info 0
		.amdhsa_system_vgpr_workitem_id 0
		.amdhsa_next_free_vgpr 16
		.amdhsa_next_free_sgpr 16
		.amdhsa_named_barrier_count 0
		.amdhsa_reserve_vcc 1
		.amdhsa_float_round_mode_32 0
		.amdhsa_float_round_mode_16_64 0
		.amdhsa_float_denorm_mode_32 3
		.amdhsa_float_denorm_mode_16_64 3
		.amdhsa_fp16_overflow 0
		.amdhsa_memory_ordered 1
		.amdhsa_forward_progress 1
		.amdhsa_inst_pref_size 9
		.amdhsa_round_robin_scheduling 0
		.amdhsa_exception_fp_ieee_invalid_op 0
		.amdhsa_exception_fp_denorm_src 0
		.amdhsa_exception_fp_ieee_div_zero 0
		.amdhsa_exception_fp_ieee_overflow 0
		.amdhsa_exception_fp_ieee_underflow 0
		.amdhsa_exception_fp_ieee_inexact 0
		.amdhsa_exception_int_div_zero 0
	.end_amdhsa_kernel
	.section	.text._ZL30rocblas_reduction_kernel_part2ILi512ELi2E25rocblas_finalize_identity19rocblas_complex_numIdES2_EviPT2_PT3_,"axG",@progbits,_ZL30rocblas_reduction_kernel_part2ILi512ELi2E25rocblas_finalize_identity19rocblas_complex_numIdES2_EviPT2_PT3_,comdat
.Lfunc_end53:
	.size	_ZL30rocblas_reduction_kernel_part2ILi512ELi2E25rocblas_finalize_identity19rocblas_complex_numIdES2_EviPT2_PT3_, .Lfunc_end53-_ZL30rocblas_reduction_kernel_part2ILi512ELi2E25rocblas_finalize_identity19rocblas_complex_numIdES2_EviPT2_PT3_
                                        ; -- End function
	.set _ZL30rocblas_reduction_kernel_part2ILi512ELi2E25rocblas_finalize_identity19rocblas_complex_numIdES2_EviPT2_PT3_.num_vgpr, 16
	.set _ZL30rocblas_reduction_kernel_part2ILi512ELi2E25rocblas_finalize_identity19rocblas_complex_numIdES2_EviPT2_PT3_.num_agpr, 0
	.set _ZL30rocblas_reduction_kernel_part2ILi512ELi2E25rocblas_finalize_identity19rocblas_complex_numIdES2_EviPT2_PT3_.numbered_sgpr, 16
	.set _ZL30rocblas_reduction_kernel_part2ILi512ELi2E25rocblas_finalize_identity19rocblas_complex_numIdES2_EviPT2_PT3_.num_named_barrier, 0
	.set _ZL30rocblas_reduction_kernel_part2ILi512ELi2E25rocblas_finalize_identity19rocblas_complex_numIdES2_EviPT2_PT3_.private_seg_size, 0
	.set _ZL30rocblas_reduction_kernel_part2ILi512ELi2E25rocblas_finalize_identity19rocblas_complex_numIdES2_EviPT2_PT3_.uses_vcc, 1
	.set _ZL30rocblas_reduction_kernel_part2ILi512ELi2E25rocblas_finalize_identity19rocblas_complex_numIdES2_EviPT2_PT3_.uses_flat_scratch, 0
	.set _ZL30rocblas_reduction_kernel_part2ILi512ELi2E25rocblas_finalize_identity19rocblas_complex_numIdES2_EviPT2_PT3_.has_dyn_sized_stack, 0
	.set _ZL30rocblas_reduction_kernel_part2ILi512ELi2E25rocblas_finalize_identity19rocblas_complex_numIdES2_EviPT2_PT3_.has_recursion, 0
	.set _ZL30rocblas_reduction_kernel_part2ILi512ELi2E25rocblas_finalize_identity19rocblas_complex_numIdES2_EviPT2_PT3_.has_indirect_call, 0
	.section	.AMDGPU.csdata,"",@progbits
; Kernel info:
; codeLenInByte = 1120
; TotalNumSgprs: 18
; NumVgprs: 16
; ScratchSize: 0
; MemoryBound: 0
; FloatMode: 240
; IeeeMode: 1
; LDSByteSize: 512 bytes/workgroup (compile time only)
; SGPRBlocks: 0
; VGPRBlocks: 0
; NumSGPRsForWavesPerEU: 18
; NumVGPRsForWavesPerEU: 16
; NamedBarCnt: 0
; Occupancy: 16
; WaveLimiterHint : 0
; COMPUTE_PGM_RSRC2:SCRATCH_EN: 0
; COMPUTE_PGM_RSRC2:USER_SGPR: 2
; COMPUTE_PGM_RSRC2:TRAP_HANDLER: 0
; COMPUTE_PGM_RSRC2:TGID_X_EN: 1
; COMPUTE_PGM_RSRC2:TGID_Y_EN: 0
; COMPUTE_PGM_RSRC2:TGID_Z_EN: 0
; COMPUTE_PGM_RSRC2:TIDIG_COMP_CNT: 0
	.section	.text._ZL28rocblas_dot_batched_4_kernelIiLi32ELi4ELb1E19rocblas_complex_numIfES1_PKS1_EviT5_lT_lS4_lS5_liPT4_,"axG",@progbits,_ZL28rocblas_dot_batched_4_kernelIiLi32ELi4ELb1E19rocblas_complex_numIfES1_PKS1_EviT5_lT_lS4_lS5_liPT4_,comdat
	.globl	_ZL28rocblas_dot_batched_4_kernelIiLi32ELi4ELb1E19rocblas_complex_numIfES1_PKS1_EviT5_lT_lS4_lS5_liPT4_ ; -- Begin function _ZL28rocblas_dot_batched_4_kernelIiLi32ELi4ELb1E19rocblas_complex_numIfES1_PKS1_EviT5_lT_lS4_lS5_liPT4_
	.p2align	8
	.type	_ZL28rocblas_dot_batched_4_kernelIiLi32ELi4ELb1E19rocblas_complex_numIfES1_PKS1_EviT5_lT_lS4_lS5_liPT4_,@function
_ZL28rocblas_dot_batched_4_kernelIiLi32ELi4ELb1E19rocblas_complex_numIfES1_PKS1_EviT5_lT_lS4_lS5_liPT4_: ; @_ZL28rocblas_dot_batched_4_kernelIiLi32ELi4ELb1E19rocblas_complex_numIfES1_PKS1_EviT5_lT_lS4_lS5_liPT4_
; %bb.0:
	s_load_b32 s2, s[0:1], 0x48
	s_bfe_u32 s3, ttmp6, 0x4000c
	s_and_b32 s4, ttmp6, 15
	s_add_co_i32 s3, s3, 1
	v_bfe_u32 v1, v0, 10, 10
	s_mul_i32 s3, ttmp9, s3
	s_delay_alu instid0(SALU_CYCLE_1) | instskip(SKIP_1) | instid1(SALU_CYCLE_1)
	s_add_co_i32 s4, s4, s3
	s_getreg_b32 s3, hwreg(HW_REG_IB_STS2, 6, 4)
	s_cmp_eq_u32 s3, 0
	s_cselect_b32 s3, ttmp9, s4
	s_delay_alu instid0(SALU_CYCLE_1) | instskip(SKIP_1) | instid1(VALU_DEP_1)
	v_lshl_add_u32 v2, s3, 2, v1
	s_wait_kmcnt 0x0
	v_cmp_gt_u32_e32 vcc_lo, s2, v2
	s_and_saveexec_b32 s2, vcc_lo
	s_cbranch_execz .LBB54_7
; %bb.1:
	s_load_b32 s6, s[0:1], 0x0
	v_mov_b32_e32 v3, 0
	v_and_b32_e32 v0, 0x3ff, v0
	s_mov_b32 s7, exec_lo
	s_delay_alu instid0(VALU_DEP_2) | instskip(SKIP_1) | instid1(VALU_DEP_2)
	v_dual_mov_b32 v5, v3 :: v_dual_mov_b32 v4, v3
	s_wait_kmcnt 0x0
	v_cmpx_gt_i32_e64 s6, v0
	s_cbranch_execz .LBB54_5
; %bb.2:
	s_clause 0x3
	s_load_b128 s[8:11], s[0:1], 0x20
	s_load_b32 s2, s[0:1], 0x18
	s_load_b64 s[4:5], s[0:1], 0x40
	s_load_b96 s[16:18], s[0:1], 0x30
	v_mov_b32_e32 v1, 0
	s_load_b128 s[12:15], s[0:1], 0x8
	s_wait_kmcnt 0x0
	v_mul_u64_e32 v[4:5], s[8:9], v[2:3]
	s_ashr_i32 s3, s2, 31
	v_mul_u64_e32 v[6:7], s[4:5], v[2:3]
	s_ashr_i32 s5, s18, 31
	s_mov_b32 s4, s18
	s_lshl_b64 s[8:9], s[14:15], 3
	v_mul_u64_e32 v[10:11], s[4:5], v[0:1]
	s_add_nc_u64 s[8:9], s[12:13], s[8:9]
	s_lshl_b64 s[4:5], s[4:5], 8
	s_delay_alu instid0(VALU_DEP_3) | instskip(NEXT) | instid1(VALU_DEP_3)
	v_lshlrev_b64_e32 v[4:5], 3, v[4:5]
	v_lshlrev_b64_e32 v[6:7], 3, v[6:7]
	s_delay_alu instid0(VALU_DEP_1) | instskip(SKIP_3) | instid1(VALU_DEP_1)
	v_lshl_add_u64 v[6:7], v[10:11], 3, v[6:7]
	v_mov_b32_e32 v10, v0
	v_mul_u64_e32 v[8:9], s[2:3], v[0:1]
	s_lshl_b64 s[2:3], s[2:3], 8
	v_lshl_add_u64 v[4:5], v[8:9], 3, v[4:5]
	s_delay_alu instid0(VALU_DEP_1) | instskip(SKIP_1) | instid1(SALU_CYCLE_1)
	v_add_nc_u64_e32 v[4:5], s[8:9], v[4:5]
	s_lshl_b64 s[8:9], s[16:17], 3
	s_add_nc_u64 s[8:9], s[10:11], s[8:9]
	s_delay_alu instid0(SALU_CYCLE_1) | instskip(SKIP_1) | instid1(VALU_DEP_2)
	v_add_nc_u64_e32 v[6:7], s[8:9], v[6:7]
	s_mov_b32 s8, 0
	v_add_nc_u64_e32 v[8:9], 4, v[4:5]
	v_dual_mov_b32 v4, v1 :: v_dual_mov_b32 v5, v1
.LBB54_3:                               ; =>This Inner Loop Header: Depth=1
	global_load_b64 v[12:13], v[8:9], off offset:-4
	global_load_b64 v[14:15], v[6:7], off
	s_wait_xcnt 0x1
	v_add_nc_u64_e32 v[8:9], s[2:3], v[8:9]
	s_wait_xcnt 0x0
	v_add_nc_u64_e32 v[6:7], s[4:5], v[6:7]
	s_wait_loadcnt 0x0
	v_pk_mul_f32 v[16:17], v[12:13], v[14:15] op_sel:[1,1] op_sel_hi:[1,0]
	s_delay_alu instid0(VALU_DEP_1) | instskip(SKIP_2) | instid1(VALU_DEP_3)
	v_pk_fma_f32 v[18:19], v[12:13], v[14:15], v[16:17] op_sel_hi:[0,1,1] neg_lo:[0,0,1] neg_hi:[0,0,1]
	v_add_nc_u32_e32 v10, 32, v10
	v_pk_fma_f32 v[12:13], v[12:13], v[14:15], v[16:17]
	v_mov_b32_e32 v13, v19
	s_delay_alu instid0(VALU_DEP_3) | instskip(NEXT) | instid1(VALU_DEP_2)
	v_cmp_le_i32_e32 vcc_lo, s6, v10
	v_pk_add_f32 v[4:5], v[4:5], v[12:13]
	s_or_b32 s8, vcc_lo, s8
	s_delay_alu instid0(SALU_CYCLE_1)
	s_and_not1_b32 exec_lo, exec_lo, s8
	s_cbranch_execnz .LBB54_3
; %bb.4:
	s_or_b32 exec_lo, exec_lo, s8
.LBB54_5:
	s_delay_alu instid0(SALU_CYCLE_1) | instskip(SKIP_4) | instid1(VALU_DEP_1)
	s_or_b32 exec_lo, exec_lo, s7
	v_mbcnt_lo_u32_b32 v1, -1, 0
	s_load_b64 s[0:1], s[0:1], 0x50
	s_barrier_signal -1
	s_barrier_wait -1
	v_lshl_or_b32 v7, v1, 2, 64
	v_cmp_gt_u32_e32 vcc_lo, 24, v1
	ds_bpermute_b32 v6, v7, v4
	ds_bpermute_b32 v7, v7, v5
	v_cndmask_b32_e64 v8, 0, 8, vcc_lo
	v_cmp_gt_u32_e32 vcc_lo, 28, v1
	s_delay_alu instid0(VALU_DEP_2)
	v_add_lshl_u32 v8, v8, v1, 2
	s_wait_dscnt 0x0
	v_pk_add_f32 v[4:5], v[4:5], v[6:7]
	ds_bpermute_b32 v6, v8, v4
	ds_bpermute_b32 v7, v8, v5
	v_cndmask_b32_e64 v8, 0, 4, vcc_lo
	v_cmp_gt_u32_e32 vcc_lo, 30, v1
	s_delay_alu instid0(VALU_DEP_2)
	v_add_lshl_u32 v8, v8, v1, 2
	s_wait_dscnt 0x0
	v_pk_add_f32 v[4:5], v[4:5], v[6:7]
	ds_bpermute_b32 v6, v8, v4
	ds_bpermute_b32 v7, v8, v5
	v_cndmask_b32_e64 v8, 0, 2, vcc_lo
	v_cmp_ne_u32_e32 vcc_lo, 31, v1
	s_delay_alu instid0(VALU_DEP_2) | instskip(SKIP_2) | instid1(VALU_DEP_2)
	v_add_lshl_u32 v8, v8, v1, 2
	v_add_co_ci_u32_e64 v1, null, 0, v1, vcc_lo
	v_cmp_eq_u32_e32 vcc_lo, 0, v0
	v_lshlrev_b32_e32 v1, 2, v1
	s_wait_dscnt 0x0
	v_pk_add_f32 v[4:5], v[4:5], v[6:7]
	ds_bpermute_b32 v6, v8, v4
	ds_bpermute_b32 v7, v8, v5
	s_wait_dscnt 0x0
	v_pk_add_f32 v[4:5], v[4:5], v[6:7]
	ds_bpermute_b32 v6, v1, v4
	ds_bpermute_b32 v7, v1, v5
	s_and_b32 exec_lo, exec_lo, vcc_lo
	s_cbranch_execz .LBB54_7
; %bb.6:
	s_wait_kmcnt 0x0
	v_lshl_add_u64 v[0:1], v[2:3], 3, s[0:1]
	s_wait_dscnt 0x0
	v_pk_add_f32 v[2:3], v[4:5], v[6:7]
	global_store_b64 v[0:1], v[2:3], off
.LBB54_7:
	s_endpgm
	.section	.rodata,"a",@progbits
	.p2align	6, 0x0
	.amdhsa_kernel _ZL28rocblas_dot_batched_4_kernelIiLi32ELi4ELb1E19rocblas_complex_numIfES1_PKS1_EviT5_lT_lS4_lS5_liPT4_
		.amdhsa_group_segment_fixed_size 0
		.amdhsa_private_segment_fixed_size 0
		.amdhsa_kernarg_size 88
		.amdhsa_user_sgpr_count 2
		.amdhsa_user_sgpr_dispatch_ptr 0
		.amdhsa_user_sgpr_queue_ptr 0
		.amdhsa_user_sgpr_kernarg_segment_ptr 1
		.amdhsa_user_sgpr_dispatch_id 0
		.amdhsa_user_sgpr_kernarg_preload_length 0
		.amdhsa_user_sgpr_kernarg_preload_offset 0
		.amdhsa_user_sgpr_private_segment_size 0
		.amdhsa_wavefront_size32 1
		.amdhsa_uses_dynamic_stack 0
		.amdhsa_enable_private_segment 0
		.amdhsa_system_sgpr_workgroup_id_x 1
		.amdhsa_system_sgpr_workgroup_id_y 0
		.amdhsa_system_sgpr_workgroup_id_z 0
		.amdhsa_system_sgpr_workgroup_info 0
		.amdhsa_system_vgpr_workitem_id 1
		.amdhsa_next_free_vgpr 20
		.amdhsa_next_free_sgpr 19
		.amdhsa_named_barrier_count 0
		.amdhsa_reserve_vcc 1
		.amdhsa_float_round_mode_32 0
		.amdhsa_float_round_mode_16_64 0
		.amdhsa_float_denorm_mode_32 3
		.amdhsa_float_denorm_mode_16_64 3
		.amdhsa_fp16_overflow 0
		.amdhsa_memory_ordered 1
		.amdhsa_forward_progress 1
		.amdhsa_inst_pref_size 6
		.amdhsa_round_robin_scheduling 0
		.amdhsa_exception_fp_ieee_invalid_op 0
		.amdhsa_exception_fp_denorm_src 0
		.amdhsa_exception_fp_ieee_div_zero 0
		.amdhsa_exception_fp_ieee_overflow 0
		.amdhsa_exception_fp_ieee_underflow 0
		.amdhsa_exception_fp_ieee_inexact 0
		.amdhsa_exception_int_div_zero 0
	.end_amdhsa_kernel
	.section	.text._ZL28rocblas_dot_batched_4_kernelIiLi32ELi4ELb1E19rocblas_complex_numIfES1_PKS1_EviT5_lT_lS4_lS5_liPT4_,"axG",@progbits,_ZL28rocblas_dot_batched_4_kernelIiLi32ELi4ELb1E19rocblas_complex_numIfES1_PKS1_EviT5_lT_lS4_lS5_liPT4_,comdat
.Lfunc_end54:
	.size	_ZL28rocblas_dot_batched_4_kernelIiLi32ELi4ELb1E19rocblas_complex_numIfES1_PKS1_EviT5_lT_lS4_lS5_liPT4_, .Lfunc_end54-_ZL28rocblas_dot_batched_4_kernelIiLi32ELi4ELb1E19rocblas_complex_numIfES1_PKS1_EviT5_lT_lS4_lS5_liPT4_
                                        ; -- End function
	.set _ZL28rocblas_dot_batched_4_kernelIiLi32ELi4ELb1E19rocblas_complex_numIfES1_PKS1_EviT5_lT_lS4_lS5_liPT4_.num_vgpr, 20
	.set _ZL28rocblas_dot_batched_4_kernelIiLi32ELi4ELb1E19rocblas_complex_numIfES1_PKS1_EviT5_lT_lS4_lS5_liPT4_.num_agpr, 0
	.set _ZL28rocblas_dot_batched_4_kernelIiLi32ELi4ELb1E19rocblas_complex_numIfES1_PKS1_EviT5_lT_lS4_lS5_liPT4_.numbered_sgpr, 19
	.set _ZL28rocblas_dot_batched_4_kernelIiLi32ELi4ELb1E19rocblas_complex_numIfES1_PKS1_EviT5_lT_lS4_lS5_liPT4_.num_named_barrier, 0
	.set _ZL28rocblas_dot_batched_4_kernelIiLi32ELi4ELb1E19rocblas_complex_numIfES1_PKS1_EviT5_lT_lS4_lS5_liPT4_.private_seg_size, 0
	.set _ZL28rocblas_dot_batched_4_kernelIiLi32ELi4ELb1E19rocblas_complex_numIfES1_PKS1_EviT5_lT_lS4_lS5_liPT4_.uses_vcc, 1
	.set _ZL28rocblas_dot_batched_4_kernelIiLi32ELi4ELb1E19rocblas_complex_numIfES1_PKS1_EviT5_lT_lS4_lS5_liPT4_.uses_flat_scratch, 0
	.set _ZL28rocblas_dot_batched_4_kernelIiLi32ELi4ELb1E19rocblas_complex_numIfES1_PKS1_EviT5_lT_lS4_lS5_liPT4_.has_dyn_sized_stack, 0
	.set _ZL28rocblas_dot_batched_4_kernelIiLi32ELi4ELb1E19rocblas_complex_numIfES1_PKS1_EviT5_lT_lS4_lS5_liPT4_.has_recursion, 0
	.set _ZL28rocblas_dot_batched_4_kernelIiLi32ELi4ELb1E19rocblas_complex_numIfES1_PKS1_EviT5_lT_lS4_lS5_liPT4_.has_indirect_call, 0
	.section	.AMDGPU.csdata,"",@progbits
; Kernel info:
; codeLenInByte = 732
; TotalNumSgprs: 21
; NumVgprs: 20
; ScratchSize: 0
; MemoryBound: 0
; FloatMode: 240
; IeeeMode: 1
; LDSByteSize: 0 bytes/workgroup (compile time only)
; SGPRBlocks: 0
; VGPRBlocks: 1
; NumSGPRsForWavesPerEU: 21
; NumVGPRsForWavesPerEU: 20
; NamedBarCnt: 0
; Occupancy: 16
; WaveLimiterHint : 0
; COMPUTE_PGM_RSRC2:SCRATCH_EN: 0
; COMPUTE_PGM_RSRC2:USER_SGPR: 2
; COMPUTE_PGM_RSRC2:TRAP_HANDLER: 0
; COMPUTE_PGM_RSRC2:TGID_X_EN: 1
; COMPUTE_PGM_RSRC2:TGID_Y_EN: 0
; COMPUTE_PGM_RSRC2:TGID_Z_EN: 0
; COMPUTE_PGM_RSRC2:TIDIG_COMP_CNT: 1
	.section	.text._ZL28rocblas_dot_batched_4_kernelIiLi64ELi4ELb1E19rocblas_complex_numIfES1_PKS1_EviT5_lT_lS4_lS5_liPT4_,"axG",@progbits,_ZL28rocblas_dot_batched_4_kernelIiLi64ELi4ELb1E19rocblas_complex_numIfES1_PKS1_EviT5_lT_lS4_lS5_liPT4_,comdat
	.globl	_ZL28rocblas_dot_batched_4_kernelIiLi64ELi4ELb1E19rocblas_complex_numIfES1_PKS1_EviT5_lT_lS4_lS5_liPT4_ ; -- Begin function _ZL28rocblas_dot_batched_4_kernelIiLi64ELi4ELb1E19rocblas_complex_numIfES1_PKS1_EviT5_lT_lS4_lS5_liPT4_
	.p2align	8
	.type	_ZL28rocblas_dot_batched_4_kernelIiLi64ELi4ELb1E19rocblas_complex_numIfES1_PKS1_EviT5_lT_lS4_lS5_liPT4_,@function
_ZL28rocblas_dot_batched_4_kernelIiLi64ELi4ELb1E19rocblas_complex_numIfES1_PKS1_EviT5_lT_lS4_lS5_liPT4_: ; @_ZL28rocblas_dot_batched_4_kernelIiLi64ELi4ELb1E19rocblas_complex_numIfES1_PKS1_EviT5_lT_lS4_lS5_liPT4_
; %bb.0:
	s_load_b32 s2, s[0:1], 0x48
	s_bfe_u32 s3, ttmp6, 0x4000c
	s_and_b32 s4, ttmp6, 15
	s_add_co_i32 s3, s3, 1
	v_bfe_u32 v1, v0, 10, 10
	s_mul_i32 s3, ttmp9, s3
	s_delay_alu instid0(SALU_CYCLE_1) | instskip(SKIP_1) | instid1(SALU_CYCLE_1)
	s_add_co_i32 s4, s4, s3
	s_getreg_b32 s3, hwreg(HW_REG_IB_STS2, 6, 4)
	s_cmp_eq_u32 s3, 0
	s_cselect_b32 s3, ttmp9, s4
	s_delay_alu instid0(SALU_CYCLE_1) | instskip(SKIP_1) | instid1(VALU_DEP_1)
	v_lshl_add_u32 v2, s3, 2, v1
	s_wait_kmcnt 0x0
	v_cmp_gt_u32_e32 vcc_lo, s2, v2
	s_and_saveexec_b32 s2, vcc_lo
	s_cbranch_execz .LBB55_7
; %bb.1:
	s_load_b32 s6, s[0:1], 0x0
	v_mov_b32_e32 v3, 0
	v_and_b32_e32 v0, 0x3ff, v0
	s_mov_b32 s7, exec_lo
	s_delay_alu instid0(VALU_DEP_2) | instskip(SKIP_1) | instid1(VALU_DEP_2)
	v_dual_mov_b32 v5, v3 :: v_dual_mov_b32 v4, v3
	s_wait_kmcnt 0x0
	v_cmpx_gt_i32_e64 s6, v0
	s_cbranch_execz .LBB55_5
; %bb.2:
	s_clause 0x3
	s_load_b128 s[8:11], s[0:1], 0x20
	s_load_b32 s2, s[0:1], 0x18
	s_load_b64 s[4:5], s[0:1], 0x40
	s_load_b96 s[16:18], s[0:1], 0x30
	v_mov_b32_e32 v1, 0
	s_load_b128 s[12:15], s[0:1], 0x8
	s_wait_kmcnt 0x0
	v_mul_u64_e32 v[4:5], s[8:9], v[2:3]
	s_ashr_i32 s3, s2, 31
	v_mul_u64_e32 v[6:7], s[4:5], v[2:3]
	s_ashr_i32 s5, s18, 31
	s_mov_b32 s4, s18
	s_lshl_b64 s[8:9], s[14:15], 3
	v_mul_u64_e32 v[10:11], s[4:5], v[0:1]
	s_add_nc_u64 s[8:9], s[12:13], s[8:9]
	s_lshl_b64 s[4:5], s[4:5], 9
	s_delay_alu instid0(VALU_DEP_3) | instskip(NEXT) | instid1(VALU_DEP_3)
	v_lshlrev_b64_e32 v[4:5], 3, v[4:5]
	v_lshlrev_b64_e32 v[6:7], 3, v[6:7]
	s_delay_alu instid0(VALU_DEP_1) | instskip(SKIP_3) | instid1(VALU_DEP_1)
	v_lshl_add_u64 v[6:7], v[10:11], 3, v[6:7]
	v_mov_b32_e32 v10, v0
	v_mul_u64_e32 v[8:9], s[2:3], v[0:1]
	s_lshl_b64 s[2:3], s[2:3], 9
	v_lshl_add_u64 v[4:5], v[8:9], 3, v[4:5]
	s_delay_alu instid0(VALU_DEP_1) | instskip(SKIP_1) | instid1(SALU_CYCLE_1)
	v_add_nc_u64_e32 v[4:5], s[8:9], v[4:5]
	s_lshl_b64 s[8:9], s[16:17], 3
	s_add_nc_u64 s[8:9], s[10:11], s[8:9]
	s_delay_alu instid0(SALU_CYCLE_1) | instskip(SKIP_1) | instid1(VALU_DEP_2)
	v_add_nc_u64_e32 v[6:7], s[8:9], v[6:7]
	s_mov_b32 s8, 0
	v_add_nc_u64_e32 v[8:9], 4, v[4:5]
	v_dual_mov_b32 v4, v1 :: v_dual_mov_b32 v5, v1
.LBB55_3:                               ; =>This Inner Loop Header: Depth=1
	global_load_b64 v[12:13], v[8:9], off offset:-4
	global_load_b64 v[14:15], v[6:7], off
	s_wait_xcnt 0x1
	v_add_nc_u64_e32 v[8:9], s[2:3], v[8:9]
	s_wait_xcnt 0x0
	v_add_nc_u64_e32 v[6:7], s[4:5], v[6:7]
	s_wait_loadcnt 0x0
	v_pk_mul_f32 v[16:17], v[12:13], v[14:15] op_sel:[1,1] op_sel_hi:[1,0]
	s_delay_alu instid0(VALU_DEP_1) | instskip(SKIP_2) | instid1(VALU_DEP_3)
	v_pk_fma_f32 v[18:19], v[12:13], v[14:15], v[16:17] op_sel_hi:[0,1,1] neg_lo:[0,0,1] neg_hi:[0,0,1]
	v_add_nc_u32_e32 v10, 64, v10
	v_pk_fma_f32 v[12:13], v[12:13], v[14:15], v[16:17]
	v_mov_b32_e32 v13, v19
	s_delay_alu instid0(VALU_DEP_3) | instskip(NEXT) | instid1(VALU_DEP_2)
	v_cmp_le_i32_e32 vcc_lo, s6, v10
	v_pk_add_f32 v[4:5], v[4:5], v[12:13]
	s_or_b32 s8, vcc_lo, s8
	s_delay_alu instid0(SALU_CYCLE_1)
	s_and_not1_b32 exec_lo, exec_lo, s8
	s_cbranch_execnz .LBB55_3
; %bb.4:
	s_or_b32 exec_lo, exec_lo, s8
.LBB55_5:
	s_delay_alu instid0(SALU_CYCLE_1) | instskip(SKIP_4) | instid1(VALU_DEP_1)
	s_or_b32 exec_lo, exec_lo, s7
	v_mbcnt_lo_u32_b32 v1, -1, 0
	s_load_b64 s[0:1], s[0:1], 0x50
	s_barrier_signal -1
	s_barrier_wait -1
	v_lshlrev_b32_e32 v8, 2, v1
	v_cmp_gt_u32_e32 vcc_lo, 24, v1
	ds_bpermute_b32 v6, v8, v4
	ds_bpermute_b32 v7, v8, v5
	v_or_b32_e32 v8, 64, v8
	s_wait_dscnt 0x0
	v_pk_add_f32 v[4:5], v[4:5], v[6:7]
	ds_bpermute_b32 v6, v8, v4
	ds_bpermute_b32 v7, v8, v5
	v_cndmask_b32_e64 v8, 0, 8, vcc_lo
	v_cmp_gt_u32_e32 vcc_lo, 28, v1
	s_delay_alu instid0(VALU_DEP_2)
	v_add_lshl_u32 v8, v8, v1, 2
	s_wait_dscnt 0x0
	v_pk_add_f32 v[4:5], v[4:5], v[6:7]
	ds_bpermute_b32 v6, v8, v4
	ds_bpermute_b32 v7, v8, v5
	v_cndmask_b32_e64 v8, 0, 4, vcc_lo
	v_cmp_gt_u32_e32 vcc_lo, 30, v1
	s_delay_alu instid0(VALU_DEP_2)
	v_add_lshl_u32 v8, v8, v1, 2
	s_wait_dscnt 0x0
	v_pk_add_f32 v[4:5], v[4:5], v[6:7]
	ds_bpermute_b32 v6, v8, v4
	ds_bpermute_b32 v7, v8, v5
	v_cndmask_b32_e64 v8, 0, 2, vcc_lo
	v_cmp_ne_u32_e32 vcc_lo, 31, v1
	s_delay_alu instid0(VALU_DEP_2) | instskip(SKIP_2) | instid1(VALU_DEP_2)
	v_add_lshl_u32 v8, v8, v1, 2
	v_add_co_ci_u32_e64 v1, null, 0, v1, vcc_lo
	v_cmp_eq_u32_e32 vcc_lo, 0, v0
	v_lshlrev_b32_e32 v1, 2, v1
	s_wait_dscnt 0x0
	v_pk_add_f32 v[4:5], v[4:5], v[6:7]
	ds_bpermute_b32 v6, v8, v4
	ds_bpermute_b32 v7, v8, v5
	s_wait_dscnt 0x0
	v_pk_add_f32 v[4:5], v[4:5], v[6:7]
	ds_bpermute_b32 v6, v1, v4
	ds_bpermute_b32 v7, v1, v5
	s_and_b32 exec_lo, exec_lo, vcc_lo
	s_cbranch_execz .LBB55_7
; %bb.6:
	s_wait_kmcnt 0x0
	v_lshl_add_u64 v[0:1], v[2:3], 3, s[0:1]
	s_wait_dscnt 0x0
	v_pk_add_f32 v[2:3], v[4:5], v[6:7]
	global_store_b64 v[0:1], v[2:3], off
.LBB55_7:
	s_endpgm
	.section	.rodata,"a",@progbits
	.p2align	6, 0x0
	.amdhsa_kernel _ZL28rocblas_dot_batched_4_kernelIiLi64ELi4ELb1E19rocblas_complex_numIfES1_PKS1_EviT5_lT_lS4_lS5_liPT4_
		.amdhsa_group_segment_fixed_size 0
		.amdhsa_private_segment_fixed_size 0
		.amdhsa_kernarg_size 88
		.amdhsa_user_sgpr_count 2
		.amdhsa_user_sgpr_dispatch_ptr 0
		.amdhsa_user_sgpr_queue_ptr 0
		.amdhsa_user_sgpr_kernarg_segment_ptr 1
		.amdhsa_user_sgpr_dispatch_id 0
		.amdhsa_user_sgpr_kernarg_preload_length 0
		.amdhsa_user_sgpr_kernarg_preload_offset 0
		.amdhsa_user_sgpr_private_segment_size 0
		.amdhsa_wavefront_size32 1
		.amdhsa_uses_dynamic_stack 0
		.amdhsa_enable_private_segment 0
		.amdhsa_system_sgpr_workgroup_id_x 1
		.amdhsa_system_sgpr_workgroup_id_y 0
		.amdhsa_system_sgpr_workgroup_id_z 0
		.amdhsa_system_sgpr_workgroup_info 0
		.amdhsa_system_vgpr_workitem_id 1
		.amdhsa_next_free_vgpr 20
		.amdhsa_next_free_sgpr 19
		.amdhsa_named_barrier_count 0
		.amdhsa_reserve_vcc 1
		.amdhsa_float_round_mode_32 0
		.amdhsa_float_round_mode_16_64 0
		.amdhsa_float_denorm_mode_32 3
		.amdhsa_float_denorm_mode_16_64 3
		.amdhsa_fp16_overflow 0
		.amdhsa_memory_ordered 1
		.amdhsa_forward_progress 1
		.amdhsa_inst_pref_size 6
		.amdhsa_round_robin_scheduling 0
		.amdhsa_exception_fp_ieee_invalid_op 0
		.amdhsa_exception_fp_denorm_src 0
		.amdhsa_exception_fp_ieee_div_zero 0
		.amdhsa_exception_fp_ieee_overflow 0
		.amdhsa_exception_fp_ieee_underflow 0
		.amdhsa_exception_fp_ieee_inexact 0
		.amdhsa_exception_int_div_zero 0
	.end_amdhsa_kernel
	.section	.text._ZL28rocblas_dot_batched_4_kernelIiLi64ELi4ELb1E19rocblas_complex_numIfES1_PKS1_EviT5_lT_lS4_lS5_liPT4_,"axG",@progbits,_ZL28rocblas_dot_batched_4_kernelIiLi64ELi4ELb1E19rocblas_complex_numIfES1_PKS1_EviT5_lT_lS4_lS5_liPT4_,comdat
.Lfunc_end55:
	.size	_ZL28rocblas_dot_batched_4_kernelIiLi64ELi4ELb1E19rocblas_complex_numIfES1_PKS1_EviT5_lT_lS4_lS5_liPT4_, .Lfunc_end55-_ZL28rocblas_dot_batched_4_kernelIiLi64ELi4ELb1E19rocblas_complex_numIfES1_PKS1_EviT5_lT_lS4_lS5_liPT4_
                                        ; -- End function
	.set _ZL28rocblas_dot_batched_4_kernelIiLi64ELi4ELb1E19rocblas_complex_numIfES1_PKS1_EviT5_lT_lS4_lS5_liPT4_.num_vgpr, 20
	.set _ZL28rocblas_dot_batched_4_kernelIiLi64ELi4ELb1E19rocblas_complex_numIfES1_PKS1_EviT5_lT_lS4_lS5_liPT4_.num_agpr, 0
	.set _ZL28rocblas_dot_batched_4_kernelIiLi64ELi4ELb1E19rocblas_complex_numIfES1_PKS1_EviT5_lT_lS4_lS5_liPT4_.numbered_sgpr, 19
	.set _ZL28rocblas_dot_batched_4_kernelIiLi64ELi4ELb1E19rocblas_complex_numIfES1_PKS1_EviT5_lT_lS4_lS5_liPT4_.num_named_barrier, 0
	.set _ZL28rocblas_dot_batched_4_kernelIiLi64ELi4ELb1E19rocblas_complex_numIfES1_PKS1_EviT5_lT_lS4_lS5_liPT4_.private_seg_size, 0
	.set _ZL28rocblas_dot_batched_4_kernelIiLi64ELi4ELb1E19rocblas_complex_numIfES1_PKS1_EviT5_lT_lS4_lS5_liPT4_.uses_vcc, 1
	.set _ZL28rocblas_dot_batched_4_kernelIiLi64ELi4ELb1E19rocblas_complex_numIfES1_PKS1_EviT5_lT_lS4_lS5_liPT4_.uses_flat_scratch, 0
	.set _ZL28rocblas_dot_batched_4_kernelIiLi64ELi4ELb1E19rocblas_complex_numIfES1_PKS1_EviT5_lT_lS4_lS5_liPT4_.has_dyn_sized_stack, 0
	.set _ZL28rocblas_dot_batched_4_kernelIiLi64ELi4ELb1E19rocblas_complex_numIfES1_PKS1_EviT5_lT_lS4_lS5_liPT4_.has_recursion, 0
	.set _ZL28rocblas_dot_batched_4_kernelIiLi64ELi4ELb1E19rocblas_complex_numIfES1_PKS1_EviT5_lT_lS4_lS5_liPT4_.has_indirect_call, 0
	.section	.AMDGPU.csdata,"",@progbits
; Kernel info:
; codeLenInByte = 760
; TotalNumSgprs: 21
; NumVgprs: 20
; ScratchSize: 0
; MemoryBound: 0
; FloatMode: 240
; IeeeMode: 1
; LDSByteSize: 0 bytes/workgroup (compile time only)
; SGPRBlocks: 0
; VGPRBlocks: 1
; NumSGPRsForWavesPerEU: 21
; NumVGPRsForWavesPerEU: 20
; NamedBarCnt: 0
; Occupancy: 16
; WaveLimiterHint : 0
; COMPUTE_PGM_RSRC2:SCRATCH_EN: 0
; COMPUTE_PGM_RSRC2:USER_SGPR: 2
; COMPUTE_PGM_RSRC2:TRAP_HANDLER: 0
; COMPUTE_PGM_RSRC2:TGID_X_EN: 1
; COMPUTE_PGM_RSRC2:TGID_Y_EN: 0
; COMPUTE_PGM_RSRC2:TGID_Z_EN: 0
; COMPUTE_PGM_RSRC2:TIDIG_COMP_CNT: 1
	.section	.text._ZL26rocblas_dot_kernel_inc1by2ILb1ELi1024ELi32ELb1E19rocblas_complex_numIfEPKS1_S1_EviT4_llS4_lliPT5_PT3_,"axG",@progbits,_ZL26rocblas_dot_kernel_inc1by2ILb1ELi1024ELi32ELb1E19rocblas_complex_numIfEPKS1_S1_EviT4_llS4_lliPT5_PT3_,comdat
	.globl	_ZL26rocblas_dot_kernel_inc1by2ILb1ELi1024ELi32ELb1E19rocblas_complex_numIfEPKS1_S1_EviT4_llS4_lliPT5_PT3_ ; -- Begin function _ZL26rocblas_dot_kernel_inc1by2ILb1ELi1024ELi32ELb1E19rocblas_complex_numIfEPKS1_S1_EviT4_llS4_lliPT5_PT3_
	.p2align	8
	.type	_ZL26rocblas_dot_kernel_inc1by2ILb1ELi1024ELi32ELb1E19rocblas_complex_numIfEPKS1_S1_EviT4_llS4_lliPT5_PT3_,@function
_ZL26rocblas_dot_kernel_inc1by2ILb1ELi1024ELi32ELb1E19rocblas_complex_numIfEPKS1_S1_EviT4_llS4_lliPT5_PT3_: ; @_ZL26rocblas_dot_kernel_inc1by2ILb1ELi1024ELi32ELb1E19rocblas_complex_numIfEPKS1_S1_EviT4_llS4_lliPT5_PT3_
; %bb.0:
	s_load_b32 s3, s[0:1], 0x38
	s_bfe_u32 s2, ttmp6, 0x40014
	s_lshr_b32 s4, ttmp7, 16
	s_add_co_i32 s2, s2, 1
	s_bfe_u32 s5, ttmp6, 0x40008
	s_mul_i32 s2, s4, s2
	s_getreg_b32 s6, hwreg(HW_REG_IB_STS2, 6, 4)
	s_add_co_i32 s5, s5, s2
	s_cmp_eq_u32 s6, 0
	s_mov_b32 s9, 0
	s_cselect_b32 s8, s4, s5
	s_wait_kmcnt 0x0
	s_cmp_ge_u32 s8, s3
	s_cbranch_scc1 .LBB56_17
; %bb.1:
	v_mbcnt_lo_u32_b32 v2, -1, 0
	s_clause 0x5
	s_load_b64 s[18:19], s[0:1], 0x8
	s_load_b32 s16, s[0:1], 0x0
	s_load_b64 s[20:21], s[0:1], 0x20
	s_load_b128 s[4:7], s[0:1], 0x10
	s_load_b64 s[10:11], s[0:1], 0x48
	s_load_b128 s[12:15], s[0:1], 0x28
	v_and_b32_e32 v1, 31, v0
	s_wait_xcnt 0x0
	v_cmp_eq_u32_e64 s1, 0, v0
	v_cmp_gt_u32_e64 s0, 24, v2
	v_lshl_or_b32 v11, v2, 2, 64
	v_mov_b32_e32 v17, 0
	v_cmp_gt_u32_e32 vcc_lo, 32, v0
	s_delay_alu instid0(VALU_DEP_4) | instskip(SKIP_1) | instid1(VALU_DEP_2)
	v_cndmask_b32_e64 v3, 0, 8, s0
	v_cmp_gt_u32_e64 s0, 28, v2
	v_add_lshl_u32 v12, v3, v2, 2
	s_delay_alu instid0(VALU_DEP_2) | instskip(SKIP_2) | instid1(VALU_DEP_3)
	v_cndmask_b32_e64 v4, 0, 4, s0
	v_cmp_gt_u32_e64 s0, 30, v2
	v_lshrrev_b32_e32 v3, 2, v0
	v_add_lshl_u32 v13, v4, v2, 2
	s_delay_alu instid0(VALU_DEP_3) | instskip(SKIP_1) | instid1(VALU_DEP_4)
	v_cndmask_b32_e64 v5, 0, 2, s0
	v_cmp_ne_u32_e64 s0, 31, v2
	v_and_b32_e32 v16, 0xf8, v3
	s_wait_kmcnt 0x0
	s_lshl_b64 s[12:13], s[12:13], 3
	s_lshl_b64 s[6:7], s[6:7], 3
	v_add_lshl_u32 v14, v5, v2, 2
	v_add_co_ci_u32_e64 v6, null, 0, v2, s0
	v_mov_b64_e32 v[2:3], 0
	v_lshlrev_b32_e32 v10, 3, v1
	v_cmp_eq_u32_e64 s0, 0, v1
	s_delay_alu instid0(VALU_DEP_4)
	v_lshlrev_b32_e32 v15, 2, v6
	s_add_nc_u64 s[12:13], s[20:21], s[12:13]
	s_lshl_b64 s[20:21], s[4:5], 3
	s_lshl_b64 s[4:5], s[14:15], 3
	s_add_nc_u64 s[14:15], s[18:19], s[20:21]
	s_branch .LBB56_3
.LBB56_2:                               ;   in Loop: Header=BB56_3 Depth=1
	s_wait_xcnt 0x0
	s_or_b32 exec_lo, exec_lo, s2
	s_add_co_i32 s8, s8, 0x10000
	s_delay_alu instid0(SALU_CYCLE_1)
	s_cmp_lt_u32 s8, s3
	s_cbranch_scc0 .LBB56_17
.LBB56_3:                               ; =>This Loop Header: Depth=1
                                        ;     Child Loop BB56_5 Depth 2
	s_wait_dscnt 0x0
	v_dual_mov_b32 v5, 0 :: v_dual_mov_b32 v4, 0
	s_mov_b32 s17, exec_lo
	v_cmpx_gt_i32_e64 s16, v0
	s_cbranch_execz .LBB56_7
; %bb.4:                                ;   in Loop: Header=BB56_3 Depth=1
	v_dual_mov_b32 v4, 0 :: v_dual_ashrrev_i32 v1, 31, v0
	s_mul_u64 s[18:19], s[4:5], s[8:9]
	s_mul_u64 s[20:21], s[6:7], s[8:9]
	s_add_nc_u64 s[18:19], s[12:13], s[18:19]
	s_delay_alu instid0(VALU_DEP_1) | instskip(SKIP_3) | instid1(VALU_DEP_2)
	v_lshlrev_b64_e32 v[8:9], 3, v[0:1]
	s_add_nc_u64 s[20:21], s[14:15], s[20:21]
	v_mov_b32_e32 v5, v4
	s_mov_b32 s2, 0
	v_add_nc_u64_e32 v[6:7], s[18:19], v[8:9]
	v_add_nc_u64_e32 v[8:9], s[20:21], v[8:9]
	s_mov_b32 s18, 0
.LBB56_5:                               ;   Parent Loop BB56_3 Depth=1
                                        ; =>  This Inner Loop Header: Depth=2
	global_load_b64 v[18:19], v[6:7], off
	global_load_b64 v[20:21], v[8:9], off
	s_add_co_i32 s19, s2, 1
	s_cmp_gt_u32 s2, 30
	s_wait_xcnt 0x1
	v_add_nc_u64_e32 v[6:7], 0x2000, v[6:7]
	s_cselect_b32 s20, -1, 0
	s_wait_xcnt 0x0
	v_add_nc_u64_e32 v[8:9], 0x2000, v[8:9]
	s_wait_loadcnt 0x1
	v_mov_b32_e32 v24, v19
	s_wait_loadcnt 0x0
	v_pk_mul_f32 v[22:23], v[20:21], v[18:19] op_sel_hi:[1,0]
	s_delay_alu instid0(VALU_DEP_1) | instskip(SKIP_2) | instid1(VALU_DEP_3)
	v_pk_fma_f32 v[18:19], v[20:21], v[18:19], v[22:23] op_sel:[1,1,0] op_sel_hi:[0,1,1] neg_lo:[0,0,1] neg_hi:[0,0,1]
	v_add_nc_u32_e32 v0, 0x400, v0
	v_pk_fma_f32 v[20:21], v[20:21], v[24:25], v[22:23] op_sel:[1,0,0] op_sel_hi:[0,1,1]
	v_mov_b32_e32 v21, v19
	s_delay_alu instid0(VALU_DEP_3) | instskip(NEXT) | instid1(VALU_DEP_2)
	v_cmp_le_i32_e64 s2, s16, v0
	v_pk_add_f32 v[4:5], v[4:5], v[20:21]
	s_or_b32 s2, s20, s2
	s_delay_alu instid0(SALU_CYCLE_1) | instskip(NEXT) | instid1(SALU_CYCLE_1)
	s_and_b32 s2, exec_lo, s2
	s_or_b32 s18, s2, s18
	s_mov_b32 s2, s19
	s_and_not1_b32 exec_lo, exec_lo, s18
	s_cbranch_execnz .LBB56_5
; %bb.6:                                ;   in Loop: Header=BB56_3 Depth=1
	s_or_b32 exec_lo, exec_lo, s18
.LBB56_7:                               ;   in Loop: Header=BB56_3 Depth=1
	s_delay_alu instid0(SALU_CYCLE_1)
	s_or_b32 exec_lo, exec_lo, s17
	s_and_saveexec_b32 s2, vcc_lo
; %bb.8:                                ;   in Loop: Header=BB56_3 Depth=1
	ds_store_b64 v10, v[2:3]
; %bb.9:                                ;   in Loop: Header=BB56_3 Depth=1
	s_or_b32 exec_lo, exec_lo, s2
	ds_bpermute_b32 v6, v11, v4
	ds_bpermute_b32 v7, v11, v5
	s_wait_dscnt 0x0
	s_barrier_signal -1
	s_barrier_wait -1
	v_pk_add_f32 v[4:5], v[4:5], v[6:7]
	ds_bpermute_b32 v6, v12, v4
	ds_bpermute_b32 v7, v12, v5
	s_wait_dscnt 0x0
	v_pk_add_f32 v[4:5], v[4:5], v[6:7]
	ds_bpermute_b32 v6, v13, v4
	ds_bpermute_b32 v7, v13, v5
	s_wait_dscnt 0x0
	;; [unrolled: 4-line block ×3, first 2 shown]
	v_pk_add_f32 v[4:5], v[4:5], v[6:7]
	ds_bpermute_b32 v6, v15, v4
	ds_bpermute_b32 v7, v15, v5
	s_and_saveexec_b32 s2, s0
	s_cbranch_execz .LBB56_11
; %bb.10:                               ;   in Loop: Header=BB56_3 Depth=1
	s_wait_dscnt 0x0
	v_pk_add_f32 v[4:5], v[4:5], v[6:7]
	ds_store_b64 v16, v[4:5]
.LBB56_11:                              ;   in Loop: Header=BB56_3 Depth=1
	s_or_b32 exec_lo, exec_lo, s2
	v_mov_b64_e32 v[4:5], 0
	s_wait_dscnt 0x0
	s_barrier_signal -1
	s_barrier_wait -1
	s_and_saveexec_b32 s2, vcc_lo
	s_cbranch_execnz .LBB56_14
; %bb.12:                               ;   in Loop: Header=BB56_3 Depth=1
	s_or_b32 exec_lo, exec_lo, s2
	s_and_saveexec_b32 s2, vcc_lo
	s_cbranch_execnz .LBB56_15
.LBB56_13:                              ;   in Loop: Header=BB56_3 Depth=1
	s_or_b32 exec_lo, exec_lo, s2
	s_and_saveexec_b32 s2, s1
	s_cbranch_execz .LBB56_2
	s_branch .LBB56_16
.LBB56_14:                              ;   in Loop: Header=BB56_3 Depth=1
	ds_load_b64 v[4:5], v10
	s_or_b32 exec_lo, exec_lo, s2
	s_and_saveexec_b32 s2, vcc_lo
	s_cbranch_execz .LBB56_13
.LBB56_15:                              ;   in Loop: Header=BB56_3 Depth=1
	s_wait_dscnt 0x0
	ds_bpermute_b32 v6, v11, v4
	ds_bpermute_b32 v7, v11, v5
	s_wait_dscnt 0x0
	v_pk_add_f32 v[4:5], v[4:5], v[6:7]
	ds_bpermute_b32 v6, v12, v4
	ds_bpermute_b32 v7, v12, v5
	s_wait_dscnt 0x0
	v_pk_add_f32 v[4:5], v[4:5], v[6:7]
	;; [unrolled: 4-line block ×5, first 2 shown]
	s_or_b32 exec_lo, exec_lo, s2
	s_and_saveexec_b32 s2, s1
	s_cbranch_execz .LBB56_2
.LBB56_16:                              ;   in Loop: Header=BB56_3 Depth=1
	s_lshl_b64 s[18:19], s[8:9], 3
	s_delay_alu instid0(SALU_CYCLE_1)
	s_add_nc_u64 s[18:19], s[10:11], s[18:19]
	s_wait_dscnt 0x0
	global_store_b64 v17, v[4:5], s[18:19]
	s_branch .LBB56_2
.LBB56_17:
	s_endpgm
	.section	.rodata,"a",@progbits
	.p2align	6, 0x0
	.amdhsa_kernel _ZL26rocblas_dot_kernel_inc1by2ILb1ELi1024ELi32ELb1E19rocblas_complex_numIfEPKS1_S1_EviT4_llS4_lliPT5_PT3_
		.amdhsa_group_segment_fixed_size 256
		.amdhsa_private_segment_fixed_size 0
		.amdhsa_kernarg_size 80
		.amdhsa_user_sgpr_count 2
		.amdhsa_user_sgpr_dispatch_ptr 0
		.amdhsa_user_sgpr_queue_ptr 0
		.amdhsa_user_sgpr_kernarg_segment_ptr 1
		.amdhsa_user_sgpr_dispatch_id 0
		.amdhsa_user_sgpr_kernarg_preload_length 0
		.amdhsa_user_sgpr_kernarg_preload_offset 0
		.amdhsa_user_sgpr_private_segment_size 0
		.amdhsa_wavefront_size32 1
		.amdhsa_uses_dynamic_stack 0
		.amdhsa_enable_private_segment 0
		.amdhsa_system_sgpr_workgroup_id_x 1
		.amdhsa_system_sgpr_workgroup_id_y 0
		.amdhsa_system_sgpr_workgroup_id_z 1
		.amdhsa_system_sgpr_workgroup_info 0
		.amdhsa_system_vgpr_workitem_id 0
		.amdhsa_next_free_vgpr 26
		.amdhsa_next_free_sgpr 22
		.amdhsa_named_barrier_count 0
		.amdhsa_reserve_vcc 1
		.amdhsa_float_round_mode_32 0
		.amdhsa_float_round_mode_16_64 0
		.amdhsa_float_denorm_mode_32 3
		.amdhsa_float_denorm_mode_16_64 3
		.amdhsa_fp16_overflow 0
		.amdhsa_memory_ordered 1
		.amdhsa_forward_progress 1
		.amdhsa_inst_pref_size 9
		.amdhsa_round_robin_scheduling 0
		.amdhsa_exception_fp_ieee_invalid_op 0
		.amdhsa_exception_fp_denorm_src 0
		.amdhsa_exception_fp_ieee_div_zero 0
		.amdhsa_exception_fp_ieee_overflow 0
		.amdhsa_exception_fp_ieee_underflow 0
		.amdhsa_exception_fp_ieee_inexact 0
		.amdhsa_exception_int_div_zero 0
	.end_amdhsa_kernel
	.section	.text._ZL26rocblas_dot_kernel_inc1by2ILb1ELi1024ELi32ELb1E19rocblas_complex_numIfEPKS1_S1_EviT4_llS4_lliPT5_PT3_,"axG",@progbits,_ZL26rocblas_dot_kernel_inc1by2ILb1ELi1024ELi32ELb1E19rocblas_complex_numIfEPKS1_S1_EviT4_llS4_lliPT5_PT3_,comdat
.Lfunc_end56:
	.size	_ZL26rocblas_dot_kernel_inc1by2ILb1ELi1024ELi32ELb1E19rocblas_complex_numIfEPKS1_S1_EviT4_llS4_lliPT5_PT3_, .Lfunc_end56-_ZL26rocblas_dot_kernel_inc1by2ILb1ELi1024ELi32ELb1E19rocblas_complex_numIfEPKS1_S1_EviT4_llS4_lliPT5_PT3_
                                        ; -- End function
	.set _ZL26rocblas_dot_kernel_inc1by2ILb1ELi1024ELi32ELb1E19rocblas_complex_numIfEPKS1_S1_EviT4_llS4_lliPT5_PT3_.num_vgpr, 26
	.set _ZL26rocblas_dot_kernel_inc1by2ILb1ELi1024ELi32ELb1E19rocblas_complex_numIfEPKS1_S1_EviT4_llS4_lliPT5_PT3_.num_agpr, 0
	.set _ZL26rocblas_dot_kernel_inc1by2ILb1ELi1024ELi32ELb1E19rocblas_complex_numIfEPKS1_S1_EviT4_llS4_lliPT5_PT3_.numbered_sgpr, 22
	.set _ZL26rocblas_dot_kernel_inc1by2ILb1ELi1024ELi32ELb1E19rocblas_complex_numIfEPKS1_S1_EviT4_llS4_lliPT5_PT3_.num_named_barrier, 0
	.set _ZL26rocblas_dot_kernel_inc1by2ILb1ELi1024ELi32ELb1E19rocblas_complex_numIfEPKS1_S1_EviT4_llS4_lliPT5_PT3_.private_seg_size, 0
	.set _ZL26rocblas_dot_kernel_inc1by2ILb1ELi1024ELi32ELb1E19rocblas_complex_numIfEPKS1_S1_EviT4_llS4_lliPT5_PT3_.uses_vcc, 1
	.set _ZL26rocblas_dot_kernel_inc1by2ILb1ELi1024ELi32ELb1E19rocblas_complex_numIfEPKS1_S1_EviT4_llS4_lliPT5_PT3_.uses_flat_scratch, 0
	.set _ZL26rocblas_dot_kernel_inc1by2ILb1ELi1024ELi32ELb1E19rocblas_complex_numIfEPKS1_S1_EviT4_llS4_lliPT5_PT3_.has_dyn_sized_stack, 0
	.set _ZL26rocblas_dot_kernel_inc1by2ILb1ELi1024ELi32ELb1E19rocblas_complex_numIfEPKS1_S1_EviT4_llS4_lliPT5_PT3_.has_recursion, 0
	.set _ZL26rocblas_dot_kernel_inc1by2ILb1ELi1024ELi32ELb1E19rocblas_complex_numIfEPKS1_S1_EviT4_llS4_lliPT5_PT3_.has_indirect_call, 0
	.section	.AMDGPU.csdata,"",@progbits
; Kernel info:
; codeLenInByte = 1056
; TotalNumSgprs: 24
; NumVgprs: 26
; ScratchSize: 0
; MemoryBound: 0
; FloatMode: 240
; IeeeMode: 1
; LDSByteSize: 256 bytes/workgroup (compile time only)
; SGPRBlocks: 0
; VGPRBlocks: 1
; NumSGPRsForWavesPerEU: 24
; NumVGPRsForWavesPerEU: 26
; NamedBarCnt: 0
; Occupancy: 16
; WaveLimiterHint : 0
; COMPUTE_PGM_RSRC2:SCRATCH_EN: 0
; COMPUTE_PGM_RSRC2:USER_SGPR: 2
; COMPUTE_PGM_RSRC2:TRAP_HANDLER: 0
; COMPUTE_PGM_RSRC2:TGID_X_EN: 1
; COMPUTE_PGM_RSRC2:TGID_Y_EN: 0
; COMPUTE_PGM_RSRC2:TGID_Z_EN: 1
; COMPUTE_PGM_RSRC2:TIDIG_COMP_CNT: 0
	.section	.text._ZL18rocblas_dot_kernelIiLb1ELi1024ELi32ELb1E19rocblas_complex_numIfEPKS1_S1_EviT5_lT_lS4_lS5_liPT6_PT4_,"axG",@progbits,_ZL18rocblas_dot_kernelIiLb1ELi1024ELi32ELb1E19rocblas_complex_numIfEPKS1_S1_EviT5_lT_lS4_lS5_liPT6_PT4_,comdat
	.globl	_ZL18rocblas_dot_kernelIiLb1ELi1024ELi32ELb1E19rocblas_complex_numIfEPKS1_S1_EviT5_lT_lS4_lS5_liPT6_PT4_ ; -- Begin function _ZL18rocblas_dot_kernelIiLb1ELi1024ELi32ELb1E19rocblas_complex_numIfEPKS1_S1_EviT5_lT_lS4_lS5_liPT6_PT4_
	.p2align	8
	.type	_ZL18rocblas_dot_kernelIiLb1ELi1024ELi32ELb1E19rocblas_complex_numIfEPKS1_S1_EviT5_lT_lS4_lS5_liPT6_PT4_,@function
_ZL18rocblas_dot_kernelIiLb1ELi1024ELi32ELb1E19rocblas_complex_numIfEPKS1_S1_EviT5_lT_lS4_lS5_liPT6_PT4_: ; @_ZL18rocblas_dot_kernelIiLb1ELi1024ELi32ELb1E19rocblas_complex_numIfEPKS1_S1_EviT5_lT_lS4_lS5_liPT6_PT4_
; %bb.0:
	s_load_b32 s3, s[0:1], 0x48
	s_bfe_u32 s2, ttmp6, 0x40014
	s_lshr_b32 s4, ttmp7, 16
	s_add_co_i32 s2, s2, 1
	s_bfe_u32 s5, ttmp6, 0x40008
	s_mul_i32 s2, s4, s2
	s_getreg_b32 s6, hwreg(HW_REG_IB_STS2, 6, 4)
	s_add_co_i32 s5, s5, s2
	s_cmp_eq_u32 s6, 0
	s_mov_b32 s17, 0
	s_cselect_b32 s16, s4, s5
	s_wait_kmcnt 0x0
	s_cmp_ge_u32 s16, s3
	s_cbranch_scc1 .LBB57_17
; %bb.1:
	v_mbcnt_lo_u32_b32 v3, -1, 0
	s_clause 0x6
	s_load_b32 s24, s[0:1], 0x18
	s_load_b96 s[12:14], s[0:1], 0x30
	s_load_b96 s[8:10], s[0:1], 0x58
	s_load_b128 s[4:7], s[0:1], 0x20
	s_load_b128 s[20:23], s[0:1], 0x8
	s_load_b32 s26, s[0:1], 0x0
	s_load_b64 s[28:29], s[0:1], 0x40
	v_and_b32_e32 v2, 31, v0
	s_wait_xcnt 0x0
	v_cmp_eq_u32_e64 s1, 0, v0
	v_cmp_gt_u32_e64 s0, 24, v3
	v_lshl_or_b32 v10, v3, 2, 64
	v_mov_b32_e32 v16, 0
	v_cmp_gt_u32_e32 vcc_lo, 32, v0
	s_delay_alu instid0(VALU_DEP_4) | instskip(SKIP_1) | instid1(VALU_DEP_2)
	v_cndmask_b32_e64 v4, 0, 8, s0
	v_cmp_gt_u32_e64 s0, 28, v3
	v_add_lshl_u32 v11, v4, v3, 2
	s_delay_alu instid0(VALU_DEP_2)
	v_cndmask_b32_e64 v5, 0, 4, s0
	v_cmp_gt_u32_e64 s0, 30, v3
	v_lshrrev_b32_e32 v4, 2, v0
	s_wait_kmcnt 0x0
	s_ashr_i32 s25, s24, 31
	s_lshl_b32 s10, s10, 10
	v_add_lshl_u32 v12, v5, v3, 2
	v_cndmask_b32_e64 v6, 0, 2, s0
	v_cmp_ne_u32_e64 s0, 31, v3
	s_ashr_i32 s31, s14, 31
	s_mov_b32 s30, s14
	s_lshl_b64 s[14:15], s[22:23], 3
	v_add_lshl_u32 v13, v6, v3, 2
	v_add_co_ci_u32_e64 v7, null, 0, v3, s0
	v_lshlrev_b32_e32 v1, 3, v2
	v_cmp_eq_u32_e64 s0, 0, v2
	v_mov_b64_e32 v[2:3], 0
	s_ashr_i32 s11, s10, 31
	v_lshlrev_b32_e32 v14, 2, v7
	v_and_b32_e32 v15, 0xf8, v4
	s_add_nc_u64 s[14:15], s[20:21], s[14:15]
	s_lshl_b64 s[18:19], s[24:25], 3
	s_mul_u64 s[20:21], s[24:25], s[10:11]
	s_lshl_b64 s[22:23], s[12:13], 3
	s_mul_u64 s[24:25], s[30:31], s[10:11]
	s_lshl_b64 s[4:5], s[4:5], 3
	s_lshl_b64 s[12:13], s[20:21], 3
	s_add_nc_u64 s[6:7], s[6:7], s[22:23]
	s_lshl_b64 s[20:21], s[30:31], 3
	s_lshl_b64 s[22:23], s[28:29], 3
	s_lshl_b64 s[24:25], s[24:25], 3
	s_branch .LBB57_3
.LBB57_2:                               ;   in Loop: Header=BB57_3 Depth=1
	s_wait_xcnt 0x0
	s_or_b32 exec_lo, exec_lo, s2
	s_add_co_i32 s16, s16, 0x10000
	s_delay_alu instid0(SALU_CYCLE_1)
	s_cmp_lt_u32 s16, s3
	s_cbranch_scc0 .LBB57_17
.LBB57_3:                               ; =>This Loop Header: Depth=1
                                        ;     Child Loop BB57_5 Depth 2
	s_wait_dscnt 0x0
	v_dual_mov_b32 v5, 0 :: v_dual_mov_b32 v4, 0
	s_mov_b32 s11, exec_lo
	v_cmpx_gt_i32_e64 s26, v0
	s_cbranch_execz .LBB57_7
; %bb.4:                                ;   in Loop: Header=BB57_3 Depth=1
	s_mul_u64 s[28:29], s[4:5], s[16:17]
	s_mul_u64 s[30:31], s[22:23], s[16:17]
	s_add_nc_u64 s[28:29], s[14:15], s[28:29]
	s_add_nc_u64 s[30:31], s[6:7], s[30:31]
	v_mad_nc_u64_u32 v[6:7], s18, v0, s[28:29]
	v_mad_nc_u64_u32 v[8:9], s20, v0, s[30:31]
	s_mov_b32 s27, 0
	s_mov_b32 s2, 0
	s_delay_alu instid0(VALU_DEP_2) | instskip(NEXT) | instid1(VALU_DEP_2)
	v_mad_u32 v4, s19, v0, v7
	v_mad_u32 v5, s21, v0, v9
	v_ashrrev_i32_e32 v9, 31, v0
	s_delay_alu instid0(VALU_DEP_1) | instskip(SKIP_1) | instid1(VALU_DEP_4)
	v_mad_u32 v7, s18, v9, v4
	v_mov_b32_e32 v4, 0
	v_mad_u32 v9, s20, v9, v5
	s_delay_alu instid0(VALU_DEP_2)
	v_mov_b32_e32 v5, v4
.LBB57_5:                               ;   Parent Loop BB57_3 Depth=1
                                        ; =>  This Inner Loop Header: Depth=2
	global_load_b64 v[18:19], v[8:9], off
	global_load_b64 v[20:21], v[6:7], off
	v_add_nc_u32_e32 v0, s10, v0
	s_add_co_i32 s28, s2, 1
	s_cmp_gt_u32 s2, 30
	s_wait_xcnt 0x0
	v_add_nc_u64_e32 v[6:7], s[12:13], v[6:7]
	s_cselect_b32 s29, -1, 0
	v_add_nc_u64_e32 v[8:9], s[24:25], v[8:9]
	s_wait_loadcnt 0x1
	v_mov_b32_e32 v24, v19
	s_wait_loadcnt 0x0
	v_pk_mul_f32 v[22:23], v[20:21], v[18:19] op_sel_hi:[1,0]
	v_cmp_le_i32_e64 s2, s26, v0
	s_delay_alu instid0(VALU_DEP_2) | instskip(SKIP_2) | instid1(SALU_CYCLE_1)
	v_pk_fma_f32 v[18:19], v[20:21], v[18:19], v[22:23] op_sel:[1,1,0] op_sel_hi:[0,1,1] neg_lo:[0,0,1] neg_hi:[0,0,1]
	v_pk_fma_f32 v[20:21], v[20:21], v[24:25], v[22:23] op_sel:[1,0,0] op_sel_hi:[0,1,1]
	s_or_b32 s2, s29, s2
	s_and_b32 s2, exec_lo, s2
	s_delay_alu instid0(VALU_DEP_2) | instskip(SKIP_2) | instid1(VALU_DEP_1)
	v_mov_b32_e32 v21, v19
	s_or_b32 s27, s2, s27
	s_mov_b32 s2, s28
	v_pk_add_f32 v[4:5], v[4:5], v[20:21]
	s_and_not1_b32 exec_lo, exec_lo, s27
	s_cbranch_execnz .LBB57_5
; %bb.6:                                ;   in Loop: Header=BB57_3 Depth=1
	s_or_b32 exec_lo, exec_lo, s27
.LBB57_7:                               ;   in Loop: Header=BB57_3 Depth=1
	s_delay_alu instid0(SALU_CYCLE_1)
	s_or_b32 exec_lo, exec_lo, s11
	s_and_saveexec_b32 s2, vcc_lo
; %bb.8:                                ;   in Loop: Header=BB57_3 Depth=1
	ds_store_b64 v1, v[2:3]
; %bb.9:                                ;   in Loop: Header=BB57_3 Depth=1
	s_or_b32 exec_lo, exec_lo, s2
	ds_bpermute_b32 v6, v10, v4
	ds_bpermute_b32 v7, v10, v5
	s_wait_dscnt 0x0
	s_barrier_signal -1
	s_barrier_wait -1
	v_pk_add_f32 v[4:5], v[4:5], v[6:7]
	ds_bpermute_b32 v6, v11, v4
	ds_bpermute_b32 v7, v11, v5
	s_wait_dscnt 0x0
	v_pk_add_f32 v[4:5], v[4:5], v[6:7]
	ds_bpermute_b32 v6, v12, v4
	ds_bpermute_b32 v7, v12, v5
	s_wait_dscnt 0x0
	;; [unrolled: 4-line block ×3, first 2 shown]
	v_pk_add_f32 v[4:5], v[4:5], v[6:7]
	ds_bpermute_b32 v6, v14, v4
	ds_bpermute_b32 v7, v14, v5
	s_and_saveexec_b32 s2, s0
	s_cbranch_execz .LBB57_11
; %bb.10:                               ;   in Loop: Header=BB57_3 Depth=1
	s_wait_dscnt 0x0
	v_pk_add_f32 v[4:5], v[4:5], v[6:7]
	ds_store_b64 v15, v[4:5]
.LBB57_11:                              ;   in Loop: Header=BB57_3 Depth=1
	s_or_b32 exec_lo, exec_lo, s2
	v_mov_b64_e32 v[4:5], 0
	s_wait_dscnt 0x0
	s_barrier_signal -1
	s_barrier_wait -1
	s_and_saveexec_b32 s2, vcc_lo
	s_cbranch_execnz .LBB57_14
; %bb.12:                               ;   in Loop: Header=BB57_3 Depth=1
	s_or_b32 exec_lo, exec_lo, s2
	s_and_saveexec_b32 s2, vcc_lo
	s_cbranch_execnz .LBB57_15
.LBB57_13:                              ;   in Loop: Header=BB57_3 Depth=1
	s_or_b32 exec_lo, exec_lo, s2
	s_and_saveexec_b32 s2, s1
	s_cbranch_execz .LBB57_2
	s_branch .LBB57_16
.LBB57_14:                              ;   in Loop: Header=BB57_3 Depth=1
	ds_load_b64 v[4:5], v1
	s_or_b32 exec_lo, exec_lo, s2
	s_and_saveexec_b32 s2, vcc_lo
	s_cbranch_execz .LBB57_13
.LBB57_15:                              ;   in Loop: Header=BB57_3 Depth=1
	s_wait_dscnt 0x0
	ds_bpermute_b32 v6, v10, v4
	ds_bpermute_b32 v7, v10, v5
	s_wait_dscnt 0x0
	v_pk_add_f32 v[4:5], v[4:5], v[6:7]
	ds_bpermute_b32 v6, v11, v4
	ds_bpermute_b32 v7, v11, v5
	s_wait_dscnt 0x0
	v_pk_add_f32 v[4:5], v[4:5], v[6:7]
	;; [unrolled: 4-line block ×5, first 2 shown]
	s_or_b32 exec_lo, exec_lo, s2
	s_and_saveexec_b32 s2, s1
	s_cbranch_execz .LBB57_2
.LBB57_16:                              ;   in Loop: Header=BB57_3 Depth=1
	s_lshl_b64 s[28:29], s[16:17], 3
	s_delay_alu instid0(SALU_CYCLE_1)
	s_add_nc_u64 s[28:29], s[8:9], s[28:29]
	s_wait_dscnt 0x0
	global_store_b64 v16, v[4:5], s[28:29]
	s_branch .LBB57_2
.LBB57_17:
	s_endpgm
	.section	.rodata,"a",@progbits
	.p2align	6, 0x0
	.amdhsa_kernel _ZL18rocblas_dot_kernelIiLb1ELi1024ELi32ELb1E19rocblas_complex_numIfEPKS1_S1_EviT5_lT_lS4_lS5_liPT6_PT4_
		.amdhsa_group_segment_fixed_size 256
		.amdhsa_private_segment_fixed_size 0
		.amdhsa_kernarg_size 352
		.amdhsa_user_sgpr_count 2
		.amdhsa_user_sgpr_dispatch_ptr 0
		.amdhsa_user_sgpr_queue_ptr 0
		.amdhsa_user_sgpr_kernarg_segment_ptr 1
		.amdhsa_user_sgpr_dispatch_id 0
		.amdhsa_user_sgpr_kernarg_preload_length 0
		.amdhsa_user_sgpr_kernarg_preload_offset 0
		.amdhsa_user_sgpr_private_segment_size 0
		.amdhsa_wavefront_size32 1
		.amdhsa_uses_dynamic_stack 0
		.amdhsa_enable_private_segment 0
		.amdhsa_system_sgpr_workgroup_id_x 1
		.amdhsa_system_sgpr_workgroup_id_y 0
		.amdhsa_system_sgpr_workgroup_id_z 1
		.amdhsa_system_sgpr_workgroup_info 0
		.amdhsa_system_vgpr_workitem_id 0
		.amdhsa_next_free_vgpr 26
		.amdhsa_next_free_sgpr 32
		.amdhsa_named_barrier_count 0
		.amdhsa_reserve_vcc 1
		.amdhsa_float_round_mode_32 0
		.amdhsa_float_round_mode_16_64 0
		.amdhsa_float_denorm_mode_32 3
		.amdhsa_float_denorm_mode_16_64 3
		.amdhsa_fp16_overflow 0
		.amdhsa_memory_ordered 1
		.amdhsa_forward_progress 1
		.amdhsa_inst_pref_size 9
		.amdhsa_round_robin_scheduling 0
		.amdhsa_exception_fp_ieee_invalid_op 0
		.amdhsa_exception_fp_denorm_src 0
		.amdhsa_exception_fp_ieee_div_zero 0
		.amdhsa_exception_fp_ieee_overflow 0
		.amdhsa_exception_fp_ieee_underflow 0
		.amdhsa_exception_fp_ieee_inexact 0
		.amdhsa_exception_int_div_zero 0
	.end_amdhsa_kernel
	.section	.text._ZL18rocblas_dot_kernelIiLb1ELi1024ELi32ELb1E19rocblas_complex_numIfEPKS1_S1_EviT5_lT_lS4_lS5_liPT6_PT4_,"axG",@progbits,_ZL18rocblas_dot_kernelIiLb1ELi1024ELi32ELb1E19rocblas_complex_numIfEPKS1_S1_EviT5_lT_lS4_lS5_liPT6_PT4_,comdat
.Lfunc_end57:
	.size	_ZL18rocblas_dot_kernelIiLb1ELi1024ELi32ELb1E19rocblas_complex_numIfEPKS1_S1_EviT5_lT_lS4_lS5_liPT6_PT4_, .Lfunc_end57-_ZL18rocblas_dot_kernelIiLb1ELi1024ELi32ELb1E19rocblas_complex_numIfEPKS1_S1_EviT5_lT_lS4_lS5_liPT6_PT4_
                                        ; -- End function
	.set _ZL18rocblas_dot_kernelIiLb1ELi1024ELi32ELb1E19rocblas_complex_numIfEPKS1_S1_EviT5_lT_lS4_lS5_liPT6_PT4_.num_vgpr, 26
	.set _ZL18rocblas_dot_kernelIiLb1ELi1024ELi32ELb1E19rocblas_complex_numIfEPKS1_S1_EviT5_lT_lS4_lS5_liPT6_PT4_.num_agpr, 0
	.set _ZL18rocblas_dot_kernelIiLb1ELi1024ELi32ELb1E19rocblas_complex_numIfEPKS1_S1_EviT5_lT_lS4_lS5_liPT6_PT4_.numbered_sgpr, 32
	.set _ZL18rocblas_dot_kernelIiLb1ELi1024ELi32ELb1E19rocblas_complex_numIfEPKS1_S1_EviT5_lT_lS4_lS5_liPT6_PT4_.num_named_barrier, 0
	.set _ZL18rocblas_dot_kernelIiLb1ELi1024ELi32ELb1E19rocblas_complex_numIfEPKS1_S1_EviT5_lT_lS4_lS5_liPT6_PT4_.private_seg_size, 0
	.set _ZL18rocblas_dot_kernelIiLb1ELi1024ELi32ELb1E19rocblas_complex_numIfEPKS1_S1_EviT5_lT_lS4_lS5_liPT6_PT4_.uses_vcc, 1
	.set _ZL18rocblas_dot_kernelIiLb1ELi1024ELi32ELb1E19rocblas_complex_numIfEPKS1_S1_EviT5_lT_lS4_lS5_liPT6_PT4_.uses_flat_scratch, 0
	.set _ZL18rocblas_dot_kernelIiLb1ELi1024ELi32ELb1E19rocblas_complex_numIfEPKS1_S1_EviT5_lT_lS4_lS5_liPT6_PT4_.has_dyn_sized_stack, 0
	.set _ZL18rocblas_dot_kernelIiLb1ELi1024ELi32ELb1E19rocblas_complex_numIfEPKS1_S1_EviT5_lT_lS4_lS5_liPT6_PT4_.has_recursion, 0
	.set _ZL18rocblas_dot_kernelIiLb1ELi1024ELi32ELb1E19rocblas_complex_numIfEPKS1_S1_EviT5_lT_lS4_lS5_liPT6_PT4_.has_indirect_call, 0
	.section	.AMDGPU.csdata,"",@progbits
; Kernel info:
; codeLenInByte = 1124
; TotalNumSgprs: 34
; NumVgprs: 26
; ScratchSize: 0
; MemoryBound: 0
; FloatMode: 240
; IeeeMode: 1
; LDSByteSize: 256 bytes/workgroup (compile time only)
; SGPRBlocks: 0
; VGPRBlocks: 1
; NumSGPRsForWavesPerEU: 34
; NumVGPRsForWavesPerEU: 26
; NamedBarCnt: 0
; Occupancy: 16
; WaveLimiterHint : 0
; COMPUTE_PGM_RSRC2:SCRATCH_EN: 0
; COMPUTE_PGM_RSRC2:USER_SGPR: 2
; COMPUTE_PGM_RSRC2:TRAP_HANDLER: 0
; COMPUTE_PGM_RSRC2:TGID_X_EN: 1
; COMPUTE_PGM_RSRC2:TGID_Y_EN: 0
; COMPUTE_PGM_RSRC2:TGID_Z_EN: 1
; COMPUTE_PGM_RSRC2:TIDIG_COMP_CNT: 0
	.section	.text._ZL24rocblas_dot_kernel_magsqIiLb1ELi1024ELi32ELb1E19rocblas_complex_numIfEPKS1_S1_EviT5_lT_liPT6_PT4_,"axG",@progbits,_ZL24rocblas_dot_kernel_magsqIiLb1ELi1024ELi32ELb1E19rocblas_complex_numIfEPKS1_S1_EviT5_lT_liPT6_PT4_,comdat
	.globl	_ZL24rocblas_dot_kernel_magsqIiLb1ELi1024ELi32ELb1E19rocblas_complex_numIfEPKS1_S1_EviT5_lT_liPT6_PT4_ ; -- Begin function _ZL24rocblas_dot_kernel_magsqIiLb1ELi1024ELi32ELb1E19rocblas_complex_numIfEPKS1_S1_EviT5_lT_liPT6_PT4_
	.p2align	8
	.type	_ZL24rocblas_dot_kernel_magsqIiLb1ELi1024ELi32ELb1E19rocblas_complex_numIfEPKS1_S1_EviT5_lT_liPT6_PT4_,@function
_ZL24rocblas_dot_kernel_magsqIiLb1ELi1024ELi32ELb1E19rocblas_complex_numIfEPKS1_S1_EviT5_lT_liPT6_PT4_: ; @_ZL24rocblas_dot_kernel_magsqIiLb1ELi1024ELi32ELb1E19rocblas_complex_numIfEPKS1_S1_EviT5_lT_liPT6_PT4_
; %bb.0:
	s_load_b32 s3, s[0:1], 0x28
	s_bfe_u32 s2, ttmp6, 0x40014
	s_lshr_b32 s4, ttmp7, 16
	s_add_co_i32 s2, s2, 1
	s_bfe_u32 s5, ttmp6, 0x40008
	s_mul_i32 s2, s4, s2
	s_getreg_b32 s6, hwreg(HW_REG_IB_STS2, 6, 4)
	s_add_co_i32 s5, s5, s2
	s_cmp_eq_u32 s6, 0
	s_mov_b32 s9, 0
	s_cselect_b32 s8, s4, s5
	s_wait_kmcnt 0x0
	s_cmp_ge_u32 s8, s3
	s_cbranch_scc1 .LBB58_17
; %bb.1:
	v_mbcnt_lo_u32_b32 v3, -1, 0
	s_clause 0x4
	s_load_b32 s16, s[0:1], 0x18
	s_load_b96 s[4:6], s[0:1], 0x38
	s_load_b128 s[12:15], s[0:1], 0x8
	s_load_b64 s[20:21], s[0:1], 0x20
	s_load_b32 s18, s[0:1], 0x0
	v_and_b32_e32 v2, 31, v0
	s_wait_xcnt 0x0
	v_cmp_eq_u32_e64 s1, 0, v0
	v_cmp_gt_u32_e64 s0, 24, v3
	v_lshl_or_b32 v8, v3, 2, 64
	v_mov_b32_e32 v14, 0
	v_cmp_gt_u32_e32 vcc_lo, 32, v0
	s_delay_alu instid0(VALU_DEP_4) | instskip(SKIP_1) | instid1(VALU_DEP_2)
	v_cndmask_b32_e64 v4, 0, 8, s0
	v_cmp_gt_u32_e64 s0, 28, v3
	v_add_lshl_u32 v9, v4, v3, 2
	s_delay_alu instid0(VALU_DEP_2)
	v_cndmask_b32_e64 v5, 0, 4, s0
	v_cmp_gt_u32_e64 s0, 30, v3
	v_lshrrev_b32_e32 v4, 2, v0
	s_wait_kmcnt 0x0
	s_ashr_i32 s17, s16, 31
	s_lshl_b32 s6, s6, 10
	v_cndmask_b32_e64 v6, 0, 2, s0
	v_cmp_ne_u32_e64 s0, 31, v3
	v_add_lshl_u32 v10, v5, v3, 2
	s_lshl_b64 s[10:11], s[14:15], 3
	s_ashr_i32 s7, s6, 31
	v_add_lshl_u32 v11, v6, v3, 2
	v_add_co_ci_u32_e64 v7, null, 0, v3, s0
	v_lshlrev_b32_e32 v1, 3, v2
	v_cmp_eq_u32_e64 s0, 0, v2
	v_mov_b64_e32 v[2:3], 0
	s_delay_alu instid0(VALU_DEP_4)
	v_lshlrev_b32_e32 v12, 2, v7
	v_and_b32_e32 v13, 0xf8, v4
	s_add_nc_u64 s[10:11], s[12:13], s[10:11]
	s_lshl_b64 s[12:13], s[16:17], 3
	s_mul_u64 s[16:17], s[16:17], s[6:7]
	s_lshl_b64 s[14:15], s[20:21], 3
	s_lshl_b64 s[16:17], s[16:17], 3
	s_branch .LBB58_3
.LBB58_2:                               ;   in Loop: Header=BB58_3 Depth=1
	s_wait_xcnt 0x0
	s_or_b32 exec_lo, exec_lo, s2
	s_add_co_i32 s8, s8, 0x10000
	s_delay_alu instid0(SALU_CYCLE_1)
	s_cmp_lt_u32 s8, s3
	s_cbranch_scc0 .LBB58_17
.LBB58_3:                               ; =>This Loop Header: Depth=1
                                        ;     Child Loop BB58_5 Depth 2
	s_wait_dscnt 0x0
	v_dual_mov_b32 v5, 0 :: v_dual_mov_b32 v4, 0
	s_mov_b32 s7, exec_lo
	v_cmpx_gt_i32_e64 s18, v0
	s_cbranch_execz .LBB58_7
; %bb.4:                                ;   in Loop: Header=BB58_3 Depth=1
	s_mul_u64 s[20:21], s[14:15], s[8:9]
	v_ashrrev_i32_e32 v5, 31, v0
	s_add_nc_u64 s[20:21], s[10:11], s[20:21]
	s_mov_b32 s19, 0
	v_mad_nc_u64_u32 v[6:7], s12, v0, s[20:21]
	s_mov_b32 s2, 0
	s_delay_alu instid0(VALU_DEP_1) | instskip(NEXT) | instid1(VALU_DEP_1)
	v_mad_u32 v4, s13, v0, v7
	v_mad_u32 v7, s12, v5, v4
	v_mov_b32_e32 v4, 0
	s_delay_alu instid0(VALU_DEP_1)
	v_mov_b32_e32 v5, v4
.LBB58_5:                               ;   Parent Loop BB58_3 Depth=1
                                        ; =>  This Inner Loop Header: Depth=2
	global_load_b64 v[16:17], v[6:7], off
	s_add_co_i32 s20, s2, 1
	s_cmp_gt_u32 s2, 30
	s_wait_xcnt 0x0
	v_add_nc_u64_e32 v[6:7], s[16:17], v[6:7]
	s_cselect_b32 s21, -1, 0
	s_wait_loadcnt 0x0
	v_pk_mul_f32 v[18:19], v[16:17], v[16:17] op_sel:[1,1] op_sel_hi:[0,1]
	s_delay_alu instid0(VALU_DEP_1) | instskip(SKIP_2) | instid1(VALU_DEP_3)
	v_pk_fma_f32 v[20:21], v[16:17], v[16:17], v[18:19] op_sel_hi:[0,1,1] neg_lo:[0,0,1] neg_hi:[0,0,1]
	v_add_nc_u32_e32 v0, s6, v0
	v_pk_fma_f32 v[16:17], v[16:17], v[16:17], v[18:19]
	v_mov_b32_e32 v17, v21
	s_delay_alu instid0(VALU_DEP_3) | instskip(NEXT) | instid1(VALU_DEP_2)
	v_cmp_le_i32_e64 s2, s18, v0
	v_pk_add_f32 v[4:5], v[4:5], v[16:17]
	s_or_b32 s2, s21, s2
	s_delay_alu instid0(SALU_CYCLE_1) | instskip(NEXT) | instid1(SALU_CYCLE_1)
	s_and_b32 s2, exec_lo, s2
	s_or_b32 s19, s2, s19
	s_mov_b32 s2, s20
	s_and_not1_b32 exec_lo, exec_lo, s19
	s_cbranch_execnz .LBB58_5
; %bb.6:                                ;   in Loop: Header=BB58_3 Depth=1
	s_or_b32 exec_lo, exec_lo, s19
.LBB58_7:                               ;   in Loop: Header=BB58_3 Depth=1
	s_delay_alu instid0(SALU_CYCLE_1)
	s_or_b32 exec_lo, exec_lo, s7
	s_and_saveexec_b32 s2, vcc_lo
; %bb.8:                                ;   in Loop: Header=BB58_3 Depth=1
	ds_store_b64 v1, v[2:3]
; %bb.9:                                ;   in Loop: Header=BB58_3 Depth=1
	s_or_b32 exec_lo, exec_lo, s2
	ds_bpermute_b32 v6, v8, v4
	ds_bpermute_b32 v7, v8, v5
	s_wait_dscnt 0x0
	s_barrier_signal -1
	s_barrier_wait -1
	v_pk_add_f32 v[4:5], v[4:5], v[6:7]
	ds_bpermute_b32 v6, v9, v4
	ds_bpermute_b32 v7, v9, v5
	s_wait_dscnt 0x0
	v_pk_add_f32 v[4:5], v[4:5], v[6:7]
	ds_bpermute_b32 v6, v10, v4
	ds_bpermute_b32 v7, v10, v5
	s_wait_dscnt 0x0
	;; [unrolled: 4-line block ×3, first 2 shown]
	v_pk_add_f32 v[4:5], v[4:5], v[6:7]
	ds_bpermute_b32 v6, v12, v4
	ds_bpermute_b32 v7, v12, v5
	s_and_saveexec_b32 s2, s0
	s_cbranch_execz .LBB58_11
; %bb.10:                               ;   in Loop: Header=BB58_3 Depth=1
	s_wait_dscnt 0x0
	v_pk_add_f32 v[4:5], v[4:5], v[6:7]
	ds_store_b64 v13, v[4:5]
.LBB58_11:                              ;   in Loop: Header=BB58_3 Depth=1
	s_or_b32 exec_lo, exec_lo, s2
	v_mov_b64_e32 v[4:5], 0
	s_wait_dscnt 0x0
	s_barrier_signal -1
	s_barrier_wait -1
	s_and_saveexec_b32 s2, vcc_lo
	s_cbranch_execnz .LBB58_14
; %bb.12:                               ;   in Loop: Header=BB58_3 Depth=1
	s_or_b32 exec_lo, exec_lo, s2
	s_and_saveexec_b32 s2, vcc_lo
	s_cbranch_execnz .LBB58_15
.LBB58_13:                              ;   in Loop: Header=BB58_3 Depth=1
	s_or_b32 exec_lo, exec_lo, s2
	s_and_saveexec_b32 s2, s1
	s_cbranch_execz .LBB58_2
	s_branch .LBB58_16
.LBB58_14:                              ;   in Loop: Header=BB58_3 Depth=1
	ds_load_b64 v[4:5], v1
	s_or_b32 exec_lo, exec_lo, s2
	s_and_saveexec_b32 s2, vcc_lo
	s_cbranch_execz .LBB58_13
.LBB58_15:                              ;   in Loop: Header=BB58_3 Depth=1
	s_wait_dscnt 0x0
	ds_bpermute_b32 v6, v8, v4
	ds_bpermute_b32 v7, v8, v5
	s_wait_dscnt 0x0
	v_pk_add_f32 v[4:5], v[4:5], v[6:7]
	ds_bpermute_b32 v6, v9, v4
	ds_bpermute_b32 v7, v9, v5
	s_wait_dscnt 0x0
	v_pk_add_f32 v[4:5], v[4:5], v[6:7]
	;; [unrolled: 4-line block ×5, first 2 shown]
	s_or_b32 exec_lo, exec_lo, s2
	s_and_saveexec_b32 s2, s1
	s_cbranch_execz .LBB58_2
.LBB58_16:                              ;   in Loop: Header=BB58_3 Depth=1
	s_lshl_b64 s[20:21], s[8:9], 3
	s_delay_alu instid0(SALU_CYCLE_1)
	s_add_nc_u64 s[20:21], s[4:5], s[20:21]
	s_wait_dscnt 0x0
	global_store_b64 v14, v[4:5], s[20:21]
	s_branch .LBB58_2
.LBB58_17:
	s_endpgm
	.section	.rodata,"a",@progbits
	.p2align	6, 0x0
	.amdhsa_kernel _ZL24rocblas_dot_kernel_magsqIiLb1ELi1024ELi32ELb1E19rocblas_complex_numIfEPKS1_S1_EviT5_lT_liPT6_PT4_
		.amdhsa_group_segment_fixed_size 256
		.amdhsa_private_segment_fixed_size 0
		.amdhsa_kernarg_size 320
		.amdhsa_user_sgpr_count 2
		.amdhsa_user_sgpr_dispatch_ptr 0
		.amdhsa_user_sgpr_queue_ptr 0
		.amdhsa_user_sgpr_kernarg_segment_ptr 1
		.amdhsa_user_sgpr_dispatch_id 0
		.amdhsa_user_sgpr_kernarg_preload_length 0
		.amdhsa_user_sgpr_kernarg_preload_offset 0
		.amdhsa_user_sgpr_private_segment_size 0
		.amdhsa_wavefront_size32 1
		.amdhsa_uses_dynamic_stack 0
		.amdhsa_enable_private_segment 0
		.amdhsa_system_sgpr_workgroup_id_x 1
		.amdhsa_system_sgpr_workgroup_id_y 0
		.amdhsa_system_sgpr_workgroup_id_z 1
		.amdhsa_system_sgpr_workgroup_info 0
		.amdhsa_system_vgpr_workitem_id 0
		.amdhsa_next_free_vgpr 22
		.amdhsa_next_free_sgpr 22
		.amdhsa_named_barrier_count 0
		.amdhsa_reserve_vcc 1
		.amdhsa_float_round_mode_32 0
		.amdhsa_float_round_mode_16_64 0
		.amdhsa_float_denorm_mode_32 3
		.amdhsa_float_denorm_mode_16_64 3
		.amdhsa_fp16_overflow 0
		.amdhsa_memory_ordered 1
		.amdhsa_forward_progress 1
		.amdhsa_inst_pref_size 8
		.amdhsa_round_robin_scheduling 0
		.amdhsa_exception_fp_ieee_invalid_op 0
		.amdhsa_exception_fp_denorm_src 0
		.amdhsa_exception_fp_ieee_div_zero 0
		.amdhsa_exception_fp_ieee_overflow 0
		.amdhsa_exception_fp_ieee_underflow 0
		.amdhsa_exception_fp_ieee_inexact 0
		.amdhsa_exception_int_div_zero 0
	.end_amdhsa_kernel
	.section	.text._ZL24rocblas_dot_kernel_magsqIiLb1ELi1024ELi32ELb1E19rocblas_complex_numIfEPKS1_S1_EviT5_lT_liPT6_PT4_,"axG",@progbits,_ZL24rocblas_dot_kernel_magsqIiLb1ELi1024ELi32ELb1E19rocblas_complex_numIfEPKS1_S1_EviT5_lT_liPT6_PT4_,comdat
.Lfunc_end58:
	.size	_ZL24rocblas_dot_kernel_magsqIiLb1ELi1024ELi32ELb1E19rocblas_complex_numIfEPKS1_S1_EviT5_lT_liPT6_PT4_, .Lfunc_end58-_ZL24rocblas_dot_kernel_magsqIiLb1ELi1024ELi32ELb1E19rocblas_complex_numIfEPKS1_S1_EviT5_lT_liPT6_PT4_
                                        ; -- End function
	.set _ZL24rocblas_dot_kernel_magsqIiLb1ELi1024ELi32ELb1E19rocblas_complex_numIfEPKS1_S1_EviT5_lT_liPT6_PT4_.num_vgpr, 22
	.set _ZL24rocblas_dot_kernel_magsqIiLb1ELi1024ELi32ELb1E19rocblas_complex_numIfEPKS1_S1_EviT5_lT_liPT6_PT4_.num_agpr, 0
	.set _ZL24rocblas_dot_kernel_magsqIiLb1ELi1024ELi32ELb1E19rocblas_complex_numIfEPKS1_S1_EviT5_lT_liPT6_PT4_.numbered_sgpr, 22
	.set _ZL24rocblas_dot_kernel_magsqIiLb1ELi1024ELi32ELb1E19rocblas_complex_numIfEPKS1_S1_EviT5_lT_liPT6_PT4_.num_named_barrier, 0
	.set _ZL24rocblas_dot_kernel_magsqIiLb1ELi1024ELi32ELb1E19rocblas_complex_numIfEPKS1_S1_EviT5_lT_liPT6_PT4_.private_seg_size, 0
	.set _ZL24rocblas_dot_kernel_magsqIiLb1ELi1024ELi32ELb1E19rocblas_complex_numIfEPKS1_S1_EviT5_lT_liPT6_PT4_.uses_vcc, 1
	.set _ZL24rocblas_dot_kernel_magsqIiLb1ELi1024ELi32ELb1E19rocblas_complex_numIfEPKS1_S1_EviT5_lT_liPT6_PT4_.uses_flat_scratch, 0
	.set _ZL24rocblas_dot_kernel_magsqIiLb1ELi1024ELi32ELb1E19rocblas_complex_numIfEPKS1_S1_EviT5_lT_liPT6_PT4_.has_dyn_sized_stack, 0
	.set _ZL24rocblas_dot_kernel_magsqIiLb1ELi1024ELi32ELb1E19rocblas_complex_numIfEPKS1_S1_EviT5_lT_liPT6_PT4_.has_recursion, 0
	.set _ZL24rocblas_dot_kernel_magsqIiLb1ELi1024ELi32ELb1E19rocblas_complex_numIfEPKS1_S1_EviT5_lT_liPT6_PT4_.has_indirect_call, 0
	.section	.AMDGPU.csdata,"",@progbits
; Kernel info:
; codeLenInByte = 1024
; TotalNumSgprs: 24
; NumVgprs: 22
; ScratchSize: 0
; MemoryBound: 0
; FloatMode: 240
; IeeeMode: 1
; LDSByteSize: 256 bytes/workgroup (compile time only)
; SGPRBlocks: 0
; VGPRBlocks: 1
; NumSGPRsForWavesPerEU: 24
; NumVGPRsForWavesPerEU: 22
; NamedBarCnt: 0
; Occupancy: 16
; WaveLimiterHint : 0
; COMPUTE_PGM_RSRC2:SCRATCH_EN: 0
; COMPUTE_PGM_RSRC2:USER_SGPR: 2
; COMPUTE_PGM_RSRC2:TRAP_HANDLER: 0
; COMPUTE_PGM_RSRC2:TGID_X_EN: 1
; COMPUTE_PGM_RSRC2:TGID_Y_EN: 0
; COMPUTE_PGM_RSRC2:TGID_Z_EN: 1
; COMPUTE_PGM_RSRC2:TIDIG_COMP_CNT: 0
	.section	.text._ZL23rocblas_dot_kernel_inc1ILb0ELi512ELi2ELb1E19rocblas_complex_numIfEPKS1_S1_EviT4_llS4_lliPT5_PT3_,"axG",@progbits,_ZL23rocblas_dot_kernel_inc1ILb0ELi512ELi2ELb1E19rocblas_complex_numIfEPKS1_S1_EviT4_llS4_lliPT5_PT3_,comdat
	.globl	_ZL23rocblas_dot_kernel_inc1ILb0ELi512ELi2ELb1E19rocblas_complex_numIfEPKS1_S1_EviT4_llS4_lliPT5_PT3_ ; -- Begin function _ZL23rocblas_dot_kernel_inc1ILb0ELi512ELi2ELb1E19rocblas_complex_numIfEPKS1_S1_EviT4_llS4_lliPT5_PT3_
	.p2align	8
	.type	_ZL23rocblas_dot_kernel_inc1ILb0ELi512ELi2ELb1E19rocblas_complex_numIfEPKS1_S1_EviT4_llS4_lliPT5_PT3_,@function
_ZL23rocblas_dot_kernel_inc1ILb0ELi512ELi2ELb1E19rocblas_complex_numIfEPKS1_S1_EviT4_llS4_lliPT5_PT3_: ; @_ZL23rocblas_dot_kernel_inc1ILb0ELi512ELi2ELb1E19rocblas_complex_numIfEPKS1_S1_EviT4_llS4_lliPT5_PT3_
; %bb.0:
	s_load_b32 s28, s[0:1], 0x38
	s_bfe_u32 s2, ttmp6, 0x40014
	s_lshr_b32 s3, ttmp7, 16
	s_add_co_i32 s2, s2, 1
	s_bfe_u32 s5, ttmp6, 0x40008
	s_mul_i32 s4, s3, s2
	s_getreg_b32 s2, hwreg(HW_REG_IB_STS2, 6, 4)
	s_add_co_i32 s5, s5, s4
	s_cmp_eq_u32 s2, 0
	s_mov_b32 s17, 0
	s_cselect_b32 s16, s3, s5
	s_wait_kmcnt 0x0
	s_cmp_ge_u32 s16, s28
	s_cbranch_scc1 .LBB59_21
; %bb.1:
	v_mbcnt_lo_u32_b32 v3, -1, 0
	s_clause 0x6
	s_load_b128 s[4:7], s[0:1], 0x10
	s_load_b128 s[8:11], s[0:1], 0x28
	s_load_b64 s[20:21], s[0:1], 0x8
	s_load_b64 s[22:23], s[0:1], 0x20
	s_load_b32 s18, s[0:1], 0x50
	s_load_b128 s[12:15], s[0:1], 0x40
	s_load_b32 s29, s[0:1], 0x0
	s_wait_xcnt 0x0
	s_bfe_u32 s0, ttmp6, 0x4000c
	s_and_b32 s1, ttmp6, 15
	s_add_co_i32 s3, s0, 1
	v_cmp_gt_u32_e32 vcc_lo, 24, v3
	s_mul_i32 s3, ttmp9, s3
	v_and_b32_e32 v1, 31, v0
	s_add_co_i32 s1, s1, s3
	v_cmp_gt_u32_e64 s0, 32, v0
	v_cndmask_b32_e64 v4, 0, 8, vcc_lo
	v_cmp_gt_u32_e32 vcc_lo, 28, v3
	v_cmp_eq_u32_e64 s3, 0, v0
	v_lshl_or_b32 v9, v3, 2, 64
	v_mov_b32_e32 v15, 0
	s_wait_kmcnt 0x0
	s_lshl_b64 s[4:5], s[4:5], 3
	v_cndmask_b32_e64 v5, 0, 4, vcc_lo
	v_cmp_gt_u32_e32 vcc_lo, 30, v3
	s_lshl_b64 s[8:9], s[8:9], 3
	s_cmp_eq_u32 s2, 0
	v_add_lshl_u32 v10, v4, v3, 2
	v_lshrrev_b32_e32 v4, 2, v0
	v_cndmask_b32_e64 v6, 0, 2, vcc_lo
	v_cmp_ne_u32_e32 vcc_lo, 31, v3
	s_add_nc_u64 s[8:9], s[22:23], s[8:9]
	s_cselect_b32 s22, ttmp9, s1
	s_cmp_lg_u32 s18, 1
	v_lshl_or_b32 v2, s22, 9, v0
	v_add_co_ci_u32_e64 v7, null, 0, v3, vcc_lo
	v_lshlrev_b32_e32 v8, 3, v1
	v_cmp_eq_u32_e64 s1, 0, v1
	v_cmp_gt_u32_e64 s2, 16, v0
	v_mov_b64_e32 v[0:1], 0
	s_add_nc_u64 s[4:5], s[20:21], s[4:5]
	s_cselect_b32 s30, -1, 0
	s_lshl_b32 s20, s18, 9
	s_mov_b32 s23, s17
	v_add_lshl_u32 v11, v5, v3, 2
	v_add_lshl_u32 v12, v6, v3, 2
	v_lshlrev_b32_e32 v13, 2, v7
	v_and_b32_e32 v14, 0x78, v4
	s_lshl_b64 s[22:23], s[22:23], 3
	s_ashr_i32 s21, s20, 31
	s_mov_b32 s19, s17
	s_add_nc_u64 s[12:13], s[12:13], s[22:23]
	s_lshl_b64 s[22:23], s[20:21], 3
	s_branch .LBB59_4
.LBB59_2:                               ;   in Loop: Header=BB59_4 Depth=1
	s_wait_dscnt 0x0
	global_store_b32 v15, v5, s[24:25] offset:4
.LBB59_3:                               ;   in Loop: Header=BB59_4 Depth=1
	s_wait_xcnt 0x0
	s_or_b32 exec_lo, exec_lo, s21
	s_add_co_i32 s16, s16, 0x10000
	s_delay_alu instid0(SALU_CYCLE_1)
	s_cmp_lt_u32 s16, s28
	s_cbranch_scc0 .LBB59_21
.LBB59_4:                               ; =>This Inner Loop Header: Depth=1
	s_wait_dscnt 0x0
	v_dual_mov_b32 v4, 0 :: v_dual_mov_b32 v5, 0
	s_mov_b32 s21, exec_lo
	v_cmpx_gt_i32_e64 s29, v2
	s_cbranch_execz .LBB59_8
; %bb.5:                                ;   in Loop: Header=BB59_4 Depth=1
	s_mul_u64 s[24:25], s[10:11], s[16:17]
	s_mul_u64 s[26:27], s[6:7], s[16:17]
	s_lshl_b64 s[24:25], s[24:25], 3
	s_lshl_b64 s[26:27], s[26:27], 3
	s_add_nc_u64 s[24:25], s[8:9], s[24:25]
	s_add_nc_u64 s[26:27], s[4:5], s[26:27]
	s_clause 0x1
	global_load_b64 v[4:5], v2, s[24:25] scale_offset
	global_load_b64 v[6:7], v2, s[26:27] scale_offset
	s_mov_b32 s31, exec_lo
	s_wait_loadcnt 0x1
	v_mov_b32_e32 v18, v5
	s_wait_loadcnt 0x0
	v_pk_mul_f32 v[16:17], v[6:7], v[4:5] op_sel_hi:[1,0]
	s_delay_alu instid0(VALU_DEP_1) | instskip(NEXT) | instid1(VALU_DEP_3)
	v_pk_fma_f32 v[4:5], v[6:7], v[4:5], v[16:17] op_sel:[1,1,0] op_sel_hi:[0,1,1] neg_lo:[0,0,1] neg_hi:[0,0,1]
	v_pk_fma_f32 v[16:17], v[6:7], v[18:19], v[16:17] op_sel:[1,0,0] op_sel_hi:[0,1,1]
	s_delay_alu instid0(VALU_DEP_2) | instskip(NEXT) | instid1(VALU_DEP_1)
	v_dual_mov_b32 v17, v5 :: v_dual_add_nc_u32 v6, s20, v2
	v_pk_add_f32 v[4:5], v[16:17], 0 op_sel_hi:[1,0]
	s_wait_xcnt 0x0
	s_delay_alu instid0(VALU_DEP_2)
	v_cmpx_gt_i32_e64 s29, v6
	s_cbranch_execz .LBB59_7
; %bb.6:                                ;   in Loop: Header=BB59_4 Depth=1
	v_ashrrev_i32_e32 v3, 31, v2
	v_add_nc_u32_e32 v6, s20, v6
	s_delay_alu instid0(VALU_DEP_2) | instskip(NEXT) | instid1(VALU_DEP_1)
	v_lshlrev_b64_e32 v[2:3], 3, v[2:3]
	v_add_nc_u64_e32 v[16:17], s[26:27], v[2:3]
	v_add_nc_u64_e32 v[2:3], s[24:25], v[2:3]
	s_delay_alu instid0(VALU_DEP_2) | instskip(NEXT) | instid1(VALU_DEP_2)
	v_add_nc_u64_e32 v[16:17], s[22:23], v[16:17]
	v_add_nc_u64_e32 v[2:3], s[22:23], v[2:3]
	global_load_b64 v[18:19], v[16:17], off
	global_load_b64 v[20:21], v[2:3], off
	s_wait_loadcnt 0x0
	s_wait_xcnt 0x0
	v_pk_mul_f32 v[2:3], v[18:19], v[20:21] op_sel_hi:[1,0]
	v_mov_b32_e32 v16, v21
	s_delay_alu instid0(VALU_DEP_2) | instskip(NEXT) | instid1(VALU_DEP_2)
	v_pk_fma_f32 v[20:21], v[18:19], v[20:21], v[2:3] op_sel:[1,1,0] op_sel_hi:[0,1,1] neg_lo:[0,0,1] neg_hi:[0,0,1]
	v_pk_fma_f32 v[2:3], v[18:19], v[16:17], v[2:3] op_sel:[1,0,0] op_sel_hi:[0,1,1]
	s_delay_alu instid0(VALU_DEP_2) | instskip(NEXT) | instid1(VALU_DEP_1)
	v_mov_b32_e32 v3, v21
	v_pk_add_f32 v[4:5], v[4:5], v[2:3]
.LBB59_7:                               ;   in Loop: Header=BB59_4 Depth=1
	s_or_b32 exec_lo, exec_lo, s31
	v_mov_b32_e32 v2, v6
.LBB59_8:                               ;   in Loop: Header=BB59_4 Depth=1
	s_or_b32 exec_lo, exec_lo, s21
	s_and_saveexec_b32 s21, s0
; %bb.9:                                ;   in Loop: Header=BB59_4 Depth=1
	ds_store_b64 v8, v[0:1]
; %bb.10:                               ;   in Loop: Header=BB59_4 Depth=1
	s_or_b32 exec_lo, exec_lo, s21
	ds_bpermute_b32 v6, v9, v4
	ds_bpermute_b32 v7, v9, v5
	s_wait_dscnt 0x0
	s_barrier_signal -1
	s_barrier_wait -1
	v_pk_add_f32 v[4:5], v[4:5], v[6:7]
	ds_bpermute_b32 v6, v10, v4
	ds_bpermute_b32 v7, v10, v5
	s_wait_dscnt 0x0
	v_pk_add_f32 v[4:5], v[4:5], v[6:7]
	ds_bpermute_b32 v6, v11, v4
	ds_bpermute_b32 v7, v11, v5
	s_wait_dscnt 0x0
	v_pk_add_f32 v[4:5], v[4:5], v[6:7]
	ds_bpermute_b32 v6, v12, v4
	ds_bpermute_b32 v7, v12, v5
	s_wait_dscnt 0x0
	v_pk_add_f32 v[4:5], v[4:5], v[6:7]
	ds_bpermute_b32 v6, v13, v4
	ds_bpermute_b32 v7, v13, v5
	s_and_saveexec_b32 s21, s1
	s_cbranch_execz .LBB59_12
; %bb.11:                               ;   in Loop: Header=BB59_4 Depth=1
	s_wait_dscnt 0x0
	v_pk_add_f32 v[4:5], v[4:5], v[6:7]
	ds_store_b64 v14, v[4:5]
.LBB59_12:                              ;   in Loop: Header=BB59_4 Depth=1
	s_or_b32 exec_lo, exec_lo, s21
	v_mov_b64_e32 v[4:5], 0
	s_wait_dscnt 0x0
	s_barrier_signal -1
	s_barrier_wait -1
	s_and_saveexec_b32 s21, s2
	s_cbranch_execnz .LBB59_15
; %bb.13:                               ;   in Loop: Header=BB59_4 Depth=1
	s_or_b32 exec_lo, exec_lo, s21
	s_and_saveexec_b32 s21, s0
	s_cbranch_execnz .LBB59_16
.LBB59_14:                              ;   in Loop: Header=BB59_4 Depth=1
	s_or_b32 exec_lo, exec_lo, s21
	s_and_saveexec_b32 s21, s3
	s_cbranch_execz .LBB59_3
	s_branch .LBB59_17
.LBB59_15:                              ;   in Loop: Header=BB59_4 Depth=1
	ds_load_b64 v[4:5], v8
	s_or_b32 exec_lo, exec_lo, s21
	s_and_saveexec_b32 s21, s0
	s_cbranch_execz .LBB59_14
.LBB59_16:                              ;   in Loop: Header=BB59_4 Depth=1
	s_wait_dscnt 0x0
	ds_bpermute_b32 v6, v10, v4
	ds_bpermute_b32 v7, v10, v5
	s_wait_dscnt 0x0
	v_pk_add_f32 v[4:5], v[4:5], v[6:7]
	ds_bpermute_b32 v6, v11, v4
	ds_bpermute_b32 v7, v11, v5
	s_wait_dscnt 0x0
	v_pk_add_f32 v[4:5], v[4:5], v[6:7]
	;; [unrolled: 4-line block ×4, first 2 shown]
	s_or_b32 exec_lo, exec_lo, s21
	s_and_saveexec_b32 s21, s3
	s_cbranch_execz .LBB59_3
.LBB59_17:                              ;   in Loop: Header=BB59_4 Depth=1
	s_and_b32 vcc_lo, exec_lo, s30
	s_mov_b32 s26, -1
                                        ; implicit-def: $sgpr24_sgpr25
	s_cbranch_vccz .LBB59_19
; %bb.18:                               ;   in Loop: Header=BB59_4 Depth=1
	s_mul_u64 s[24:25], s[18:19], s[16:17]
	s_mov_b32 s26, 0
	s_lshl_b64 s[24:25], s[24:25], 3
	s_delay_alu instid0(SALU_CYCLE_1)
	s_add_nc_u64 s[24:25], s[12:13], s[24:25]
	s_wait_dscnt 0x0
	global_store_b32 v15, v4, s[24:25]
.LBB59_19:                              ;   in Loop: Header=BB59_4 Depth=1
	s_and_not1_b32 vcc_lo, exec_lo, s26
	s_cbranch_vccnz .LBB59_2
; %bb.20:                               ;   in Loop: Header=BB59_4 Depth=1
	s_wait_xcnt 0x0
	s_lshl_b64 s[24:25], s[16:17], 3
	s_delay_alu instid0(SALU_CYCLE_1)
	s_add_nc_u64 s[24:25], s[14:15], s[24:25]
	s_wait_dscnt 0x0
	global_store_b32 v15, v4, s[24:25]
	s_branch .LBB59_2
.LBB59_21:
	s_endpgm
	.section	.rodata,"a",@progbits
	.p2align	6, 0x0
	.amdhsa_kernel _ZL23rocblas_dot_kernel_inc1ILb0ELi512ELi2ELb1E19rocblas_complex_numIfEPKS1_S1_EviT4_llS4_lliPT5_PT3_
		.amdhsa_group_segment_fixed_size 256
		.amdhsa_private_segment_fixed_size 0
		.amdhsa_kernarg_size 336
		.amdhsa_user_sgpr_count 2
		.amdhsa_user_sgpr_dispatch_ptr 0
		.amdhsa_user_sgpr_queue_ptr 0
		.amdhsa_user_sgpr_kernarg_segment_ptr 1
		.amdhsa_user_sgpr_dispatch_id 0
		.amdhsa_user_sgpr_kernarg_preload_length 0
		.amdhsa_user_sgpr_kernarg_preload_offset 0
		.amdhsa_user_sgpr_private_segment_size 0
		.amdhsa_wavefront_size32 1
		.amdhsa_uses_dynamic_stack 0
		.amdhsa_enable_private_segment 0
		.amdhsa_system_sgpr_workgroup_id_x 1
		.amdhsa_system_sgpr_workgroup_id_y 0
		.amdhsa_system_sgpr_workgroup_id_z 1
		.amdhsa_system_sgpr_workgroup_info 0
		.amdhsa_system_vgpr_workitem_id 0
		.amdhsa_next_free_vgpr 22
		.amdhsa_next_free_sgpr 32
		.amdhsa_named_barrier_count 0
		.amdhsa_reserve_vcc 1
		.amdhsa_float_round_mode_32 0
		.amdhsa_float_round_mode_16_64 0
		.amdhsa_float_denorm_mode_32 3
		.amdhsa_float_denorm_mode_16_64 3
		.amdhsa_fp16_overflow 0
		.amdhsa_memory_ordered 1
		.amdhsa_forward_progress 1
		.amdhsa_inst_pref_size 10
		.amdhsa_round_robin_scheduling 0
		.amdhsa_exception_fp_ieee_invalid_op 0
		.amdhsa_exception_fp_denorm_src 0
		.amdhsa_exception_fp_ieee_div_zero 0
		.amdhsa_exception_fp_ieee_overflow 0
		.amdhsa_exception_fp_ieee_underflow 0
		.amdhsa_exception_fp_ieee_inexact 0
		.amdhsa_exception_int_div_zero 0
	.end_amdhsa_kernel
	.section	.text._ZL23rocblas_dot_kernel_inc1ILb0ELi512ELi2ELb1E19rocblas_complex_numIfEPKS1_S1_EviT4_llS4_lliPT5_PT3_,"axG",@progbits,_ZL23rocblas_dot_kernel_inc1ILb0ELi512ELi2ELb1E19rocblas_complex_numIfEPKS1_S1_EviT4_llS4_lliPT5_PT3_,comdat
.Lfunc_end59:
	.size	_ZL23rocblas_dot_kernel_inc1ILb0ELi512ELi2ELb1E19rocblas_complex_numIfEPKS1_S1_EviT4_llS4_lliPT5_PT3_, .Lfunc_end59-_ZL23rocblas_dot_kernel_inc1ILb0ELi512ELi2ELb1E19rocblas_complex_numIfEPKS1_S1_EviT4_llS4_lliPT5_PT3_
                                        ; -- End function
	.set _ZL23rocblas_dot_kernel_inc1ILb0ELi512ELi2ELb1E19rocblas_complex_numIfEPKS1_S1_EviT4_llS4_lliPT5_PT3_.num_vgpr, 22
	.set _ZL23rocblas_dot_kernel_inc1ILb0ELi512ELi2ELb1E19rocblas_complex_numIfEPKS1_S1_EviT4_llS4_lliPT5_PT3_.num_agpr, 0
	.set _ZL23rocblas_dot_kernel_inc1ILb0ELi512ELi2ELb1E19rocblas_complex_numIfEPKS1_S1_EviT4_llS4_lliPT5_PT3_.numbered_sgpr, 32
	.set _ZL23rocblas_dot_kernel_inc1ILb0ELi512ELi2ELb1E19rocblas_complex_numIfEPKS1_S1_EviT4_llS4_lliPT5_PT3_.num_named_barrier, 0
	.set _ZL23rocblas_dot_kernel_inc1ILb0ELi512ELi2ELb1E19rocblas_complex_numIfEPKS1_S1_EviT4_llS4_lliPT5_PT3_.private_seg_size, 0
	.set _ZL23rocblas_dot_kernel_inc1ILb0ELi512ELi2ELb1E19rocblas_complex_numIfEPKS1_S1_EviT4_llS4_lliPT5_PT3_.uses_vcc, 1
	.set _ZL23rocblas_dot_kernel_inc1ILb0ELi512ELi2ELb1E19rocblas_complex_numIfEPKS1_S1_EviT4_llS4_lliPT5_PT3_.uses_flat_scratch, 0
	.set _ZL23rocblas_dot_kernel_inc1ILb0ELi512ELi2ELb1E19rocblas_complex_numIfEPKS1_S1_EviT4_llS4_lliPT5_PT3_.has_dyn_sized_stack, 0
	.set _ZL23rocblas_dot_kernel_inc1ILb0ELi512ELi2ELb1E19rocblas_complex_numIfEPKS1_S1_EviT4_llS4_lliPT5_PT3_.has_recursion, 0
	.set _ZL23rocblas_dot_kernel_inc1ILb0ELi512ELi2ELb1E19rocblas_complex_numIfEPKS1_S1_EviT4_llS4_lliPT5_PT3_.has_indirect_call, 0
	.section	.AMDGPU.csdata,"",@progbits
; Kernel info:
; codeLenInByte = 1200
; TotalNumSgprs: 34
; NumVgprs: 22
; ScratchSize: 0
; MemoryBound: 0
; FloatMode: 240
; IeeeMode: 1
; LDSByteSize: 256 bytes/workgroup (compile time only)
; SGPRBlocks: 0
; VGPRBlocks: 1
; NumSGPRsForWavesPerEU: 34
; NumVGPRsForWavesPerEU: 22
; NamedBarCnt: 0
; Occupancy: 16
; WaveLimiterHint : 0
; COMPUTE_PGM_RSRC2:SCRATCH_EN: 0
; COMPUTE_PGM_RSRC2:USER_SGPR: 2
; COMPUTE_PGM_RSRC2:TRAP_HANDLER: 0
; COMPUTE_PGM_RSRC2:TGID_X_EN: 1
; COMPUTE_PGM_RSRC2:TGID_Y_EN: 0
; COMPUTE_PGM_RSRC2:TGID_Z_EN: 1
; COMPUTE_PGM_RSRC2:TIDIG_COMP_CNT: 0
	.section	.text._ZL18rocblas_dot_kernelIiLb0ELi512ELi2ELb1E19rocblas_complex_numIfEPKS1_S1_EviT5_lT_lS4_lS5_liPT6_PT4_,"axG",@progbits,_ZL18rocblas_dot_kernelIiLb0ELi512ELi2ELb1E19rocblas_complex_numIfEPKS1_S1_EviT5_lT_lS4_lS5_liPT6_PT4_,comdat
	.globl	_ZL18rocblas_dot_kernelIiLb0ELi512ELi2ELb1E19rocblas_complex_numIfEPKS1_S1_EviT5_lT_lS4_lS5_liPT6_PT4_ ; -- Begin function _ZL18rocblas_dot_kernelIiLb0ELi512ELi2ELb1E19rocblas_complex_numIfEPKS1_S1_EviT5_lT_lS4_lS5_liPT6_PT4_
	.p2align	8
	.type	_ZL18rocblas_dot_kernelIiLb0ELi512ELi2ELb1E19rocblas_complex_numIfEPKS1_S1_EviT5_lT_lS4_lS5_liPT6_PT4_,@function
_ZL18rocblas_dot_kernelIiLb0ELi512ELi2ELb1E19rocblas_complex_numIfEPKS1_S1_EviT5_lT_lS4_lS5_liPT6_PT4_: ; @_ZL18rocblas_dot_kernelIiLb0ELi512ELi2ELb1E19rocblas_complex_numIfEPKS1_S1_EviT5_lT_lS4_lS5_liPT6_PT4_
; %bb.0:
	s_load_b32 s28, s[0:1], 0x48
	s_bfe_u32 s2, ttmp6, 0x40014
	s_lshr_b32 s3, ttmp7, 16
	s_add_co_i32 s2, s2, 1
	s_bfe_u32 s5, ttmp6, 0x40008
	s_mul_i32 s4, s3, s2
	s_getreg_b32 s2, hwreg(HW_REG_IB_STS2, 6, 4)
	s_add_co_i32 s5, s5, s4
	s_cmp_eq_u32 s2, 0
	s_mov_b32 s13, 0
	s_cselect_b32 s12, s3, s5
	s_wait_kmcnt 0x0
	s_cmp_ge_u32 s12, s28
	s_cbranch_scc1 .LBB60_21
; %bb.1:
	v_mbcnt_lo_u32_b32 v3, -1, 0
	s_clause 0x7
	s_load_b32 s14, s[0:1], 0x18
	s_load_b96 s[36:38], s[0:1], 0x30
	s_load_b128 s[24:27], s[0:1], 0x8
	s_load_b128 s[4:7], s[0:1], 0x20
	s_load_b32 s16, s[0:1], 0x60
	s_load_b32 s29, s[0:1], 0x0
	s_load_b128 s[8:11], s[0:1], 0x50
	s_load_b64 s[18:19], s[0:1], 0x40
	s_wait_xcnt 0x0
	s_bfe_u32 s0, ttmp6, 0x4000c
	s_and_b32 s1, ttmp6, 15
	s_add_co_i32 s0, s0, 1
	v_cmp_gt_u32_e32 vcc_lo, 24, v3
	s_mul_i32 s0, ttmp9, s0
	v_and_b32_e32 v1, 31, v0
	s_add_co_i32 s3, s1, s0
	v_lshl_or_b32 v9, v3, 2, 64
	v_cndmask_b32_e64 v4, 0, 8, vcc_lo
	v_cmp_gt_u32_e32 vcc_lo, 28, v3
	v_mov_b32_e32 v15, 0
	s_mov_b32 s17, s13
	s_wait_kmcnt 0x0
	s_ashr_i32 s15, s14, 31
	s_ashr_i32 s21, s38, 31
	v_cndmask_b32_e64 v5, 0, 4, vcc_lo
	v_cmp_gt_u32_e32 vcc_lo, 30, v3
	s_lshl_b64 s[0:1], s[26:27], 3
	s_lshl_b64 s[26:27], s[36:37], 3
	s_cmp_eq_u32 s2, 0
	v_add_lshl_u32 v10, v4, v3, 2
	v_cndmask_b32_e64 v6, 0, 2, vcc_lo
	v_cmp_ne_u32_e32 vcc_lo, 31, v3
	v_lshrrev_b32_e32 v4, 2, v0
	s_add_nc_u64 s[22:23], s[24:25], s[0:1]
	s_cselect_b32 s24, ttmp9, s3
	v_cmp_gt_u32_e64 s0, 32, v0
	v_add_co_ci_u32_e64 v7, null, 0, v3, vcc_lo
	v_lshl_or_b32 v2, s24, 9, v0
	v_lshlrev_b32_e32 v8, 3, v1
	v_cmp_eq_u32_e64 s1, 0, v1
	v_cmp_gt_u32_e64 s2, 16, v0
	v_cmp_eq_u32_e64 s3, 0, v0
	v_mov_b64_e32 v[0:1], 0
	s_cmp_lg_u32 s16, 1
	s_mov_b32 s25, s13
	v_add_lshl_u32 v11, v5, v3, 2
	v_add_lshl_u32 v12, v6, v3, 2
	v_lshlrev_b32_e32 v13, 2, v7
	v_and_b32_e32 v14, 0x78, v4
	s_cselect_b32 s30, -1, 0
	s_lshl_b64 s[24:25], s[24:25], 3
	s_mov_b32 s20, s38
	s_add_nc_u64 s[6:7], s[6:7], s[26:27]
	s_lshl_b32 s31, s16, 9
	s_add_nc_u64 s[8:9], s[8:9], s[24:25]
	s_branch .LBB60_4
.LBB60_2:                               ;   in Loop: Header=BB60_4 Depth=1
	s_wait_dscnt 0x0
	global_store_b32 v15, v5, s[24:25] offset:4
.LBB60_3:                               ;   in Loop: Header=BB60_4 Depth=1
	s_wait_xcnt 0x0
	s_or_b32 exec_lo, exec_lo, s26
	s_add_co_i32 s12, s12, 0x10000
	s_delay_alu instid0(SALU_CYCLE_1)
	s_cmp_lt_u32 s12, s28
	s_cbranch_scc0 .LBB60_21
.LBB60_4:                               ; =>This Inner Loop Header: Depth=1
	s_wait_dscnt 0x0
	v_dual_mov_b32 v4, 0 :: v_dual_mov_b32 v5, 0
	s_mov_b32 s33, exec_lo
	v_cmpx_gt_i32_e64 s29, v2
	s_cbranch_execz .LBB60_8
; %bb.5:                                ;   in Loop: Header=BB60_4 Depth=1
	v_ashrrev_i32_e32 v3, 31, v2
	s_mul_u64 s[24:25], s[18:19], s[12:13]
	s_mul_u64 s[26:27], s[4:5], s[12:13]
	s_lshl_b64 s[24:25], s[24:25], 3
	s_lshl_b64 s[26:27], s[26:27], 3
	v_mul_u64_e32 v[4:5], s[20:21], v[2:3]
	v_mul_u64_e32 v[6:7], s[14:15], v[2:3]
	s_add_nc_u64 s[24:25], s[6:7], s[24:25]
	s_add_nc_u64 s[26:27], s[22:23], s[26:27]
	s_mov_b32 s34, exec_lo
	v_add_nc_u32_e32 v2, s31, v2
	s_delay_alu instid0(VALU_DEP_3) | instskip(NEXT) | instid1(VALU_DEP_3)
	v_lshl_add_u64 v[4:5], v[4:5], 3, s[24:25]
	v_lshl_add_u64 v[6:7], v[6:7], 3, s[26:27]
	global_load_b64 v[16:17], v[4:5], off
	global_load_b64 v[18:19], v[6:7], off
	s_wait_loadcnt 0x1
	s_wait_xcnt 0x0
	v_mov_b32_e32 v6, v17
	s_wait_loadcnt 0x0
	v_pk_mul_f32 v[4:5], v[18:19], v[16:17] op_sel_hi:[1,0]
	s_delay_alu instid0(VALU_DEP_1) | instskip(NEXT) | instid1(VALU_DEP_3)
	v_pk_fma_f32 v[16:17], v[18:19], v[16:17], v[4:5] op_sel:[1,1,0] op_sel_hi:[0,1,1] neg_lo:[0,0,1] neg_hi:[0,0,1]
	v_pk_fma_f32 v[4:5], v[18:19], v[6:7], v[4:5] op_sel:[1,0,0] op_sel_hi:[0,1,1]
	s_delay_alu instid0(VALU_DEP_2) | instskip(NEXT) | instid1(VALU_DEP_1)
	v_mov_b32_e32 v5, v17
	v_pk_add_f32 v[4:5], v[4:5], 0 op_sel_hi:[1,0]
	v_cmpx_gt_i32_e64 s29, v2
	s_cbranch_execz .LBB60_7
; %bb.6:                                ;   in Loop: Header=BB60_4 Depth=1
	v_ashrrev_i32_e32 v3, 31, v2
	s_delay_alu instid0(VALU_DEP_1) | instskip(SKIP_2) | instid1(VALU_DEP_3)
	v_mul_u64_e32 v[6:7], s[14:15], v[2:3]
	v_mul_u64_e32 v[16:17], s[20:21], v[2:3]
	v_add_nc_u32_e32 v2, s31, v2
	v_lshl_add_u64 v[6:7], v[6:7], 3, s[26:27]
	s_delay_alu instid0(VALU_DEP_3)
	v_lshl_add_u64 v[16:17], v[16:17], 3, s[24:25]
	global_load_b64 v[18:19], v[6:7], off
	global_load_b64 v[20:21], v[16:17], off
	s_wait_loadcnt 0x0
	s_wait_xcnt 0x1
	v_pk_mul_f32 v[6:7], v[18:19], v[20:21] op_sel_hi:[1,0]
	s_wait_xcnt 0x0
	v_mov_b32_e32 v16, v21
	s_delay_alu instid0(VALU_DEP_2) | instskip(NEXT) | instid1(VALU_DEP_2)
	v_pk_fma_f32 v[20:21], v[18:19], v[20:21], v[6:7] op_sel:[1,1,0] op_sel_hi:[0,1,1] neg_lo:[0,0,1] neg_hi:[0,0,1]
	v_pk_fma_f32 v[6:7], v[18:19], v[16:17], v[6:7] op_sel:[1,0,0] op_sel_hi:[0,1,1]
	s_delay_alu instid0(VALU_DEP_2) | instskip(NEXT) | instid1(VALU_DEP_1)
	v_mov_b32_e32 v7, v21
	v_pk_add_f32 v[4:5], v[4:5], v[6:7]
.LBB60_7:                               ;   in Loop: Header=BB60_4 Depth=1
	s_or_b32 exec_lo, exec_lo, s34
.LBB60_8:                               ;   in Loop: Header=BB60_4 Depth=1
	s_delay_alu instid0(SALU_CYCLE_1)
	s_or_b32 exec_lo, exec_lo, s33
	s_and_saveexec_b32 s24, s0
; %bb.9:                                ;   in Loop: Header=BB60_4 Depth=1
	ds_store_b64 v8, v[0:1]
; %bb.10:                               ;   in Loop: Header=BB60_4 Depth=1
	s_or_b32 exec_lo, exec_lo, s24
	ds_bpermute_b32 v6, v9, v4
	ds_bpermute_b32 v7, v9, v5
	s_wait_dscnt 0x0
	s_barrier_signal -1
	s_barrier_wait -1
	v_pk_add_f32 v[4:5], v[4:5], v[6:7]
	ds_bpermute_b32 v6, v10, v4
	ds_bpermute_b32 v7, v10, v5
	s_wait_dscnt 0x0
	v_pk_add_f32 v[4:5], v[4:5], v[6:7]
	ds_bpermute_b32 v6, v11, v4
	ds_bpermute_b32 v7, v11, v5
	s_wait_dscnt 0x0
	;; [unrolled: 4-line block ×3, first 2 shown]
	v_pk_add_f32 v[4:5], v[4:5], v[6:7]
	ds_bpermute_b32 v6, v13, v4
	ds_bpermute_b32 v7, v13, v5
	s_and_saveexec_b32 s24, s1
	s_cbranch_execz .LBB60_12
; %bb.11:                               ;   in Loop: Header=BB60_4 Depth=1
	s_wait_dscnt 0x0
	v_pk_add_f32 v[4:5], v[4:5], v[6:7]
	ds_store_b64 v14, v[4:5]
.LBB60_12:                              ;   in Loop: Header=BB60_4 Depth=1
	s_or_b32 exec_lo, exec_lo, s24
	v_mov_b64_e32 v[4:5], 0
	s_wait_dscnt 0x0
	s_barrier_signal -1
	s_barrier_wait -1
	s_and_saveexec_b32 s24, s2
	s_cbranch_execnz .LBB60_15
; %bb.13:                               ;   in Loop: Header=BB60_4 Depth=1
	s_or_b32 exec_lo, exec_lo, s24
	s_and_saveexec_b32 s24, s0
	s_cbranch_execnz .LBB60_16
.LBB60_14:                              ;   in Loop: Header=BB60_4 Depth=1
	s_or_b32 exec_lo, exec_lo, s24
	s_and_saveexec_b32 s26, s3
	s_cbranch_execz .LBB60_3
	s_branch .LBB60_17
.LBB60_15:                              ;   in Loop: Header=BB60_4 Depth=1
	ds_load_b64 v[4:5], v8
	s_or_b32 exec_lo, exec_lo, s24
	s_and_saveexec_b32 s24, s0
	s_cbranch_execz .LBB60_14
.LBB60_16:                              ;   in Loop: Header=BB60_4 Depth=1
	s_wait_dscnt 0x0
	ds_bpermute_b32 v6, v10, v4
	ds_bpermute_b32 v7, v10, v5
	s_wait_dscnt 0x0
	v_pk_add_f32 v[4:5], v[4:5], v[6:7]
	ds_bpermute_b32 v6, v11, v4
	ds_bpermute_b32 v7, v11, v5
	s_wait_dscnt 0x0
	v_pk_add_f32 v[4:5], v[4:5], v[6:7]
	;; [unrolled: 4-line block ×4, first 2 shown]
	s_or_b32 exec_lo, exec_lo, s24
	s_and_saveexec_b32 s26, s3
	s_cbranch_execz .LBB60_3
.LBB60_17:                              ;   in Loop: Header=BB60_4 Depth=1
	s_and_b32 vcc_lo, exec_lo, s30
	s_mov_b32 s27, -1
                                        ; implicit-def: $sgpr24_sgpr25
	s_cbranch_vccz .LBB60_19
; %bb.18:                               ;   in Loop: Header=BB60_4 Depth=1
	s_mul_u64 s[24:25], s[16:17], s[12:13]
	s_mov_b32 s27, 0
	s_lshl_b64 s[24:25], s[24:25], 3
	s_delay_alu instid0(SALU_CYCLE_1)
	s_add_nc_u64 s[24:25], s[8:9], s[24:25]
	s_wait_dscnt 0x0
	global_store_b32 v15, v4, s[24:25]
.LBB60_19:                              ;   in Loop: Header=BB60_4 Depth=1
	s_and_not1_b32 vcc_lo, exec_lo, s27
	s_cbranch_vccnz .LBB60_2
; %bb.20:                               ;   in Loop: Header=BB60_4 Depth=1
	s_wait_xcnt 0x0
	s_lshl_b64 s[24:25], s[12:13], 3
	s_delay_alu instid0(SALU_CYCLE_1)
	s_add_nc_u64 s[24:25], s[10:11], s[24:25]
	s_wait_dscnt 0x0
	global_store_b32 v15, v4, s[24:25]
	s_branch .LBB60_2
.LBB60_21:
	s_endpgm
	.section	.rodata,"a",@progbits
	.p2align	6, 0x0
	.amdhsa_kernel _ZL18rocblas_dot_kernelIiLb0ELi512ELi2ELb1E19rocblas_complex_numIfEPKS1_S1_EviT5_lT_lS4_lS5_liPT6_PT4_
		.amdhsa_group_segment_fixed_size 256
		.amdhsa_private_segment_fixed_size 0
		.amdhsa_kernarg_size 352
		.amdhsa_user_sgpr_count 2
		.amdhsa_user_sgpr_dispatch_ptr 0
		.amdhsa_user_sgpr_queue_ptr 0
		.amdhsa_user_sgpr_kernarg_segment_ptr 1
		.amdhsa_user_sgpr_dispatch_id 0
		.amdhsa_user_sgpr_kernarg_preload_length 0
		.amdhsa_user_sgpr_kernarg_preload_offset 0
		.amdhsa_user_sgpr_private_segment_size 0
		.amdhsa_wavefront_size32 1
		.amdhsa_uses_dynamic_stack 0
		.amdhsa_enable_private_segment 0
		.amdhsa_system_sgpr_workgroup_id_x 1
		.amdhsa_system_sgpr_workgroup_id_y 0
		.amdhsa_system_sgpr_workgroup_id_z 1
		.amdhsa_system_sgpr_workgroup_info 0
		.amdhsa_system_vgpr_workitem_id 0
		.amdhsa_next_free_vgpr 22
		.amdhsa_next_free_sgpr 39
		.amdhsa_named_barrier_count 0
		.amdhsa_reserve_vcc 1
		.amdhsa_float_round_mode_32 0
		.amdhsa_float_round_mode_16_64 0
		.amdhsa_float_denorm_mode_32 3
		.amdhsa_float_denorm_mode_16_64 3
		.amdhsa_fp16_overflow 0
		.amdhsa_memory_ordered 1
		.amdhsa_forward_progress 1
		.amdhsa_inst_pref_size 10
		.amdhsa_round_robin_scheduling 0
		.amdhsa_exception_fp_ieee_invalid_op 0
		.amdhsa_exception_fp_denorm_src 0
		.amdhsa_exception_fp_ieee_div_zero 0
		.amdhsa_exception_fp_ieee_overflow 0
		.amdhsa_exception_fp_ieee_underflow 0
		.amdhsa_exception_fp_ieee_inexact 0
		.amdhsa_exception_int_div_zero 0
	.end_amdhsa_kernel
	.section	.text._ZL18rocblas_dot_kernelIiLb0ELi512ELi2ELb1E19rocblas_complex_numIfEPKS1_S1_EviT5_lT_lS4_lS5_liPT6_PT4_,"axG",@progbits,_ZL18rocblas_dot_kernelIiLb0ELi512ELi2ELb1E19rocblas_complex_numIfEPKS1_S1_EviT5_lT_lS4_lS5_liPT6_PT4_,comdat
.Lfunc_end60:
	.size	_ZL18rocblas_dot_kernelIiLb0ELi512ELi2ELb1E19rocblas_complex_numIfEPKS1_S1_EviT5_lT_lS4_lS5_liPT6_PT4_, .Lfunc_end60-_ZL18rocblas_dot_kernelIiLb0ELi512ELi2ELb1E19rocblas_complex_numIfEPKS1_S1_EviT5_lT_lS4_lS5_liPT6_PT4_
                                        ; -- End function
	.set _ZL18rocblas_dot_kernelIiLb0ELi512ELi2ELb1E19rocblas_complex_numIfEPKS1_S1_EviT5_lT_lS4_lS5_liPT6_PT4_.num_vgpr, 22
	.set _ZL18rocblas_dot_kernelIiLb0ELi512ELi2ELb1E19rocblas_complex_numIfEPKS1_S1_EviT5_lT_lS4_lS5_liPT6_PT4_.num_agpr, 0
	.set _ZL18rocblas_dot_kernelIiLb0ELi512ELi2ELb1E19rocblas_complex_numIfEPKS1_S1_EviT5_lT_lS4_lS5_liPT6_PT4_.numbered_sgpr, 39
	.set _ZL18rocblas_dot_kernelIiLb0ELi512ELi2ELb1E19rocblas_complex_numIfEPKS1_S1_EviT5_lT_lS4_lS5_liPT6_PT4_.num_named_barrier, 0
	.set _ZL18rocblas_dot_kernelIiLb0ELi512ELi2ELb1E19rocblas_complex_numIfEPKS1_S1_EviT5_lT_lS4_lS5_liPT6_PT4_.private_seg_size, 0
	.set _ZL18rocblas_dot_kernelIiLb0ELi512ELi2ELb1E19rocblas_complex_numIfEPKS1_S1_EviT5_lT_lS4_lS5_liPT6_PT4_.uses_vcc, 1
	.set _ZL18rocblas_dot_kernelIiLb0ELi512ELi2ELb1E19rocblas_complex_numIfEPKS1_S1_EviT5_lT_lS4_lS5_liPT6_PT4_.uses_flat_scratch, 0
	.set _ZL18rocblas_dot_kernelIiLb0ELi512ELi2ELb1E19rocblas_complex_numIfEPKS1_S1_EviT5_lT_lS4_lS5_liPT6_PT4_.has_dyn_sized_stack, 0
	.set _ZL18rocblas_dot_kernelIiLb0ELi512ELi2ELb1E19rocblas_complex_numIfEPKS1_S1_EviT5_lT_lS4_lS5_liPT6_PT4_.has_recursion, 0
	.set _ZL18rocblas_dot_kernelIiLb0ELi512ELi2ELb1E19rocblas_complex_numIfEPKS1_S1_EviT5_lT_lS4_lS5_liPT6_PT4_.has_indirect_call, 0
	.section	.AMDGPU.csdata,"",@progbits
; Kernel info:
; codeLenInByte = 1244
; TotalNumSgprs: 41
; NumVgprs: 22
; ScratchSize: 0
; MemoryBound: 0
; FloatMode: 240
; IeeeMode: 1
; LDSByteSize: 256 bytes/workgroup (compile time only)
; SGPRBlocks: 0
; VGPRBlocks: 1
; NumSGPRsForWavesPerEU: 41
; NumVGPRsForWavesPerEU: 22
; NamedBarCnt: 0
; Occupancy: 16
; WaveLimiterHint : 0
; COMPUTE_PGM_RSRC2:SCRATCH_EN: 0
; COMPUTE_PGM_RSRC2:USER_SGPR: 2
; COMPUTE_PGM_RSRC2:TRAP_HANDLER: 0
; COMPUTE_PGM_RSRC2:TGID_X_EN: 1
; COMPUTE_PGM_RSRC2:TGID_Y_EN: 0
; COMPUTE_PGM_RSRC2:TGID_Z_EN: 1
; COMPUTE_PGM_RSRC2:TIDIG_COMP_CNT: 0
	.section	.text._ZL24rocblas_dot_kernel_magsqIiLb0ELi512ELi2ELb1E19rocblas_complex_numIfEPKS1_S1_EviT5_lT_liPT6_PT4_,"axG",@progbits,_ZL24rocblas_dot_kernel_magsqIiLb0ELi512ELi2ELb1E19rocblas_complex_numIfEPKS1_S1_EviT5_lT_liPT6_PT4_,comdat
	.globl	_ZL24rocblas_dot_kernel_magsqIiLb0ELi512ELi2ELb1E19rocblas_complex_numIfEPKS1_S1_EviT5_lT_liPT6_PT4_ ; -- Begin function _ZL24rocblas_dot_kernel_magsqIiLb0ELi512ELi2ELb1E19rocblas_complex_numIfEPKS1_S1_EviT5_lT_liPT6_PT4_
	.p2align	8
	.type	_ZL24rocblas_dot_kernel_magsqIiLb0ELi512ELi2ELb1E19rocblas_complex_numIfEPKS1_S1_EviT5_lT_liPT6_PT4_,@function
_ZL24rocblas_dot_kernel_magsqIiLb0ELi512ELi2ELb1E19rocblas_complex_numIfEPKS1_S1_EviT5_lT_liPT6_PT4_: ; @_ZL24rocblas_dot_kernel_magsqIiLb0ELi512ELi2ELb1E19rocblas_complex_numIfEPKS1_S1_EviT5_lT_liPT6_PT4_
; %bb.0:
	s_load_b32 s20, s[0:1], 0x28
	s_bfe_u32 s2, ttmp6, 0x40014
	s_lshr_b32 s3, ttmp7, 16
	s_add_co_i32 s2, s2, 1
	s_bfe_u32 s5, ttmp6, 0x40008
	s_mul_i32 s4, s3, s2
	s_getreg_b32 s2, hwreg(HW_REG_IB_STS2, 6, 4)
	s_add_co_i32 s5, s5, s4
	s_cmp_eq_u32 s2, 0
	s_mov_b32 s9, 0
	s_cselect_b32 s8, s3, s5
	s_wait_kmcnt 0x0
	s_cmp_ge_u32 s8, s20
	s_cbranch_scc1 .LBB61_21
; %bb.1:
	v_mbcnt_lo_u32_b32 v3, -1, 0
	s_clause 0x5
	s_load_b32 s10, s[0:1], 0x18
	s_load_b128 s[16:19], s[0:1], 0x8
	s_load_b32 s12, s[0:1], 0x40
	s_load_b128 s[4:7], s[0:1], 0x30
	s_load_b64 s[14:15], s[0:1], 0x20
	s_load_b32 s21, s[0:1], 0x0
	s_wait_xcnt 0x0
	s_bfe_u32 s0, ttmp6, 0x4000c
	s_and_b32 s1, ttmp6, 15
	s_add_co_i32 s3, s0, 1
	v_cmp_gt_u32_e32 vcc_lo, 24, v3
	s_mul_i32 s3, ttmp9, s3
	v_and_b32_e32 v1, 31, v0
	s_add_co_i32 s1, s1, s3
	v_cmp_gt_u32_e64 s0, 32, v0
	v_cndmask_b32_e64 v4, 0, 8, vcc_lo
	v_cmp_gt_u32_e32 vcc_lo, 28, v3
	v_cmp_eq_u32_e64 s3, 0, v0
	v_lshl_or_b32 v9, v3, 2, 64
	v_mov_b32_e32 v15, 0
	v_add_lshl_u32 v10, v4, v3, 2
	v_cndmask_b32_e64 v5, 0, 4, vcc_lo
	v_cmp_gt_u32_e32 vcc_lo, 30, v3
	s_wait_kmcnt 0x0
	s_ashr_i32 s11, s10, 31
	s_lshl_b64 s[18:19], s[18:19], 3
	s_cmp_eq_u32 s2, 0
	v_lshrrev_b32_e32 v4, 2, v0
	v_cndmask_b32_e64 v6, 0, 2, vcc_lo
	v_cmp_ne_u32_e32 vcc_lo, 31, v3
	s_add_nc_u64 s[16:17], s[16:17], s[18:19]
	s_cselect_b32 s18, ttmp9, s1
	v_cmp_eq_u32_e64 s1, 0, v1
	v_lshl_or_b32 v2, s18, 9, v0
	v_add_co_ci_u32_e64 v7, null, 0, v3, vcc_lo
	v_lshlrev_b32_e32 v8, 3, v1
	v_cmp_gt_u32_e64 s2, 16, v0
	v_mov_b64_e32 v[0:1], 0
	s_cmp_lg_u32 s12, 1
	s_mov_b32 s19, s9
	v_add_lshl_u32 v11, v5, v3, 2
	v_add_lshl_u32 v12, v6, v3, 2
	v_lshlrev_b32_e32 v13, 2, v7
	v_and_b32_e32 v14, 0x78, v4
	s_cselect_b32 s22, -1, 0
	s_lshl_b64 s[18:19], s[18:19], 3
	s_mov_b32 s13, s9
	s_lshl_b32 s23, s12, 9
	s_add_nc_u64 s[4:5], s[4:5], s[18:19]
	s_branch .LBB61_4
.LBB61_2:                               ;   in Loop: Header=BB61_4 Depth=1
	s_wait_dscnt 0x0
	global_store_b32 v15, v5, s[18:19] offset:4
.LBB61_3:                               ;   in Loop: Header=BB61_4 Depth=1
	s_wait_xcnt 0x0
	s_or_b32 exec_lo, exec_lo, s24
	s_add_co_i32 s8, s8, 0x10000
	s_delay_alu instid0(SALU_CYCLE_1)
	s_cmp_lt_u32 s8, s20
	s_cbranch_scc0 .LBB61_21
.LBB61_4:                               ; =>This Inner Loop Header: Depth=1
	s_wait_dscnt 0x0
	v_dual_mov_b32 v4, 0 :: v_dual_mov_b32 v5, 0
	s_mov_b32 s24, exec_lo
	v_cmpx_gt_i32_e64 s21, v2
	s_cbranch_execz .LBB61_8
; %bb.5:                                ;   in Loop: Header=BB61_4 Depth=1
	v_ashrrev_i32_e32 v3, 31, v2
	s_mul_u64 s[18:19], s[14:15], s[8:9]
	s_mov_b32 s25, exec_lo
	s_lshl_b64 s[18:19], s[18:19], 3
	s_delay_alu instid0(SALU_CYCLE_1) | instskip(SKIP_2) | instid1(VALU_DEP_2)
	s_add_nc_u64 s[18:19], s[16:17], s[18:19]
	v_mul_u64_e32 v[4:5], s[10:11], v[2:3]
	v_add_nc_u32_e32 v2, s23, v2
	v_lshl_add_u64 v[4:5], v[4:5], 3, s[18:19]
	global_load_b64 v[4:5], v[4:5], off
	s_wait_loadcnt 0x0
	v_pk_mul_f32 v[6:7], v[4:5], v[4:5] op_sel:[1,1] op_sel_hi:[0,1]
	s_delay_alu instid0(VALU_DEP_1) | instskip(SKIP_2) | instid1(VALU_DEP_2)
	v_pk_fma_f32 v[16:17], v[4:5], v[4:5], v[6:7] op_sel_hi:[0,1,1] neg_lo:[0,0,1] neg_hi:[0,0,1]
	s_wait_xcnt 0x0
	v_pk_fma_f32 v[4:5], v[4:5], v[4:5], v[6:7]
	v_mov_b32_e32 v5, v17
	s_delay_alu instid0(VALU_DEP_1)
	v_pk_add_f32 v[4:5], v[4:5], 0 op_sel_hi:[1,0]
	v_cmpx_gt_i32_e64 s21, v2
	s_cbranch_execz .LBB61_7
; %bb.6:                                ;   in Loop: Header=BB61_4 Depth=1
	v_ashrrev_i32_e32 v3, 31, v2
	s_delay_alu instid0(VALU_DEP_1) | instskip(SKIP_1) | instid1(VALU_DEP_2)
	v_mul_u64_e32 v[6:7], s[10:11], v[2:3]
	v_add_nc_u32_e32 v2, s23, v2
	v_lshl_add_u64 v[6:7], v[6:7], 3, s[18:19]
	global_load_b64 v[6:7], v[6:7], off
	s_wait_loadcnt 0x0
	v_pk_mul_f32 v[16:17], v[6:7], v[6:7] op_sel:[1,1] op_sel_hi:[0,1]
	s_delay_alu instid0(VALU_DEP_1) | instskip(SKIP_2) | instid1(VALU_DEP_2)
	v_pk_fma_f32 v[18:19], v[6:7], v[6:7], v[16:17] op_sel_hi:[0,1,1] neg_lo:[0,0,1] neg_hi:[0,0,1]
	s_wait_xcnt 0x0
	v_pk_fma_f32 v[6:7], v[6:7], v[6:7], v[16:17]
	v_mov_b32_e32 v7, v19
	s_delay_alu instid0(VALU_DEP_1)
	v_pk_add_f32 v[4:5], v[4:5], v[6:7]
.LBB61_7:                               ;   in Loop: Header=BB61_4 Depth=1
	s_or_b32 exec_lo, exec_lo, s25
.LBB61_8:                               ;   in Loop: Header=BB61_4 Depth=1
	s_delay_alu instid0(SALU_CYCLE_1)
	s_or_b32 exec_lo, exec_lo, s24
	s_and_saveexec_b32 s18, s0
; %bb.9:                                ;   in Loop: Header=BB61_4 Depth=1
	ds_store_b64 v8, v[0:1]
; %bb.10:                               ;   in Loop: Header=BB61_4 Depth=1
	s_or_b32 exec_lo, exec_lo, s18
	ds_bpermute_b32 v6, v9, v4
	ds_bpermute_b32 v7, v9, v5
	s_wait_dscnt 0x0
	s_barrier_signal -1
	s_barrier_wait -1
	v_pk_add_f32 v[4:5], v[4:5], v[6:7]
	ds_bpermute_b32 v6, v10, v4
	ds_bpermute_b32 v7, v10, v5
	s_wait_dscnt 0x0
	v_pk_add_f32 v[4:5], v[4:5], v[6:7]
	ds_bpermute_b32 v6, v11, v4
	ds_bpermute_b32 v7, v11, v5
	s_wait_dscnt 0x0
	;; [unrolled: 4-line block ×3, first 2 shown]
	v_pk_add_f32 v[4:5], v[4:5], v[6:7]
	ds_bpermute_b32 v6, v13, v4
	ds_bpermute_b32 v7, v13, v5
	s_and_saveexec_b32 s18, s1
	s_cbranch_execz .LBB61_12
; %bb.11:                               ;   in Loop: Header=BB61_4 Depth=1
	s_wait_dscnt 0x0
	v_pk_add_f32 v[4:5], v[4:5], v[6:7]
	ds_store_b64 v14, v[4:5]
.LBB61_12:                              ;   in Loop: Header=BB61_4 Depth=1
	s_or_b32 exec_lo, exec_lo, s18
	v_mov_b64_e32 v[4:5], 0
	s_wait_dscnt 0x0
	s_barrier_signal -1
	s_barrier_wait -1
	s_and_saveexec_b32 s18, s2
	s_cbranch_execnz .LBB61_15
; %bb.13:                               ;   in Loop: Header=BB61_4 Depth=1
	s_or_b32 exec_lo, exec_lo, s18
	s_and_saveexec_b32 s18, s0
	s_cbranch_execnz .LBB61_16
.LBB61_14:                              ;   in Loop: Header=BB61_4 Depth=1
	s_or_b32 exec_lo, exec_lo, s18
	s_and_saveexec_b32 s24, s3
	s_cbranch_execz .LBB61_3
	s_branch .LBB61_17
.LBB61_15:                              ;   in Loop: Header=BB61_4 Depth=1
	ds_load_b64 v[4:5], v8
	s_or_b32 exec_lo, exec_lo, s18
	s_and_saveexec_b32 s18, s0
	s_cbranch_execz .LBB61_14
.LBB61_16:                              ;   in Loop: Header=BB61_4 Depth=1
	s_wait_dscnt 0x0
	ds_bpermute_b32 v6, v10, v4
	ds_bpermute_b32 v7, v10, v5
	s_wait_dscnt 0x0
	v_pk_add_f32 v[4:5], v[4:5], v[6:7]
	ds_bpermute_b32 v6, v11, v4
	ds_bpermute_b32 v7, v11, v5
	s_wait_dscnt 0x0
	v_pk_add_f32 v[4:5], v[4:5], v[6:7]
	ds_bpermute_b32 v6, v12, v4
	ds_bpermute_b32 v7, v12, v5
	s_wait_dscnt 0x0
	v_pk_add_f32 v[4:5], v[4:5], v[6:7]
	ds_bpermute_b32 v6, v13, v4
	ds_bpermute_b32 v7, v13, v5
	s_wait_dscnt 0x0
	v_pk_add_f32 v[4:5], v[4:5], v[6:7]
	s_or_b32 exec_lo, exec_lo, s18
	s_and_saveexec_b32 s24, s3
	s_cbranch_execz .LBB61_3
.LBB61_17:                              ;   in Loop: Header=BB61_4 Depth=1
	s_and_b32 vcc_lo, exec_lo, s22
	s_mov_b32 s25, -1
                                        ; implicit-def: $sgpr18_sgpr19
	s_cbranch_vccz .LBB61_19
; %bb.18:                               ;   in Loop: Header=BB61_4 Depth=1
	s_mul_u64 s[18:19], s[12:13], s[8:9]
	s_mov_b32 s25, 0
	s_lshl_b64 s[18:19], s[18:19], 3
	s_delay_alu instid0(SALU_CYCLE_1)
	s_add_nc_u64 s[18:19], s[4:5], s[18:19]
	s_wait_dscnt 0x0
	global_store_b32 v15, v4, s[18:19]
.LBB61_19:                              ;   in Loop: Header=BB61_4 Depth=1
	s_and_not1_b32 vcc_lo, exec_lo, s25
	s_cbranch_vccnz .LBB61_2
; %bb.20:                               ;   in Loop: Header=BB61_4 Depth=1
	s_wait_xcnt 0x0
	s_lshl_b64 s[18:19], s[8:9], 3
	s_delay_alu instid0(SALU_CYCLE_1)
	s_add_nc_u64 s[18:19], s[6:7], s[18:19]
	s_wait_dscnt 0x0
	global_store_b32 v15, v4, s[18:19]
	s_branch .LBB61_2
.LBB61_21:
	s_endpgm
	.section	.rodata,"a",@progbits
	.p2align	6, 0x0
	.amdhsa_kernel _ZL24rocblas_dot_kernel_magsqIiLb0ELi512ELi2ELb1E19rocblas_complex_numIfEPKS1_S1_EviT5_lT_liPT6_PT4_
		.amdhsa_group_segment_fixed_size 256
		.amdhsa_private_segment_fixed_size 0
		.amdhsa_kernarg_size 320
		.amdhsa_user_sgpr_count 2
		.amdhsa_user_sgpr_dispatch_ptr 0
		.amdhsa_user_sgpr_queue_ptr 0
		.amdhsa_user_sgpr_kernarg_segment_ptr 1
		.amdhsa_user_sgpr_dispatch_id 0
		.amdhsa_user_sgpr_kernarg_preload_length 0
		.amdhsa_user_sgpr_kernarg_preload_offset 0
		.amdhsa_user_sgpr_private_segment_size 0
		.amdhsa_wavefront_size32 1
		.amdhsa_uses_dynamic_stack 0
		.amdhsa_enable_private_segment 0
		.amdhsa_system_sgpr_workgroup_id_x 1
		.amdhsa_system_sgpr_workgroup_id_y 0
		.amdhsa_system_sgpr_workgroup_id_z 1
		.amdhsa_system_sgpr_workgroup_info 0
		.amdhsa_system_vgpr_workitem_id 0
		.amdhsa_next_free_vgpr 20
		.amdhsa_next_free_sgpr 26
		.amdhsa_named_barrier_count 0
		.amdhsa_reserve_vcc 1
		.amdhsa_float_round_mode_32 0
		.amdhsa_float_round_mode_16_64 0
		.amdhsa_float_denorm_mode_32 3
		.amdhsa_float_denorm_mode_16_64 3
		.amdhsa_fp16_overflow 0
		.amdhsa_memory_ordered 1
		.amdhsa_forward_progress 1
		.amdhsa_inst_pref_size 9
		.amdhsa_round_robin_scheduling 0
		.amdhsa_exception_fp_ieee_invalid_op 0
		.amdhsa_exception_fp_denorm_src 0
		.amdhsa_exception_fp_ieee_div_zero 0
		.amdhsa_exception_fp_ieee_overflow 0
		.amdhsa_exception_fp_ieee_underflow 0
		.amdhsa_exception_fp_ieee_inexact 0
		.amdhsa_exception_int_div_zero 0
	.end_amdhsa_kernel
	.section	.text._ZL24rocblas_dot_kernel_magsqIiLb0ELi512ELi2ELb1E19rocblas_complex_numIfEPKS1_S1_EviT5_lT_liPT6_PT4_,"axG",@progbits,_ZL24rocblas_dot_kernel_magsqIiLb0ELi512ELi2ELb1E19rocblas_complex_numIfEPKS1_S1_EviT5_lT_liPT6_PT4_,comdat
.Lfunc_end61:
	.size	_ZL24rocblas_dot_kernel_magsqIiLb0ELi512ELi2ELb1E19rocblas_complex_numIfEPKS1_S1_EviT5_lT_liPT6_PT4_, .Lfunc_end61-_ZL24rocblas_dot_kernel_magsqIiLb0ELi512ELi2ELb1E19rocblas_complex_numIfEPKS1_S1_EviT5_lT_liPT6_PT4_
                                        ; -- End function
	.set _ZL24rocblas_dot_kernel_magsqIiLb0ELi512ELi2ELb1E19rocblas_complex_numIfEPKS1_S1_EviT5_lT_liPT6_PT4_.num_vgpr, 20
	.set _ZL24rocblas_dot_kernel_magsqIiLb0ELi512ELi2ELb1E19rocblas_complex_numIfEPKS1_S1_EviT5_lT_liPT6_PT4_.num_agpr, 0
	.set _ZL24rocblas_dot_kernel_magsqIiLb0ELi512ELi2ELb1E19rocblas_complex_numIfEPKS1_S1_EviT5_lT_liPT6_PT4_.numbered_sgpr, 26
	.set _ZL24rocblas_dot_kernel_magsqIiLb0ELi512ELi2ELb1E19rocblas_complex_numIfEPKS1_S1_EviT5_lT_liPT6_PT4_.num_named_barrier, 0
	.set _ZL24rocblas_dot_kernel_magsqIiLb0ELi512ELi2ELb1E19rocblas_complex_numIfEPKS1_S1_EviT5_lT_liPT6_PT4_.private_seg_size, 0
	.set _ZL24rocblas_dot_kernel_magsqIiLb0ELi512ELi2ELb1E19rocblas_complex_numIfEPKS1_S1_EviT5_lT_liPT6_PT4_.uses_vcc, 1
	.set _ZL24rocblas_dot_kernel_magsqIiLb0ELi512ELi2ELb1E19rocblas_complex_numIfEPKS1_S1_EviT5_lT_liPT6_PT4_.uses_flat_scratch, 0
	.set _ZL24rocblas_dot_kernel_magsqIiLb0ELi512ELi2ELb1E19rocblas_complex_numIfEPKS1_S1_EviT5_lT_liPT6_PT4_.has_dyn_sized_stack, 0
	.set _ZL24rocblas_dot_kernel_magsqIiLb0ELi512ELi2ELb1E19rocblas_complex_numIfEPKS1_S1_EviT5_lT_liPT6_PT4_.has_recursion, 0
	.set _ZL24rocblas_dot_kernel_magsqIiLb0ELi512ELi2ELb1E19rocblas_complex_numIfEPKS1_S1_EviT5_lT_liPT6_PT4_.has_indirect_call, 0
	.section	.AMDGPU.csdata,"",@progbits
; Kernel info:
; codeLenInByte = 1132
; TotalNumSgprs: 28
; NumVgprs: 20
; ScratchSize: 0
; MemoryBound: 0
; FloatMode: 240
; IeeeMode: 1
; LDSByteSize: 256 bytes/workgroup (compile time only)
; SGPRBlocks: 0
; VGPRBlocks: 1
; NumSGPRsForWavesPerEU: 28
; NumVGPRsForWavesPerEU: 20
; NamedBarCnt: 0
; Occupancy: 16
; WaveLimiterHint : 0
; COMPUTE_PGM_RSRC2:SCRATCH_EN: 0
; COMPUTE_PGM_RSRC2:USER_SGPR: 2
; COMPUTE_PGM_RSRC2:TRAP_HANDLER: 0
; COMPUTE_PGM_RSRC2:TGID_X_EN: 1
; COMPUTE_PGM_RSRC2:TGID_Y_EN: 0
; COMPUTE_PGM_RSRC2:TGID_Z_EN: 1
; COMPUTE_PGM_RSRC2:TIDIG_COMP_CNT: 0
	.section	.text._ZL28rocblas_dot_batched_4_kernelIiLi32ELi4ELb1E19rocblas_complex_numIdES1_PKS1_EviT5_lT_lS4_lS5_liPT4_,"axG",@progbits,_ZL28rocblas_dot_batched_4_kernelIiLi32ELi4ELb1E19rocblas_complex_numIdES1_PKS1_EviT5_lT_lS4_lS5_liPT4_,comdat
	.globl	_ZL28rocblas_dot_batched_4_kernelIiLi32ELi4ELb1E19rocblas_complex_numIdES1_PKS1_EviT5_lT_lS4_lS5_liPT4_ ; -- Begin function _ZL28rocblas_dot_batched_4_kernelIiLi32ELi4ELb1E19rocblas_complex_numIdES1_PKS1_EviT5_lT_lS4_lS5_liPT4_
	.p2align	8
	.type	_ZL28rocblas_dot_batched_4_kernelIiLi32ELi4ELb1E19rocblas_complex_numIdES1_PKS1_EviT5_lT_lS4_lS5_liPT4_,@function
_ZL28rocblas_dot_batched_4_kernelIiLi32ELi4ELb1E19rocblas_complex_numIdES1_PKS1_EviT5_lT_lS4_lS5_liPT4_: ; @_ZL28rocblas_dot_batched_4_kernelIiLi32ELi4ELb1E19rocblas_complex_numIdES1_PKS1_EviT5_lT_lS4_lS5_liPT4_
; %bb.0:
	s_load_b32 s2, s[0:1], 0x48
	s_bfe_u32 s3, ttmp6, 0x4000c
	s_and_b32 s4, ttmp6, 15
	s_add_co_i32 s3, s3, 1
	v_bfe_u32 v1, v0, 10, 10
	s_mul_i32 s3, ttmp9, s3
	s_delay_alu instid0(SALU_CYCLE_1) | instskip(SKIP_1) | instid1(SALU_CYCLE_1)
	s_add_co_i32 s4, s4, s3
	s_getreg_b32 s3, hwreg(HW_REG_IB_STS2, 6, 4)
	s_cmp_eq_u32 s3, 0
	s_cselect_b32 s3, ttmp9, s4
	s_delay_alu instid0(SALU_CYCLE_1) | instskip(SKIP_1) | instid1(VALU_DEP_1)
	v_lshl_add_u32 v2, s3, 2, v1
	s_wait_kmcnt 0x0
	v_cmp_gt_u32_e32 vcc_lo, s2, v2
	s_and_saveexec_b32 s2, vcc_lo
	s_cbranch_execz .LBB62_7
; %bb.1:
	s_load_b32 s6, s[0:1], 0x0
	v_mov_b64_e32 v[4:5], 0
	v_mov_b64_e32 v[6:7], 0
	v_and_b32_e32 v0, 0x3ff, v0
	v_mov_b32_e32 v3, 0
	s_mov_b32 s7, exec_lo
	s_wait_kmcnt 0x0
	s_delay_alu instid0(VALU_DEP_2)
	v_cmpx_gt_i32_e64 s6, v0
	s_cbranch_execz .LBB62_5
; %bb.2:
	s_clause 0x3
	s_load_b64 s[2:3], s[0:1], 0x40
	s_load_b128 s[8:11], s[0:1], 0x20
	s_load_b96 s[16:18], s[0:1], 0x30
	s_load_b32 s4, s[0:1], 0x18
	v_mov_b32_e32 v1, v3
	s_load_b128 s[12:15], s[0:1], 0x8
	s_wait_kmcnt 0x0
	v_mul_u64_e32 v[4:5], s[2:3], v[2:3]
	v_mul_u64_e32 v[6:7], s[8:9], v[2:3]
	s_ashr_i32 s3, s18, 31
	s_mov_b32 s2, s18
	s_ashr_i32 s5, s4, 31
	v_mul_u64_e32 v[8:9], s[2:3], v[0:1]
	v_mul_u64_e32 v[10:11], s[4:5], v[0:1]
	s_lshl_b64 s[8:9], s[16:17], 4
	s_lshl_b64 s[14:15], s[14:15], 4
	s_add_nc_u64 s[8:9], s[10:11], s[8:9]
	s_add_nc_u64 s[10:11], s[12:13], s[14:15]
	v_mov_b32_e32 v1, v0
	s_lshl_b64 s[2:3], s[2:3], 9
	s_lshl_b64 s[4:5], s[4:5], 9
	v_lshlrev_b64_e32 v[4:5], 4, v[4:5]
	v_lshlrev_b64_e32 v[6:7], 4, v[6:7]
	s_delay_alu instid0(VALU_DEP_2) | instskip(NEXT) | instid1(VALU_DEP_2)
	v_lshl_add_u64 v[4:5], v[8:9], 4, v[4:5]
	v_lshl_add_u64 v[6:7], v[10:11], 4, v[6:7]
	s_delay_alu instid0(VALU_DEP_2) | instskip(NEXT) | instid1(VALU_DEP_2)
	v_add_nc_u64_e32 v[8:9], s[8:9], v[4:5]
	v_add_nc_u64_e32 v[6:7], s[10:11], v[6:7]
	v_mov_b64_e32 v[4:5], 0
	s_mov_b32 s8, 0
	s_delay_alu instid0(VALU_DEP_3) | instskip(NEXT) | instid1(VALU_DEP_3)
	v_add_nc_u64_e32 v[8:9], 8, v[8:9]
	v_add_nc_u64_e32 v[10:11], 8, v[6:7]
	v_mov_b64_e32 v[6:7], 0
.LBB62_3:                               ; =>This Inner Loop Header: Depth=1
	global_load_b128 v[12:15], v[10:11], off offset:-8
	global_load_b128 v[16:19], v[8:9], off offset:-8
	s_wait_xcnt 0x0
	v_add_nc_u64_e32 v[8:9], s[2:3], v[8:9]
	v_add_nc_u64_e32 v[10:11], s[4:5], v[10:11]
	v_add_nc_u32_e32 v1, 32, v1
	s_delay_alu instid0(VALU_DEP_1) | instskip(SKIP_4) | instid1(VALU_DEP_2)
	v_cmp_le_i32_e32 vcc_lo, s6, v1
	s_or_b32 s8, vcc_lo, s8
	s_wait_loadcnt 0x0
	v_mul_f64_e32 v[20:21], v[14:15], v[18:19]
	v_mul_f64_e32 v[14:15], v[14:15], v[16:17]
	v_fmac_f64_e32 v[20:21], v[12:13], v[16:17]
	s_delay_alu instid0(VALU_DEP_2) | instskip(NEXT) | instid1(VALU_DEP_2)
	v_fma_f64 v[12:13], v[12:13], v[18:19], -v[14:15]
	v_add_f64_e32 v[4:5], v[4:5], v[20:21]
	s_delay_alu instid0(VALU_DEP_2)
	v_add_f64_e32 v[6:7], v[6:7], v[12:13]
	s_and_not1_b32 exec_lo, exec_lo, s8
	s_cbranch_execnz .LBB62_3
; %bb.4:
	s_or_b32 exec_lo, exec_lo, s8
.LBB62_5:
	s_delay_alu instid0(SALU_CYCLE_1) | instskip(SKIP_4) | instid1(VALU_DEP_1)
	s_or_b32 exec_lo, exec_lo, s7
	v_mbcnt_lo_u32_b32 v1, -1, 0
	s_load_b64 s[0:1], s[0:1], 0x50
	s_barrier_signal -1
	s_barrier_wait -1
	v_lshl_or_b32 v11, v1, 2, 64
	v_cmp_gt_u32_e32 vcc_lo, 24, v1
	ds_bpermute_b32 v8, v11, v4
	ds_bpermute_b32 v9, v11, v5
	;; [unrolled: 1-line block ×4, first 2 shown]
	s_wait_dscnt 0x2
	v_add_f64_e32 v[4:5], v[4:5], v[8:9]
	v_cndmask_b32_e64 v8, 0, 8, vcc_lo
	s_wait_dscnt 0x0
	v_add_f64_e32 v[6:7], v[6:7], v[10:11]
	v_cmp_gt_u32_e32 vcc_lo, 28, v1
	s_delay_alu instid0(VALU_DEP_3)
	v_add_lshl_u32 v11, v8, v1, 2
	ds_bpermute_b32 v8, v11, v4
	ds_bpermute_b32 v9, v11, v5
	;; [unrolled: 1-line block ×4, first 2 shown]
	s_wait_dscnt 0x2
	v_add_f64_e32 v[4:5], v[4:5], v[8:9]
	v_cndmask_b32_e64 v8, 0, 4, vcc_lo
	s_wait_dscnt 0x0
	v_add_f64_e32 v[6:7], v[6:7], v[10:11]
	v_cmp_gt_u32_e32 vcc_lo, 30, v1
	s_delay_alu instid0(VALU_DEP_3)
	v_add_lshl_u32 v11, v8, v1, 2
	ds_bpermute_b32 v8, v11, v4
	ds_bpermute_b32 v9, v11, v5
	;; [unrolled: 1-line block ×4, first 2 shown]
	s_wait_dscnt 0x2
	v_add_f64_e32 v[4:5], v[4:5], v[8:9]
	v_cndmask_b32_e64 v8, 0, 2, vcc_lo
	s_wait_dscnt 0x0
	v_add_f64_e32 v[6:7], v[6:7], v[10:11]
	v_cmp_ne_u32_e32 vcc_lo, 31, v1
	s_delay_alu instid0(VALU_DEP_3) | instskip(SKIP_2) | instid1(VALU_DEP_2)
	v_add_lshl_u32 v11, v8, v1, 2
	v_add_co_ci_u32_e64 v1, null, 0, v1, vcc_lo
	v_cmp_eq_u32_e32 vcc_lo, 0, v0
	v_lshlrev_b32_e32 v1, 2, v1
	ds_bpermute_b32 v8, v11, v4
	ds_bpermute_b32 v9, v11, v5
	;; [unrolled: 1-line block ×4, first 2 shown]
	s_wait_dscnt 0x2
	v_add_f64_e32 v[4:5], v[4:5], v[8:9]
	s_wait_dscnt 0x0
	v_add_f64_e32 v[6:7], v[6:7], v[10:11]
	ds_bpermute_b32 v8, v1, v4
	ds_bpermute_b32 v9, v1, v5
	;; [unrolled: 1-line block ×4, first 2 shown]
	s_and_b32 exec_lo, exec_lo, vcc_lo
	s_cbranch_execz .LBB62_7
; %bb.6:
	s_wait_dscnt 0x0
	v_add_f64_e32 v[6:7], v[6:7], v[10:11]
	v_add_f64_e32 v[4:5], v[4:5], v[8:9]
	s_wait_kmcnt 0x0
	v_lshl_add_u64 v[0:1], v[2:3], 4, s[0:1]
	global_store_b128 v[0:1], v[4:7], off
.LBB62_7:
	s_endpgm
	.section	.rodata,"a",@progbits
	.p2align	6, 0x0
	.amdhsa_kernel _ZL28rocblas_dot_batched_4_kernelIiLi32ELi4ELb1E19rocblas_complex_numIdES1_PKS1_EviT5_lT_lS4_lS5_liPT4_
		.amdhsa_group_segment_fixed_size 0
		.amdhsa_private_segment_fixed_size 0
		.amdhsa_kernarg_size 88
		.amdhsa_user_sgpr_count 2
		.amdhsa_user_sgpr_dispatch_ptr 0
		.amdhsa_user_sgpr_queue_ptr 0
		.amdhsa_user_sgpr_kernarg_segment_ptr 1
		.amdhsa_user_sgpr_dispatch_id 0
		.amdhsa_user_sgpr_kernarg_preload_length 0
		.amdhsa_user_sgpr_kernarg_preload_offset 0
		.amdhsa_user_sgpr_private_segment_size 0
		.amdhsa_wavefront_size32 1
		.amdhsa_uses_dynamic_stack 0
		.amdhsa_enable_private_segment 0
		.amdhsa_system_sgpr_workgroup_id_x 1
		.amdhsa_system_sgpr_workgroup_id_y 0
		.amdhsa_system_sgpr_workgroup_id_z 0
		.amdhsa_system_sgpr_workgroup_info 0
		.amdhsa_system_vgpr_workitem_id 1
		.amdhsa_next_free_vgpr 22
		.amdhsa_next_free_sgpr 19
		.amdhsa_named_barrier_count 0
		.amdhsa_reserve_vcc 1
		.amdhsa_float_round_mode_32 0
		.amdhsa_float_round_mode_16_64 0
		.amdhsa_float_denorm_mode_32 3
		.amdhsa_float_denorm_mode_16_64 3
		.amdhsa_fp16_overflow 0
		.amdhsa_memory_ordered 1
		.amdhsa_forward_progress 1
		.amdhsa_inst_pref_size 7
		.amdhsa_round_robin_scheduling 0
		.amdhsa_exception_fp_ieee_invalid_op 0
		.amdhsa_exception_fp_denorm_src 0
		.amdhsa_exception_fp_ieee_div_zero 0
		.amdhsa_exception_fp_ieee_overflow 0
		.amdhsa_exception_fp_ieee_underflow 0
		.amdhsa_exception_fp_ieee_inexact 0
		.amdhsa_exception_int_div_zero 0
	.end_amdhsa_kernel
	.section	.text._ZL28rocblas_dot_batched_4_kernelIiLi32ELi4ELb1E19rocblas_complex_numIdES1_PKS1_EviT5_lT_lS4_lS5_liPT4_,"axG",@progbits,_ZL28rocblas_dot_batched_4_kernelIiLi32ELi4ELb1E19rocblas_complex_numIdES1_PKS1_EviT5_lT_lS4_lS5_liPT4_,comdat
.Lfunc_end62:
	.size	_ZL28rocblas_dot_batched_4_kernelIiLi32ELi4ELb1E19rocblas_complex_numIdES1_PKS1_EviT5_lT_lS4_lS5_liPT4_, .Lfunc_end62-_ZL28rocblas_dot_batched_4_kernelIiLi32ELi4ELb1E19rocblas_complex_numIdES1_PKS1_EviT5_lT_lS4_lS5_liPT4_
                                        ; -- End function
	.set _ZL28rocblas_dot_batched_4_kernelIiLi32ELi4ELb1E19rocblas_complex_numIdES1_PKS1_EviT5_lT_lS4_lS5_liPT4_.num_vgpr, 22
	.set _ZL28rocblas_dot_batched_4_kernelIiLi32ELi4ELb1E19rocblas_complex_numIdES1_PKS1_EviT5_lT_lS4_lS5_liPT4_.num_agpr, 0
	.set _ZL28rocblas_dot_batched_4_kernelIiLi32ELi4ELb1E19rocblas_complex_numIdES1_PKS1_EviT5_lT_lS4_lS5_liPT4_.numbered_sgpr, 19
	.set _ZL28rocblas_dot_batched_4_kernelIiLi32ELi4ELb1E19rocblas_complex_numIdES1_PKS1_EviT5_lT_lS4_lS5_liPT4_.num_named_barrier, 0
	.set _ZL28rocblas_dot_batched_4_kernelIiLi32ELi4ELb1E19rocblas_complex_numIdES1_PKS1_EviT5_lT_lS4_lS5_liPT4_.private_seg_size, 0
	.set _ZL28rocblas_dot_batched_4_kernelIiLi32ELi4ELb1E19rocblas_complex_numIdES1_PKS1_EviT5_lT_lS4_lS5_liPT4_.uses_vcc, 1
	.set _ZL28rocblas_dot_batched_4_kernelIiLi32ELi4ELb1E19rocblas_complex_numIdES1_PKS1_EviT5_lT_lS4_lS5_liPT4_.uses_flat_scratch, 0
	.set _ZL28rocblas_dot_batched_4_kernelIiLi32ELi4ELb1E19rocblas_complex_numIdES1_PKS1_EviT5_lT_lS4_lS5_liPT4_.has_dyn_sized_stack, 0
	.set _ZL28rocblas_dot_batched_4_kernelIiLi32ELi4ELb1E19rocblas_complex_numIdES1_PKS1_EviT5_lT_lS4_lS5_liPT4_.has_recursion, 0
	.set _ZL28rocblas_dot_batched_4_kernelIiLi32ELi4ELb1E19rocblas_complex_numIdES1_PKS1_EviT5_lT_lS4_lS5_liPT4_.has_indirect_call, 0
	.section	.AMDGPU.csdata,"",@progbits
; Kernel info:
; codeLenInByte = 816
; TotalNumSgprs: 21
; NumVgprs: 22
; ScratchSize: 0
; MemoryBound: 0
; FloatMode: 240
; IeeeMode: 1
; LDSByteSize: 0 bytes/workgroup (compile time only)
; SGPRBlocks: 0
; VGPRBlocks: 1
; NumSGPRsForWavesPerEU: 21
; NumVGPRsForWavesPerEU: 22
; NamedBarCnt: 0
; Occupancy: 16
; WaveLimiterHint : 0
; COMPUTE_PGM_RSRC2:SCRATCH_EN: 0
; COMPUTE_PGM_RSRC2:USER_SGPR: 2
; COMPUTE_PGM_RSRC2:TRAP_HANDLER: 0
; COMPUTE_PGM_RSRC2:TGID_X_EN: 1
; COMPUTE_PGM_RSRC2:TGID_Y_EN: 0
; COMPUTE_PGM_RSRC2:TGID_Z_EN: 0
; COMPUTE_PGM_RSRC2:TIDIG_COMP_CNT: 1
	.section	.text._ZL28rocblas_dot_batched_4_kernelIiLi64ELi4ELb1E19rocblas_complex_numIdES1_PKS1_EviT5_lT_lS4_lS5_liPT4_,"axG",@progbits,_ZL28rocblas_dot_batched_4_kernelIiLi64ELi4ELb1E19rocblas_complex_numIdES1_PKS1_EviT5_lT_lS4_lS5_liPT4_,comdat
	.globl	_ZL28rocblas_dot_batched_4_kernelIiLi64ELi4ELb1E19rocblas_complex_numIdES1_PKS1_EviT5_lT_lS4_lS5_liPT4_ ; -- Begin function _ZL28rocblas_dot_batched_4_kernelIiLi64ELi4ELb1E19rocblas_complex_numIdES1_PKS1_EviT5_lT_lS4_lS5_liPT4_
	.p2align	8
	.type	_ZL28rocblas_dot_batched_4_kernelIiLi64ELi4ELb1E19rocblas_complex_numIdES1_PKS1_EviT5_lT_lS4_lS5_liPT4_,@function
_ZL28rocblas_dot_batched_4_kernelIiLi64ELi4ELb1E19rocblas_complex_numIdES1_PKS1_EviT5_lT_lS4_lS5_liPT4_: ; @_ZL28rocblas_dot_batched_4_kernelIiLi64ELi4ELb1E19rocblas_complex_numIdES1_PKS1_EviT5_lT_lS4_lS5_liPT4_
; %bb.0:
	s_load_b32 s2, s[0:1], 0x48
	s_bfe_u32 s3, ttmp6, 0x4000c
	s_and_b32 s4, ttmp6, 15
	s_add_co_i32 s3, s3, 1
	v_bfe_u32 v1, v0, 10, 10
	s_mul_i32 s3, ttmp9, s3
	s_delay_alu instid0(SALU_CYCLE_1) | instskip(SKIP_1) | instid1(SALU_CYCLE_1)
	s_add_co_i32 s4, s4, s3
	s_getreg_b32 s3, hwreg(HW_REG_IB_STS2, 6, 4)
	s_cmp_eq_u32 s3, 0
	s_cselect_b32 s3, ttmp9, s4
	s_delay_alu instid0(SALU_CYCLE_1) | instskip(SKIP_1) | instid1(VALU_DEP_1)
	v_lshl_add_u32 v2, s3, 2, v1
	s_wait_kmcnt 0x0
	v_cmp_gt_u32_e32 vcc_lo, s2, v2
	s_and_saveexec_b32 s2, vcc_lo
	s_cbranch_execz .LBB63_7
; %bb.1:
	s_load_b32 s6, s[0:1], 0x0
	v_mov_b64_e32 v[4:5], 0
	v_mov_b64_e32 v[6:7], 0
	v_and_b32_e32 v0, 0x3ff, v0
	v_mov_b32_e32 v3, 0
	s_mov_b32 s7, exec_lo
	s_wait_kmcnt 0x0
	s_delay_alu instid0(VALU_DEP_2)
	v_cmpx_gt_i32_e64 s6, v0
	s_cbranch_execz .LBB63_5
; %bb.2:
	s_clause 0x3
	s_load_b64 s[2:3], s[0:1], 0x40
	s_load_b128 s[8:11], s[0:1], 0x20
	s_load_b96 s[16:18], s[0:1], 0x30
	s_load_b32 s4, s[0:1], 0x18
	v_mov_b32_e32 v1, v3
	s_load_b128 s[12:15], s[0:1], 0x8
	s_wait_kmcnt 0x0
	v_mul_u64_e32 v[4:5], s[2:3], v[2:3]
	v_mul_u64_e32 v[6:7], s[8:9], v[2:3]
	s_ashr_i32 s3, s18, 31
	s_mov_b32 s2, s18
	s_ashr_i32 s5, s4, 31
	v_mul_u64_e32 v[8:9], s[2:3], v[0:1]
	v_mul_u64_e32 v[10:11], s[4:5], v[0:1]
	s_lshl_b64 s[8:9], s[16:17], 4
	s_lshl_b64 s[14:15], s[14:15], 4
	s_add_nc_u64 s[8:9], s[10:11], s[8:9]
	s_add_nc_u64 s[10:11], s[12:13], s[14:15]
	v_mov_b32_e32 v1, v0
	s_lshl_b64 s[2:3], s[2:3], 10
	s_lshl_b64 s[4:5], s[4:5], 10
	v_lshlrev_b64_e32 v[4:5], 4, v[4:5]
	v_lshlrev_b64_e32 v[6:7], 4, v[6:7]
	s_delay_alu instid0(VALU_DEP_2) | instskip(NEXT) | instid1(VALU_DEP_2)
	v_lshl_add_u64 v[4:5], v[8:9], 4, v[4:5]
	v_lshl_add_u64 v[6:7], v[10:11], 4, v[6:7]
	s_delay_alu instid0(VALU_DEP_2) | instskip(NEXT) | instid1(VALU_DEP_2)
	v_add_nc_u64_e32 v[8:9], s[8:9], v[4:5]
	v_add_nc_u64_e32 v[6:7], s[10:11], v[6:7]
	v_mov_b64_e32 v[4:5], 0
	s_mov_b32 s8, 0
	s_delay_alu instid0(VALU_DEP_3) | instskip(NEXT) | instid1(VALU_DEP_3)
	v_add_nc_u64_e32 v[8:9], 8, v[8:9]
	v_add_nc_u64_e32 v[10:11], 8, v[6:7]
	v_mov_b64_e32 v[6:7], 0
.LBB63_3:                               ; =>This Inner Loop Header: Depth=1
	global_load_b128 v[12:15], v[10:11], off offset:-8
	global_load_b128 v[16:19], v[8:9], off offset:-8
	s_wait_xcnt 0x0
	v_add_nc_u64_e32 v[8:9], s[2:3], v[8:9]
	v_add_nc_u64_e32 v[10:11], s[4:5], v[10:11]
	v_add_nc_u32_e32 v1, 64, v1
	s_delay_alu instid0(VALU_DEP_1) | instskip(SKIP_4) | instid1(VALU_DEP_2)
	v_cmp_le_i32_e32 vcc_lo, s6, v1
	s_or_b32 s8, vcc_lo, s8
	s_wait_loadcnt 0x0
	v_mul_f64_e32 v[20:21], v[14:15], v[18:19]
	v_mul_f64_e32 v[14:15], v[14:15], v[16:17]
	v_fmac_f64_e32 v[20:21], v[12:13], v[16:17]
	s_delay_alu instid0(VALU_DEP_2) | instskip(NEXT) | instid1(VALU_DEP_2)
	v_fma_f64 v[12:13], v[12:13], v[18:19], -v[14:15]
	v_add_f64_e32 v[4:5], v[4:5], v[20:21]
	s_delay_alu instid0(VALU_DEP_2)
	v_add_f64_e32 v[6:7], v[6:7], v[12:13]
	s_and_not1_b32 exec_lo, exec_lo, s8
	s_cbranch_execnz .LBB63_3
; %bb.4:
	s_or_b32 exec_lo, exec_lo, s8
.LBB63_5:
	s_delay_alu instid0(SALU_CYCLE_1) | instskip(SKIP_4) | instid1(VALU_DEP_1)
	s_or_b32 exec_lo, exec_lo, s7
	v_mbcnt_lo_u32_b32 v1, -1, 0
	s_load_b64 s[0:1], s[0:1], 0x50
	s_barrier_signal -1
	s_barrier_wait -1
	v_lshlrev_b32_e32 v12, 2, v1
	v_cmp_gt_u32_e32 vcc_lo, 24, v1
	ds_bpermute_b32 v10, v12, v6
	ds_bpermute_b32 v11, v12, v7
	s_wait_dscnt 0x0
	v_add_f64_e32 v[6:7], v[6:7], v[10:11]
	ds_bpermute_b32 v8, v12, v4
	ds_bpermute_b32 v9, v12, v5
	v_or_b32_e32 v11, 64, v12
	s_wait_dscnt 0x0
	v_add_f64_e32 v[4:5], v[4:5], v[8:9]
	ds_bpermute_b32 v10, v11, v6
	ds_bpermute_b32 v8, v11, v4
	;; [unrolled: 1-line block ×4, first 2 shown]
	s_wait_dscnt 0x1
	v_add_f64_e32 v[4:5], v[4:5], v[8:9]
	s_wait_dscnt 0x0
	v_add_f64_e32 v[6:7], v[6:7], v[10:11]
	v_cndmask_b32_e64 v8, 0, 8, vcc_lo
	v_cmp_gt_u32_e32 vcc_lo, 28, v1
	s_delay_alu instid0(VALU_DEP_2)
	v_add_lshl_u32 v11, v8, v1, 2
	ds_bpermute_b32 v8, v11, v4
	ds_bpermute_b32 v9, v11, v5
	ds_bpermute_b32 v10, v11, v6
	ds_bpermute_b32 v11, v11, v7
	s_wait_dscnt 0x2
	v_add_f64_e32 v[4:5], v[4:5], v[8:9]
	v_cndmask_b32_e64 v8, 0, 4, vcc_lo
	s_wait_dscnt 0x0
	v_add_f64_e32 v[6:7], v[6:7], v[10:11]
	v_cmp_gt_u32_e32 vcc_lo, 30, v1
	s_delay_alu instid0(VALU_DEP_3)
	v_add_lshl_u32 v11, v8, v1, 2
	ds_bpermute_b32 v8, v11, v4
	ds_bpermute_b32 v9, v11, v5
	ds_bpermute_b32 v10, v11, v6
	ds_bpermute_b32 v11, v11, v7
	s_wait_dscnt 0x2
	v_add_f64_e32 v[4:5], v[4:5], v[8:9]
	v_cndmask_b32_e64 v8, 0, 2, vcc_lo
	s_wait_dscnt 0x0
	v_add_f64_e32 v[6:7], v[6:7], v[10:11]
	v_cmp_ne_u32_e32 vcc_lo, 31, v1
	s_delay_alu instid0(VALU_DEP_3) | instskip(SKIP_2) | instid1(VALU_DEP_2)
	v_add_lshl_u32 v11, v8, v1, 2
	v_add_co_ci_u32_e64 v1, null, 0, v1, vcc_lo
	v_cmp_eq_u32_e32 vcc_lo, 0, v0
	v_lshlrev_b32_e32 v1, 2, v1
	ds_bpermute_b32 v8, v11, v4
	ds_bpermute_b32 v9, v11, v5
	;; [unrolled: 1-line block ×4, first 2 shown]
	s_wait_dscnt 0x2
	v_add_f64_e32 v[4:5], v[4:5], v[8:9]
	s_wait_dscnt 0x0
	v_add_f64_e32 v[6:7], v[6:7], v[10:11]
	ds_bpermute_b32 v8, v1, v4
	ds_bpermute_b32 v9, v1, v5
	;; [unrolled: 1-line block ×4, first 2 shown]
	s_and_b32 exec_lo, exec_lo, vcc_lo
	s_cbranch_execz .LBB63_7
; %bb.6:
	s_wait_dscnt 0x0
	v_add_f64_e32 v[6:7], v[6:7], v[10:11]
	v_add_f64_e32 v[4:5], v[4:5], v[8:9]
	s_wait_kmcnt 0x0
	v_lshl_add_u64 v[0:1], v[2:3], 4, s[0:1]
	global_store_b128 v[0:1], v[4:7], off
.LBB63_7:
	s_endpgm
	.section	.rodata,"a",@progbits
	.p2align	6, 0x0
	.amdhsa_kernel _ZL28rocblas_dot_batched_4_kernelIiLi64ELi4ELb1E19rocblas_complex_numIdES1_PKS1_EviT5_lT_lS4_lS5_liPT4_
		.amdhsa_group_segment_fixed_size 0
		.amdhsa_private_segment_fixed_size 0
		.amdhsa_kernarg_size 88
		.amdhsa_user_sgpr_count 2
		.amdhsa_user_sgpr_dispatch_ptr 0
		.amdhsa_user_sgpr_queue_ptr 0
		.amdhsa_user_sgpr_kernarg_segment_ptr 1
		.amdhsa_user_sgpr_dispatch_id 0
		.amdhsa_user_sgpr_kernarg_preload_length 0
		.amdhsa_user_sgpr_kernarg_preload_offset 0
		.amdhsa_user_sgpr_private_segment_size 0
		.amdhsa_wavefront_size32 1
		.amdhsa_uses_dynamic_stack 0
		.amdhsa_enable_private_segment 0
		.amdhsa_system_sgpr_workgroup_id_x 1
		.amdhsa_system_sgpr_workgroup_id_y 0
		.amdhsa_system_sgpr_workgroup_id_z 0
		.amdhsa_system_sgpr_workgroup_info 0
		.amdhsa_system_vgpr_workitem_id 1
		.amdhsa_next_free_vgpr 22
		.amdhsa_next_free_sgpr 19
		.amdhsa_named_barrier_count 0
		.amdhsa_reserve_vcc 1
		.amdhsa_float_round_mode_32 0
		.amdhsa_float_round_mode_16_64 0
		.amdhsa_float_denorm_mode_32 3
		.amdhsa_float_denorm_mode_16_64 3
		.amdhsa_fp16_overflow 0
		.amdhsa_memory_ordered 1
		.amdhsa_forward_progress 1
		.amdhsa_inst_pref_size 7
		.amdhsa_round_robin_scheduling 0
		.amdhsa_exception_fp_ieee_invalid_op 0
		.amdhsa_exception_fp_denorm_src 0
		.amdhsa_exception_fp_ieee_div_zero 0
		.amdhsa_exception_fp_ieee_overflow 0
		.amdhsa_exception_fp_ieee_underflow 0
		.amdhsa_exception_fp_ieee_inexact 0
		.amdhsa_exception_int_div_zero 0
	.end_amdhsa_kernel
	.section	.text._ZL28rocblas_dot_batched_4_kernelIiLi64ELi4ELb1E19rocblas_complex_numIdES1_PKS1_EviT5_lT_lS4_lS5_liPT4_,"axG",@progbits,_ZL28rocblas_dot_batched_4_kernelIiLi64ELi4ELb1E19rocblas_complex_numIdES1_PKS1_EviT5_lT_lS4_lS5_liPT4_,comdat
.Lfunc_end63:
	.size	_ZL28rocblas_dot_batched_4_kernelIiLi64ELi4ELb1E19rocblas_complex_numIdES1_PKS1_EviT5_lT_lS4_lS5_liPT4_, .Lfunc_end63-_ZL28rocblas_dot_batched_4_kernelIiLi64ELi4ELb1E19rocblas_complex_numIdES1_PKS1_EviT5_lT_lS4_lS5_liPT4_
                                        ; -- End function
	.set _ZL28rocblas_dot_batched_4_kernelIiLi64ELi4ELb1E19rocblas_complex_numIdES1_PKS1_EviT5_lT_lS4_lS5_liPT4_.num_vgpr, 22
	.set _ZL28rocblas_dot_batched_4_kernelIiLi64ELi4ELb1E19rocblas_complex_numIdES1_PKS1_EviT5_lT_lS4_lS5_liPT4_.num_agpr, 0
	.set _ZL28rocblas_dot_batched_4_kernelIiLi64ELi4ELb1E19rocblas_complex_numIdES1_PKS1_EviT5_lT_lS4_lS5_liPT4_.numbered_sgpr, 19
	.set _ZL28rocblas_dot_batched_4_kernelIiLi64ELi4ELb1E19rocblas_complex_numIdES1_PKS1_EviT5_lT_lS4_lS5_liPT4_.num_named_barrier, 0
	.set _ZL28rocblas_dot_batched_4_kernelIiLi64ELi4ELb1E19rocblas_complex_numIdES1_PKS1_EviT5_lT_lS4_lS5_liPT4_.private_seg_size, 0
	.set _ZL28rocblas_dot_batched_4_kernelIiLi64ELi4ELb1E19rocblas_complex_numIdES1_PKS1_EviT5_lT_lS4_lS5_liPT4_.uses_vcc, 1
	.set _ZL28rocblas_dot_batched_4_kernelIiLi64ELi4ELb1E19rocblas_complex_numIdES1_PKS1_EviT5_lT_lS4_lS5_liPT4_.uses_flat_scratch, 0
	.set _ZL28rocblas_dot_batched_4_kernelIiLi64ELi4ELb1E19rocblas_complex_numIdES1_PKS1_EviT5_lT_lS4_lS5_liPT4_.has_dyn_sized_stack, 0
	.set _ZL28rocblas_dot_batched_4_kernelIiLi64ELi4ELb1E19rocblas_complex_numIdES1_PKS1_EviT5_lT_lS4_lS5_liPT4_.has_recursion, 0
	.set _ZL28rocblas_dot_batched_4_kernelIiLi64ELi4ELb1E19rocblas_complex_numIdES1_PKS1_EviT5_lT_lS4_lS5_liPT4_.has_indirect_call, 0
	.section	.AMDGPU.csdata,"",@progbits
; Kernel info:
; codeLenInByte = 864
; TotalNumSgprs: 21
; NumVgprs: 22
; ScratchSize: 0
; MemoryBound: 0
; FloatMode: 240
; IeeeMode: 1
; LDSByteSize: 0 bytes/workgroup (compile time only)
; SGPRBlocks: 0
; VGPRBlocks: 1
; NumSGPRsForWavesPerEU: 21
; NumVGPRsForWavesPerEU: 22
; NamedBarCnt: 0
; Occupancy: 16
; WaveLimiterHint : 0
; COMPUTE_PGM_RSRC2:SCRATCH_EN: 0
; COMPUTE_PGM_RSRC2:USER_SGPR: 2
; COMPUTE_PGM_RSRC2:TRAP_HANDLER: 0
; COMPUTE_PGM_RSRC2:TGID_X_EN: 1
; COMPUTE_PGM_RSRC2:TGID_Y_EN: 0
; COMPUTE_PGM_RSRC2:TGID_Z_EN: 0
; COMPUTE_PGM_RSRC2:TIDIG_COMP_CNT: 1
	.section	.text._ZL26rocblas_dot_kernel_inc1by2ILb1ELi1024ELi32ELb1E19rocblas_complex_numIdEPKS1_S1_EviT4_llS4_lliPT5_PT3_,"axG",@progbits,_ZL26rocblas_dot_kernel_inc1by2ILb1ELi1024ELi32ELb1E19rocblas_complex_numIdEPKS1_S1_EviT4_llS4_lliPT5_PT3_,comdat
	.globl	_ZL26rocblas_dot_kernel_inc1by2ILb1ELi1024ELi32ELb1E19rocblas_complex_numIdEPKS1_S1_EviT4_llS4_lliPT5_PT3_ ; -- Begin function _ZL26rocblas_dot_kernel_inc1by2ILb1ELi1024ELi32ELb1E19rocblas_complex_numIdEPKS1_S1_EviT4_llS4_lliPT5_PT3_
	.p2align	8
	.type	_ZL26rocblas_dot_kernel_inc1by2ILb1ELi1024ELi32ELb1E19rocblas_complex_numIdEPKS1_S1_EviT4_llS4_lliPT5_PT3_,@function
_ZL26rocblas_dot_kernel_inc1by2ILb1ELi1024ELi32ELb1E19rocblas_complex_numIdEPKS1_S1_EviT4_llS4_lliPT5_PT3_: ; @_ZL26rocblas_dot_kernel_inc1by2ILb1ELi1024ELi32ELb1E19rocblas_complex_numIdEPKS1_S1_EviT4_llS4_lliPT5_PT3_
; %bb.0:
	s_load_b32 s3, s[0:1], 0x38
	s_bfe_u32 s2, ttmp6, 0x40014
	s_lshr_b32 s4, ttmp7, 16
	s_add_co_i32 s2, s2, 1
	s_bfe_u32 s5, ttmp6, 0x40008
	s_mul_i32 s2, s4, s2
	s_getreg_b32 s6, hwreg(HW_REG_IB_STS2, 6, 4)
	s_add_co_i32 s5, s5, s2
	s_cmp_eq_u32 s6, 0
	s_mov_b32 s9, 0
	s_cselect_b32 s8, s4, s5
	s_wait_kmcnt 0x0
	s_cmp_ge_u32 s8, s3
	s_cbranch_scc1 .LBB64_17
; %bb.1:
	v_mbcnt_lo_u32_b32 v2, -1, 0
	s_clause 0x5
	s_load_b64 s[18:19], s[0:1], 0x8
	s_load_b32 s16, s[0:1], 0x0
	s_load_b64 s[20:21], s[0:1], 0x20
	s_load_b128 s[4:7], s[0:1], 0x10
	s_load_b64 s[10:11], s[0:1], 0x48
	s_load_b128 s[12:15], s[0:1], 0x28
	v_and_b32_e32 v1, 31, v0
	s_wait_xcnt 0x0
	v_cmp_eq_u32_e64 s1, 0, v0
	v_cmp_gt_u32_e64 s0, 24, v2
	v_lshl_or_b32 v13, v2, 2, 64
	v_cmp_gt_u32_e32 vcc_lo, 32, v0
	s_delay_alu instid0(VALU_DEP_3) | instskip(SKIP_1) | instid1(VALU_DEP_2)
	v_cndmask_b32_e64 v3, 0, 8, s0
	v_cmp_gt_u32_e64 s0, 28, v2
	v_add_lshl_u32 v14, v3, v2, 2
	s_delay_alu instid0(VALU_DEP_2) | instskip(SKIP_2) | instid1(VALU_DEP_3)
	v_cndmask_b32_e64 v4, 0, 4, s0
	v_cmp_gt_u32_e64 s0, 30, v2
	v_lshrrev_b32_e32 v3, 1, v0
	v_add_lshl_u32 v15, v4, v2, 2
	s_delay_alu instid0(VALU_DEP_3)
	v_cndmask_b32_e64 v5, 0, 2, s0
	v_cmp_ne_u32_e64 s0, 31, v2
	s_wait_kmcnt 0x0
	s_lshl_b64 s[12:13], s[12:13], 4
	v_and_b32_e32 v18, 0x1f0, v3
	s_add_nc_u64 s[12:13], s[20:21], s[12:13]
	s_lshl_b64 s[20:21], s[4:5], 4
	v_add_co_ci_u32_e64 v6, null, 0, v2, s0
	v_lshlrev_b32_e32 v12, 4, v1
	v_add_lshl_u32 v16, v5, v2, 2
	v_cmp_eq_u32_e64 s0, 0, v1
	s_delay_alu instid0(VALU_DEP_4)
	v_dual_mov_b32 v2, 0 :: v_dual_lshlrev_b32 v17, 2, v6
	s_add_nc_u64 s[18:19], s[18:19], s[20:21]
	s_add_nc_u64 s[4:5], s[12:13], 8
	s_lshl_b64 s[12:13], s[14:15], 4
	s_add_nc_u64 s[14:15], s[18:19], 8
	s_lshl_b64 s[6:7], s[6:7], 4
	s_branch .LBB64_3
.LBB64_2:                               ;   in Loop: Header=BB64_3 Depth=1
	s_wait_xcnt 0x0
	s_or_b32 exec_lo, exec_lo, s2
	s_add_co_i32 s8, s8, 0x10000
	s_delay_alu instid0(SALU_CYCLE_1)
	s_cmp_lt_u32 s8, s3
	s_cbranch_scc0 .LBB64_17
.LBB64_3:                               ; =>This Loop Header: Depth=1
                                        ;     Child Loop BB64_5 Depth 2
	s_wait_dscnt 0x0
	v_mov_b64_e32 v[6:7], 0
	v_mov_b64_e32 v[8:9], 0
	s_mov_b32 s17, exec_lo
	v_cmpx_gt_i32_e64 s16, v0
	s_cbranch_execz .LBB64_7
; %bb.4:                                ;   in Loop: Header=BB64_3 Depth=1
	v_ashrrev_i32_e32 v1, 31, v0
	s_mul_u64 s[18:19], s[12:13], s[8:9]
	s_mul_u64 s[20:21], s[6:7], s[8:9]
	s_add_nc_u64 s[18:19], s[4:5], s[18:19]
	s_add_nc_u64 s[20:21], s[14:15], s[20:21]
	v_lshlrev_b64_e32 v[8:9], 4, v[0:1]
	v_mov_b64_e32 v[6:7], 0
	s_delay_alu instid0(VALU_DEP_2)
	v_add_nc_u64_e32 v[4:5], s[18:19], v[8:9]
	v_add_nc_u64_e32 v[10:11], s[20:21], v[8:9]
	v_mov_b64_e32 v[8:9], 0
	s_mov_b32 s18, 0
	s_mov_b32 s19, 0
.LBB64_5:                               ;   Parent Loop BB64_3 Depth=1
                                        ; =>  This Inner Loop Header: Depth=2
	global_load_b128 v[20:23], v[4:5], off offset:-8
	global_load_b128 v[24:27], v[10:11], off offset:-8
	v_add_nc_u32_e32 v0, 0x400, v0
	s_add_co_i32 s20, s19, 1
	s_cmp_gt_u32 s19, 30
	s_wait_xcnt 0x1
	v_add_nc_u64_e32 v[4:5], 0x4000, v[4:5]
	s_cselect_b32 s19, -1, 0
	v_cmp_le_i32_e64 s2, s16, v0
	s_wait_xcnt 0x0
	v_add_nc_u64_e32 v[10:11], 0x4000, v[10:11]
	s_or_b32 s2, s19, s2
	s_mov_b32 s19, s20
	s_and_b32 s2, exec_lo, s2
	s_delay_alu instid0(SALU_CYCLE_1) | instskip(SKIP_3) | instid1(VALU_DEP_2)
	s_or_b32 s18, s2, s18
	s_wait_loadcnt 0x0
	v_mul_f64_e32 v[28:29], v[22:23], v[26:27]
	v_mul_f64_e32 v[26:27], v[20:21], v[26:27]
	v_fmac_f64_e32 v[28:29], v[20:21], v[24:25]
	s_delay_alu instid0(VALU_DEP_2) | instskip(NEXT) | instid1(VALU_DEP_2)
	v_fma_f64 v[20:21], v[22:23], v[24:25], -v[26:27]
	v_add_f64_e32 v[8:9], v[8:9], v[28:29]
	s_delay_alu instid0(VALU_DEP_2)
	v_add_f64_e32 v[6:7], v[6:7], v[20:21]
	s_and_not1_b32 exec_lo, exec_lo, s18
	s_cbranch_execnz .LBB64_5
; %bb.6:                                ;   in Loop: Header=BB64_3 Depth=1
	s_or_b32 exec_lo, exec_lo, s18
.LBB64_7:                               ;   in Loop: Header=BB64_3 Depth=1
	s_delay_alu instid0(SALU_CYCLE_1)
	s_or_b32 exec_lo, exec_lo, s17
	s_and_saveexec_b32 s2, vcc_lo
; %bb.8:                                ;   in Loop: Header=BB64_3 Depth=1
	v_dual_mov_b32 v3, v2 :: v_dual_mov_b32 v4, v2
	v_mov_b32_e32 v5, v2
	ds_store_b128 v12, v[2:5]
; %bb.9:                                ;   in Loop: Header=BB64_3 Depth=1
	s_or_b32 exec_lo, exec_lo, s2
	ds_bpermute_b32 v4, v13, v8
	ds_bpermute_b32 v5, v13, v9
	ds_bpermute_b32 v10, v13, v6
	ds_bpermute_b32 v11, v13, v7
	s_wait_dscnt 0x0
	s_barrier_signal -1
	s_barrier_wait -1
	v_add_f64_e32 v[4:5], v[8:9], v[4:5]
	v_add_f64_e32 v[6:7], v[6:7], v[10:11]
	ds_bpermute_b32 v8, v14, v4
	ds_bpermute_b32 v9, v14, v5
	ds_bpermute_b32 v10, v14, v6
	ds_bpermute_b32 v11, v14, v7
	s_wait_dscnt 0x2
	v_add_f64_e32 v[4:5], v[4:5], v[8:9]
	s_wait_dscnt 0x0
	v_add_f64_e32 v[6:7], v[6:7], v[10:11]
	ds_bpermute_b32 v8, v15, v4
	ds_bpermute_b32 v9, v15, v5
	ds_bpermute_b32 v10, v15, v6
	ds_bpermute_b32 v11, v15, v7
	s_wait_dscnt 0x2
	v_add_f64_e32 v[4:5], v[4:5], v[8:9]
	s_wait_dscnt 0x0
	;; [unrolled: 8-line block ×3, first 2 shown]
	v_add_f64_e32 v[8:9], v[6:7], v[10:11]
	ds_bpermute_b32 v6, v17, v4
	ds_bpermute_b32 v7, v17, v5
	;; [unrolled: 1-line block ×4, first 2 shown]
	s_and_saveexec_b32 s2, s0
	s_cbranch_execz .LBB64_11
; %bb.10:                               ;   in Loop: Header=BB64_3 Depth=1
	s_wait_dscnt 0x0
	v_add_f64_e32 v[8:9], v[8:9], v[10:11]
	v_add_f64_e32 v[6:7], v[4:5], v[6:7]
	ds_store_b128 v18, v[6:9]
.LBB64_11:                              ;   in Loop: Header=BB64_3 Depth=1
	s_or_b32 exec_lo, exec_lo, s2
	s_wait_dscnt 0x2
	v_mov_b64_e32 v[6:7], 0
	v_mov_b64_e32 v[4:5], 0
	s_wait_dscnt 0x0
	s_barrier_signal -1
	s_barrier_wait -1
	s_and_saveexec_b32 s2, vcc_lo
	s_cbranch_execnz .LBB64_14
; %bb.12:                               ;   in Loop: Header=BB64_3 Depth=1
	s_or_b32 exec_lo, exec_lo, s2
	s_and_saveexec_b32 s2, vcc_lo
	s_cbranch_execnz .LBB64_15
.LBB64_13:                              ;   in Loop: Header=BB64_3 Depth=1
	s_or_b32 exec_lo, exec_lo, s2
	s_and_saveexec_b32 s2, s1
	s_cbranch_execz .LBB64_2
	s_branch .LBB64_16
.LBB64_14:                              ;   in Loop: Header=BB64_3 Depth=1
	ds_load_b128 v[4:7], v12
	s_or_b32 exec_lo, exec_lo, s2
	s_and_saveexec_b32 s2, vcc_lo
	s_cbranch_execz .LBB64_13
.LBB64_15:                              ;   in Loop: Header=BB64_3 Depth=1
	s_wait_dscnt 0x0
	ds_bpermute_b32 v8, v13, v4
	ds_bpermute_b32 v9, v13, v5
	ds_bpermute_b32 v10, v13, v6
	ds_bpermute_b32 v11, v13, v7
	s_wait_dscnt 0x2
	v_add_f64_e32 v[4:5], v[4:5], v[8:9]
	s_wait_dscnt 0x0
	v_add_f64_e32 v[6:7], v[6:7], v[10:11]
	ds_bpermute_b32 v8, v14, v4
	ds_bpermute_b32 v9, v14, v5
	ds_bpermute_b32 v10, v14, v6
	ds_bpermute_b32 v11, v14, v7
	s_wait_dscnt 0x2
	v_add_f64_e32 v[4:5], v[4:5], v[8:9]
	s_wait_dscnt 0x0
	v_add_f64_e32 v[6:7], v[6:7], v[10:11]
	;; [unrolled: 8-line block ×5, first 2 shown]
	s_or_b32 exec_lo, exec_lo, s2
	s_and_saveexec_b32 s2, s1
	s_cbranch_execz .LBB64_2
.LBB64_16:                              ;   in Loop: Header=BB64_3 Depth=1
	s_lshl_b64 s[18:19], s[8:9], 4
	s_delay_alu instid0(SALU_CYCLE_1)
	s_add_nc_u64 s[18:19], s[10:11], s[18:19]
	s_wait_dscnt 0x0
	global_store_b128 v2, v[4:7], s[18:19]
	s_branch .LBB64_2
.LBB64_17:
	s_endpgm
	.section	.rodata,"a",@progbits
	.p2align	6, 0x0
	.amdhsa_kernel _ZL26rocblas_dot_kernel_inc1by2ILb1ELi1024ELi32ELb1E19rocblas_complex_numIdEPKS1_S1_EviT4_llS4_lliPT5_PT3_
		.amdhsa_group_segment_fixed_size 512
		.amdhsa_private_segment_fixed_size 0
		.amdhsa_kernarg_size 80
		.amdhsa_user_sgpr_count 2
		.amdhsa_user_sgpr_dispatch_ptr 0
		.amdhsa_user_sgpr_queue_ptr 0
		.amdhsa_user_sgpr_kernarg_segment_ptr 1
		.amdhsa_user_sgpr_dispatch_id 0
		.amdhsa_user_sgpr_kernarg_preload_length 0
		.amdhsa_user_sgpr_kernarg_preload_offset 0
		.amdhsa_user_sgpr_private_segment_size 0
		.amdhsa_wavefront_size32 1
		.amdhsa_uses_dynamic_stack 0
		.amdhsa_enable_private_segment 0
		.amdhsa_system_sgpr_workgroup_id_x 1
		.amdhsa_system_sgpr_workgroup_id_y 0
		.amdhsa_system_sgpr_workgroup_id_z 1
		.amdhsa_system_sgpr_workgroup_info 0
		.amdhsa_system_vgpr_workitem_id 0
		.amdhsa_next_free_vgpr 30
		.amdhsa_next_free_sgpr 22
		.amdhsa_named_barrier_count 0
		.amdhsa_reserve_vcc 1
		.amdhsa_float_round_mode_32 0
		.amdhsa_float_round_mode_16_64 0
		.amdhsa_float_denorm_mode_32 3
		.amdhsa_float_denorm_mode_16_64 3
		.amdhsa_fp16_overflow 0
		.amdhsa_memory_ordered 1
		.amdhsa_forward_progress 1
		.amdhsa_inst_pref_size 10
		.amdhsa_round_robin_scheduling 0
		.amdhsa_exception_fp_ieee_invalid_op 0
		.amdhsa_exception_fp_denorm_src 0
		.amdhsa_exception_fp_ieee_div_zero 0
		.amdhsa_exception_fp_ieee_overflow 0
		.amdhsa_exception_fp_ieee_underflow 0
		.amdhsa_exception_fp_ieee_inexact 0
		.amdhsa_exception_int_div_zero 0
	.end_amdhsa_kernel
	.section	.text._ZL26rocblas_dot_kernel_inc1by2ILb1ELi1024ELi32ELb1E19rocblas_complex_numIdEPKS1_S1_EviT4_llS4_lliPT5_PT3_,"axG",@progbits,_ZL26rocblas_dot_kernel_inc1by2ILb1ELi1024ELi32ELb1E19rocblas_complex_numIdEPKS1_S1_EviT4_llS4_lliPT5_PT3_,comdat
.Lfunc_end64:
	.size	_ZL26rocblas_dot_kernel_inc1by2ILb1ELi1024ELi32ELb1E19rocblas_complex_numIdEPKS1_S1_EviT4_llS4_lliPT5_PT3_, .Lfunc_end64-_ZL26rocblas_dot_kernel_inc1by2ILb1ELi1024ELi32ELb1E19rocblas_complex_numIdEPKS1_S1_EviT4_llS4_lliPT5_PT3_
                                        ; -- End function
	.set _ZL26rocblas_dot_kernel_inc1by2ILb1ELi1024ELi32ELb1E19rocblas_complex_numIdEPKS1_S1_EviT4_llS4_lliPT5_PT3_.num_vgpr, 30
	.set _ZL26rocblas_dot_kernel_inc1by2ILb1ELi1024ELi32ELb1E19rocblas_complex_numIdEPKS1_S1_EviT4_llS4_lliPT5_PT3_.num_agpr, 0
	.set _ZL26rocblas_dot_kernel_inc1by2ILb1ELi1024ELi32ELb1E19rocblas_complex_numIdEPKS1_S1_EviT4_llS4_lliPT5_PT3_.numbered_sgpr, 22
	.set _ZL26rocblas_dot_kernel_inc1by2ILb1ELi1024ELi32ELb1E19rocblas_complex_numIdEPKS1_S1_EviT4_llS4_lliPT5_PT3_.num_named_barrier, 0
	.set _ZL26rocblas_dot_kernel_inc1by2ILb1ELi1024ELi32ELb1E19rocblas_complex_numIdEPKS1_S1_EviT4_llS4_lliPT5_PT3_.private_seg_size, 0
	.set _ZL26rocblas_dot_kernel_inc1by2ILb1ELi1024ELi32ELb1E19rocblas_complex_numIdEPKS1_S1_EviT4_llS4_lliPT5_PT3_.uses_vcc, 1
	.set _ZL26rocblas_dot_kernel_inc1by2ILb1ELi1024ELi32ELb1E19rocblas_complex_numIdEPKS1_S1_EviT4_llS4_lliPT5_PT3_.uses_flat_scratch, 0
	.set _ZL26rocblas_dot_kernel_inc1by2ILb1ELi1024ELi32ELb1E19rocblas_complex_numIdEPKS1_S1_EviT4_llS4_lliPT5_PT3_.has_dyn_sized_stack, 0
	.set _ZL26rocblas_dot_kernel_inc1by2ILb1ELi1024ELi32ELb1E19rocblas_complex_numIdEPKS1_S1_EviT4_llS4_lliPT5_PT3_.has_recursion, 0
	.set _ZL26rocblas_dot_kernel_inc1by2ILb1ELi1024ELi32ELb1E19rocblas_complex_numIdEPKS1_S1_EviT4_llS4_lliPT5_PT3_.has_indirect_call, 0
	.section	.AMDGPU.csdata,"",@progbits
; Kernel info:
; codeLenInByte = 1256
; TotalNumSgprs: 24
; NumVgprs: 30
; ScratchSize: 0
; MemoryBound: 0
; FloatMode: 240
; IeeeMode: 1
; LDSByteSize: 512 bytes/workgroup (compile time only)
; SGPRBlocks: 0
; VGPRBlocks: 1
; NumSGPRsForWavesPerEU: 24
; NumVGPRsForWavesPerEU: 30
; NamedBarCnt: 0
; Occupancy: 16
; WaveLimiterHint : 0
; COMPUTE_PGM_RSRC2:SCRATCH_EN: 0
; COMPUTE_PGM_RSRC2:USER_SGPR: 2
; COMPUTE_PGM_RSRC2:TRAP_HANDLER: 0
; COMPUTE_PGM_RSRC2:TGID_X_EN: 1
; COMPUTE_PGM_RSRC2:TGID_Y_EN: 0
; COMPUTE_PGM_RSRC2:TGID_Z_EN: 1
; COMPUTE_PGM_RSRC2:TIDIG_COMP_CNT: 0
	.section	.text._ZL18rocblas_dot_kernelIiLb1ELi1024ELi32ELb1E19rocblas_complex_numIdEPKS1_S1_EviT5_lT_lS4_lS5_liPT6_PT4_,"axG",@progbits,_ZL18rocblas_dot_kernelIiLb1ELi1024ELi32ELb1E19rocblas_complex_numIdEPKS1_S1_EviT5_lT_lS4_lS5_liPT6_PT4_,comdat
	.globl	_ZL18rocblas_dot_kernelIiLb1ELi1024ELi32ELb1E19rocblas_complex_numIdEPKS1_S1_EviT5_lT_lS4_lS5_liPT6_PT4_ ; -- Begin function _ZL18rocblas_dot_kernelIiLb1ELi1024ELi32ELb1E19rocblas_complex_numIdEPKS1_S1_EviT5_lT_lS4_lS5_liPT6_PT4_
	.p2align	8
	.type	_ZL18rocblas_dot_kernelIiLb1ELi1024ELi32ELb1E19rocblas_complex_numIdEPKS1_S1_EviT5_lT_lS4_lS5_liPT6_PT4_,@function
_ZL18rocblas_dot_kernelIiLb1ELi1024ELi32ELb1E19rocblas_complex_numIdEPKS1_S1_EviT5_lT_lS4_lS5_liPT6_PT4_: ; @_ZL18rocblas_dot_kernelIiLb1ELi1024ELi32ELb1E19rocblas_complex_numIdEPKS1_S1_EviT5_lT_lS4_lS5_liPT6_PT4_
; %bb.0:
	s_load_b32 s3, s[0:1], 0x48
	s_bfe_u32 s2, ttmp6, 0x40014
	s_lshr_b32 s4, ttmp7, 16
	s_add_co_i32 s2, s2, 1
	s_bfe_u32 s5, ttmp6, 0x40008
	s_mul_i32 s2, s4, s2
	s_getreg_b32 s6, hwreg(HW_REG_IB_STS2, 6, 4)
	s_add_co_i32 s5, s5, s2
	s_cmp_eq_u32 s6, 0
	s_mov_b32 s17, 0
	s_cselect_b32 s16, s4, s5
	s_wait_kmcnt 0x0
	s_cmp_ge_u32 s16, s3
	s_cbranch_scc1 .LBB65_17
; %bb.1:
	v_mbcnt_lo_u32_b32 v3, -1, 0
	s_clause 0x6
	s_load_b32 s24, s[0:1], 0x18
	s_load_b96 s[12:14], s[0:1], 0x30
	s_load_b96 s[8:10], s[0:1], 0x58
	s_load_b128 s[4:7], s[0:1], 0x20
	s_load_b128 s[20:23], s[0:1], 0x8
	s_load_b32 s26, s[0:1], 0x0
	s_load_b64 s[28:29], s[0:1], 0x40
	v_and_b32_e32 v2, 31, v0
	s_wait_xcnt 0x0
	v_cmp_eq_u32_e64 s1, 0, v0
	v_cmp_gt_u32_e64 s0, 24, v3
	v_lshl_or_b32 v12, v3, 2, 64
	v_cmp_gt_u32_e32 vcc_lo, 32, v0
	s_delay_alu instid0(VALU_DEP_3) | instskip(SKIP_1) | instid1(VALU_DEP_2)
	v_cndmask_b32_e64 v4, 0, 8, s0
	v_cmp_gt_u32_e64 s0, 28, v3
	v_add_lshl_u32 v13, v4, v3, 2
	s_delay_alu instid0(VALU_DEP_2)
	v_cndmask_b32_e64 v5, 0, 4, s0
	v_cmp_gt_u32_e64 s0, 30, v3
	v_lshrrev_b32_e32 v4, 1, v0
	s_wait_kmcnt 0x0
	s_ashr_i32 s25, s24, 31
	s_lshl_b32 s10, s10, 10
	s_ashr_i32 s31, s14, 31
	v_cndmask_b32_e64 v6, 0, 2, s0
	v_cmp_ne_u32_e64 s0, 31, v3
	s_mov_b32 s30, s14
	s_lshl_b64 s[14:15], s[22:23], 4
	s_ashr_i32 s11, s10, 31
	s_lshl_b64 s[12:13], s[12:13], 4
	v_add_co_ci_u32_e64 v7, null, 0, v3, s0
	v_lshlrev_b32_e32 v1, 4, v2
	v_add_lshl_u32 v14, v5, v3, 2
	v_add_lshl_u32 v15, v6, v3, 2
	s_delay_alu instid0(VALU_DEP_4)
	v_lshlrev_b32_e32 v16, 2, v7
	v_cmp_eq_u32_e64 s0, 0, v2
	v_and_b32_e32 v17, 0x1f0, v4
	v_mov_b32_e32 v2, 0
	s_add_nc_u64 s[14:15], s[20:21], s[14:15]
	s_lshl_b64 s[18:19], s[24:25], 4
	s_mul_u64 s[20:21], s[24:25], s[10:11]
	s_add_nc_u64 s[12:13], s[6:7], s[12:13]
	s_mul_u64 s[24:25], s[30:31], s[10:11]
	s_add_nc_u64 s[14:15], s[14:15], 8
	s_lshl_b64 s[4:5], s[4:5], 4
	s_lshl_b64 s[6:7], s[20:21], 4
	s_add_nc_u64 s[12:13], s[12:13], 8
	s_lshl_b64 s[20:21], s[30:31], 4
	s_lshl_b64 s[22:23], s[28:29], 4
	;; [unrolled: 1-line block ×3, first 2 shown]
	s_branch .LBB65_3
.LBB65_2:                               ;   in Loop: Header=BB65_3 Depth=1
	s_wait_xcnt 0x0
	s_or_b32 exec_lo, exec_lo, s2
	s_add_co_i32 s16, s16, 0x10000
	s_delay_alu instid0(SALU_CYCLE_1)
	s_cmp_lt_u32 s16, s3
	s_cbranch_scc0 .LBB65_17
.LBB65_3:                               ; =>This Loop Header: Depth=1
                                        ;     Child Loop BB65_5 Depth 2
	s_wait_dscnt 0x0
	v_mov_b64_e32 v[6:7], 0
	v_mov_b64_e32 v[8:9], 0
	s_mov_b32 s11, exec_lo
	v_cmpx_gt_i32_e64 s26, v0
	s_cbranch_execz .LBB65_7
; %bb.4:                                ;   in Loop: Header=BB65_3 Depth=1
	s_mul_u64 s[28:29], s[4:5], s[16:17]
	s_mul_u64 s[30:31], s[22:23], s[16:17]
	s_add_nc_u64 s[28:29], s[14:15], s[28:29]
	s_add_nc_u64 s[30:31], s[12:13], s[30:31]
	v_mad_nc_u64_u32 v[4:5], s18, v0, s[28:29]
	v_mad_nc_u64_u32 v[10:11], s20, v0, s[30:31]
	v_ashrrev_i32_e32 v7, 31, v0
	v_mov_b64_e32 v[8:9], 0
	s_mov_b32 s27, 0
	s_mov_b32 s28, 0
	s_delay_alu instid0(VALU_DEP_4) | instskip(NEXT) | instid1(VALU_DEP_4)
	v_mad_u32 v3, s19, v0, v5
	v_mad_u32 v6, s21, v0, v11
	s_delay_alu instid0(VALU_DEP_2) | instskip(NEXT) | instid1(VALU_DEP_2)
	v_mad_u32 v5, s18, v7, v3
	v_mad_u32 v11, s20, v7, v6
	v_mov_b64_e32 v[6:7], 0
.LBB65_5:                               ;   Parent Loop BB65_3 Depth=1
                                        ; =>  This Inner Loop Header: Depth=2
	global_load_b128 v[18:21], v[10:11], off offset:-8
	global_load_b128 v[22:25], v[4:5], off offset:-8
	s_add_co_i32 s29, s28, 1
	s_cmp_gt_u32 s28, 30
	s_wait_xcnt 0x0
	v_add_nc_u64_e32 v[4:5], s[6:7], v[4:5]
	s_cselect_b32 s28, -1, 0
	v_add_nc_u64_e32 v[10:11], s[24:25], v[10:11]
	v_add_nc_u32_e32 v0, s10, v0
	s_delay_alu instid0(VALU_DEP_1) | instskip(SKIP_3) | instid1(SALU_CYCLE_1)
	v_cmp_le_i32_e64 s2, s26, v0
	s_or_b32 s2, s28, s2
	s_mov_b32 s28, s29
	s_and_b32 s2, exec_lo, s2
	s_or_b32 s27, s2, s27
	s_wait_loadcnt 0x0
	v_mul_f64_e32 v[26:27], v[20:21], v[24:25]
	v_mul_f64_e32 v[24:25], v[18:19], v[24:25]
	s_delay_alu instid0(VALU_DEP_2) | instskip(NEXT) | instid1(VALU_DEP_2)
	v_fmac_f64_e32 v[26:27], v[18:19], v[22:23]
	v_fma_f64 v[18:19], v[20:21], v[22:23], -v[24:25]
	s_delay_alu instid0(VALU_DEP_2) | instskip(NEXT) | instid1(VALU_DEP_2)
	v_add_f64_e32 v[8:9], v[8:9], v[26:27]
	v_add_f64_e32 v[6:7], v[6:7], v[18:19]
	s_and_not1_b32 exec_lo, exec_lo, s27
	s_cbranch_execnz .LBB65_5
; %bb.6:                                ;   in Loop: Header=BB65_3 Depth=1
	s_or_b32 exec_lo, exec_lo, s27
.LBB65_7:                               ;   in Loop: Header=BB65_3 Depth=1
	s_delay_alu instid0(SALU_CYCLE_1)
	s_or_b32 exec_lo, exec_lo, s11
	s_and_saveexec_b32 s2, vcc_lo
; %bb.8:                                ;   in Loop: Header=BB65_3 Depth=1
	v_dual_mov_b32 v3, v2 :: v_dual_mov_b32 v4, v2
	v_mov_b32_e32 v5, v2
	ds_store_b128 v1, v[2:5]
; %bb.9:                                ;   in Loop: Header=BB65_3 Depth=1
	s_or_b32 exec_lo, exec_lo, s2
	ds_bpermute_b32 v4, v12, v8
	ds_bpermute_b32 v5, v12, v9
	;; [unrolled: 1-line block ×4, first 2 shown]
	s_wait_dscnt 0x0
	s_barrier_signal -1
	s_barrier_wait -1
	v_add_f64_e32 v[4:5], v[8:9], v[4:5]
	v_add_f64_e32 v[6:7], v[6:7], v[10:11]
	ds_bpermute_b32 v8, v13, v4
	ds_bpermute_b32 v9, v13, v5
	ds_bpermute_b32 v10, v13, v6
	ds_bpermute_b32 v11, v13, v7
	s_wait_dscnt 0x2
	v_add_f64_e32 v[4:5], v[4:5], v[8:9]
	s_wait_dscnt 0x0
	v_add_f64_e32 v[6:7], v[6:7], v[10:11]
	ds_bpermute_b32 v8, v14, v4
	ds_bpermute_b32 v9, v14, v5
	ds_bpermute_b32 v10, v14, v6
	ds_bpermute_b32 v11, v14, v7
	s_wait_dscnt 0x2
	v_add_f64_e32 v[4:5], v[4:5], v[8:9]
	s_wait_dscnt 0x0
	v_add_f64_e32 v[6:7], v[6:7], v[10:11]
	ds_bpermute_b32 v8, v15, v4
	ds_bpermute_b32 v9, v15, v5
	ds_bpermute_b32 v10, v15, v6
	ds_bpermute_b32 v11, v15, v7
	s_wait_dscnt 0x2
	v_add_f64_e32 v[4:5], v[4:5], v[8:9]
	s_wait_dscnt 0x0
	v_add_f64_e32 v[8:9], v[6:7], v[10:11]
	ds_bpermute_b32 v6, v16, v4
	ds_bpermute_b32 v7, v16, v5
	;; [unrolled: 1-line block ×4, first 2 shown]
	s_and_saveexec_b32 s2, s0
	s_cbranch_execz .LBB65_11
; %bb.10:                               ;   in Loop: Header=BB65_3 Depth=1
	s_wait_dscnt 0x0
	v_add_f64_e32 v[8:9], v[8:9], v[10:11]
	v_add_f64_e32 v[6:7], v[4:5], v[6:7]
	ds_store_b128 v17, v[6:9]
.LBB65_11:                              ;   in Loop: Header=BB65_3 Depth=1
	s_or_b32 exec_lo, exec_lo, s2
	s_wait_dscnt 0x2
	v_mov_b64_e32 v[6:7], 0
	v_mov_b64_e32 v[4:5], 0
	s_wait_dscnt 0x0
	s_barrier_signal -1
	s_barrier_wait -1
	s_and_saveexec_b32 s2, vcc_lo
	s_cbranch_execnz .LBB65_14
; %bb.12:                               ;   in Loop: Header=BB65_3 Depth=1
	s_or_b32 exec_lo, exec_lo, s2
	s_and_saveexec_b32 s2, vcc_lo
	s_cbranch_execnz .LBB65_15
.LBB65_13:                              ;   in Loop: Header=BB65_3 Depth=1
	s_or_b32 exec_lo, exec_lo, s2
	s_and_saveexec_b32 s2, s1
	s_cbranch_execz .LBB65_2
	s_branch .LBB65_16
.LBB65_14:                              ;   in Loop: Header=BB65_3 Depth=1
	ds_load_b128 v[4:7], v1
	s_or_b32 exec_lo, exec_lo, s2
	s_and_saveexec_b32 s2, vcc_lo
	s_cbranch_execz .LBB65_13
.LBB65_15:                              ;   in Loop: Header=BB65_3 Depth=1
	s_wait_dscnt 0x0
	ds_bpermute_b32 v8, v12, v4
	ds_bpermute_b32 v9, v12, v5
	ds_bpermute_b32 v10, v12, v6
	ds_bpermute_b32 v11, v12, v7
	s_wait_dscnt 0x2
	v_add_f64_e32 v[4:5], v[4:5], v[8:9]
	s_wait_dscnt 0x0
	v_add_f64_e32 v[6:7], v[6:7], v[10:11]
	ds_bpermute_b32 v8, v13, v4
	ds_bpermute_b32 v9, v13, v5
	ds_bpermute_b32 v10, v13, v6
	ds_bpermute_b32 v11, v13, v7
	s_wait_dscnt 0x2
	v_add_f64_e32 v[4:5], v[4:5], v[8:9]
	s_wait_dscnt 0x0
	v_add_f64_e32 v[6:7], v[6:7], v[10:11]
	;; [unrolled: 8-line block ×5, first 2 shown]
	s_or_b32 exec_lo, exec_lo, s2
	s_and_saveexec_b32 s2, s1
	s_cbranch_execz .LBB65_2
.LBB65_16:                              ;   in Loop: Header=BB65_3 Depth=1
	s_lshl_b64 s[28:29], s[16:17], 4
	s_delay_alu instid0(SALU_CYCLE_1)
	s_add_nc_u64 s[28:29], s[8:9], s[28:29]
	s_wait_dscnt 0x0
	global_store_b128 v2, v[4:7], s[28:29]
	s_branch .LBB65_2
.LBB65_17:
	s_endpgm
	.section	.rodata,"a",@progbits
	.p2align	6, 0x0
	.amdhsa_kernel _ZL18rocblas_dot_kernelIiLb1ELi1024ELi32ELb1E19rocblas_complex_numIdEPKS1_S1_EviT5_lT_lS4_lS5_liPT6_PT4_
		.amdhsa_group_segment_fixed_size 512
		.amdhsa_private_segment_fixed_size 0
		.amdhsa_kernarg_size 352
		.amdhsa_user_sgpr_count 2
		.amdhsa_user_sgpr_dispatch_ptr 0
		.amdhsa_user_sgpr_queue_ptr 0
		.amdhsa_user_sgpr_kernarg_segment_ptr 1
		.amdhsa_user_sgpr_dispatch_id 0
		.amdhsa_user_sgpr_kernarg_preload_length 0
		.amdhsa_user_sgpr_kernarg_preload_offset 0
		.amdhsa_user_sgpr_private_segment_size 0
		.amdhsa_wavefront_size32 1
		.amdhsa_uses_dynamic_stack 0
		.amdhsa_enable_private_segment 0
		.amdhsa_system_sgpr_workgroup_id_x 1
		.amdhsa_system_sgpr_workgroup_id_y 0
		.amdhsa_system_sgpr_workgroup_id_z 1
		.amdhsa_system_sgpr_workgroup_info 0
		.amdhsa_system_vgpr_workitem_id 0
		.amdhsa_next_free_vgpr 28
		.amdhsa_next_free_sgpr 32
		.amdhsa_named_barrier_count 0
		.amdhsa_reserve_vcc 1
		.amdhsa_float_round_mode_32 0
		.amdhsa_float_round_mode_16_64 0
		.amdhsa_float_denorm_mode_32 3
		.amdhsa_float_denorm_mode_16_64 3
		.amdhsa_fp16_overflow 0
		.amdhsa_memory_ordered 1
		.amdhsa_forward_progress 1
		.amdhsa_inst_pref_size 11
		.amdhsa_round_robin_scheduling 0
		.amdhsa_exception_fp_ieee_invalid_op 0
		.amdhsa_exception_fp_denorm_src 0
		.amdhsa_exception_fp_ieee_div_zero 0
		.amdhsa_exception_fp_ieee_overflow 0
		.amdhsa_exception_fp_ieee_underflow 0
		.amdhsa_exception_fp_ieee_inexact 0
		.amdhsa_exception_int_div_zero 0
	.end_amdhsa_kernel
	.section	.text._ZL18rocblas_dot_kernelIiLb1ELi1024ELi32ELb1E19rocblas_complex_numIdEPKS1_S1_EviT5_lT_lS4_lS5_liPT6_PT4_,"axG",@progbits,_ZL18rocblas_dot_kernelIiLb1ELi1024ELi32ELb1E19rocblas_complex_numIdEPKS1_S1_EviT5_lT_lS4_lS5_liPT6_PT4_,comdat
.Lfunc_end65:
	.size	_ZL18rocblas_dot_kernelIiLb1ELi1024ELi32ELb1E19rocblas_complex_numIdEPKS1_S1_EviT5_lT_lS4_lS5_liPT6_PT4_, .Lfunc_end65-_ZL18rocblas_dot_kernelIiLb1ELi1024ELi32ELb1E19rocblas_complex_numIdEPKS1_S1_EviT5_lT_lS4_lS5_liPT6_PT4_
                                        ; -- End function
	.set _ZL18rocblas_dot_kernelIiLb1ELi1024ELi32ELb1E19rocblas_complex_numIdEPKS1_S1_EviT5_lT_lS4_lS5_liPT6_PT4_.num_vgpr, 28
	.set _ZL18rocblas_dot_kernelIiLb1ELi1024ELi32ELb1E19rocblas_complex_numIdEPKS1_S1_EviT5_lT_lS4_lS5_liPT6_PT4_.num_agpr, 0
	.set _ZL18rocblas_dot_kernelIiLb1ELi1024ELi32ELb1E19rocblas_complex_numIdEPKS1_S1_EviT5_lT_lS4_lS5_liPT6_PT4_.numbered_sgpr, 32
	.set _ZL18rocblas_dot_kernelIiLb1ELi1024ELi32ELb1E19rocblas_complex_numIdEPKS1_S1_EviT5_lT_lS4_lS5_liPT6_PT4_.num_named_barrier, 0
	.set _ZL18rocblas_dot_kernelIiLb1ELi1024ELi32ELb1E19rocblas_complex_numIdEPKS1_S1_EviT5_lT_lS4_lS5_liPT6_PT4_.private_seg_size, 0
	.set _ZL18rocblas_dot_kernelIiLb1ELi1024ELi32ELb1E19rocblas_complex_numIdEPKS1_S1_EviT5_lT_lS4_lS5_liPT6_PT4_.uses_vcc, 1
	.set _ZL18rocblas_dot_kernelIiLb1ELi1024ELi32ELb1E19rocblas_complex_numIdEPKS1_S1_EviT5_lT_lS4_lS5_liPT6_PT4_.uses_flat_scratch, 0
	.set _ZL18rocblas_dot_kernelIiLb1ELi1024ELi32ELb1E19rocblas_complex_numIdEPKS1_S1_EviT5_lT_lS4_lS5_liPT6_PT4_.has_dyn_sized_stack, 0
	.set _ZL18rocblas_dot_kernelIiLb1ELi1024ELi32ELb1E19rocblas_complex_numIdEPKS1_S1_EviT5_lT_lS4_lS5_liPT6_PT4_.has_recursion, 0
	.set _ZL18rocblas_dot_kernelIiLb1ELi1024ELi32ELb1E19rocblas_complex_numIdEPKS1_S1_EviT5_lT_lS4_lS5_liPT6_PT4_.has_indirect_call, 0
	.section	.AMDGPU.csdata,"",@progbits
; Kernel info:
; codeLenInByte = 1328
; TotalNumSgprs: 34
; NumVgprs: 28
; ScratchSize: 0
; MemoryBound: 0
; FloatMode: 240
; IeeeMode: 1
; LDSByteSize: 512 bytes/workgroup (compile time only)
; SGPRBlocks: 0
; VGPRBlocks: 1
; NumSGPRsForWavesPerEU: 34
; NumVGPRsForWavesPerEU: 28
; NamedBarCnt: 0
; Occupancy: 16
; WaveLimiterHint : 0
; COMPUTE_PGM_RSRC2:SCRATCH_EN: 0
; COMPUTE_PGM_RSRC2:USER_SGPR: 2
; COMPUTE_PGM_RSRC2:TRAP_HANDLER: 0
; COMPUTE_PGM_RSRC2:TGID_X_EN: 1
; COMPUTE_PGM_RSRC2:TGID_Y_EN: 0
; COMPUTE_PGM_RSRC2:TGID_Z_EN: 1
; COMPUTE_PGM_RSRC2:TIDIG_COMP_CNT: 0
	.section	.text._ZL24rocblas_dot_kernel_magsqIiLb1ELi1024ELi32ELb1E19rocblas_complex_numIdEPKS1_S1_EviT5_lT_liPT6_PT4_,"axG",@progbits,_ZL24rocblas_dot_kernel_magsqIiLb1ELi1024ELi32ELb1E19rocblas_complex_numIdEPKS1_S1_EviT5_lT_liPT6_PT4_,comdat
	.globl	_ZL24rocblas_dot_kernel_magsqIiLb1ELi1024ELi32ELb1E19rocblas_complex_numIdEPKS1_S1_EviT5_lT_liPT6_PT4_ ; -- Begin function _ZL24rocblas_dot_kernel_magsqIiLb1ELi1024ELi32ELb1E19rocblas_complex_numIdEPKS1_S1_EviT5_lT_liPT6_PT4_
	.p2align	8
	.type	_ZL24rocblas_dot_kernel_magsqIiLb1ELi1024ELi32ELb1E19rocblas_complex_numIdEPKS1_S1_EviT5_lT_liPT6_PT4_,@function
_ZL24rocblas_dot_kernel_magsqIiLb1ELi1024ELi32ELb1E19rocblas_complex_numIdEPKS1_S1_EviT5_lT_liPT6_PT4_: ; @_ZL24rocblas_dot_kernel_magsqIiLb1ELi1024ELi32ELb1E19rocblas_complex_numIdEPKS1_S1_EviT5_lT_liPT6_PT4_
; %bb.0:
	s_load_b32 s3, s[0:1], 0x28
	s_bfe_u32 s2, ttmp6, 0x40014
	s_lshr_b32 s4, ttmp7, 16
	s_add_co_i32 s2, s2, 1
	s_bfe_u32 s5, ttmp6, 0x40008
	s_mul_i32 s2, s4, s2
	s_getreg_b32 s6, hwreg(HW_REG_IB_STS2, 6, 4)
	s_add_co_i32 s5, s5, s2
	s_cmp_eq_u32 s6, 0
	s_mov_b32 s9, 0
	s_cselect_b32 s8, s4, s5
	s_wait_kmcnt 0x0
	s_cmp_ge_u32 s8, s3
	s_cbranch_scc1 .LBB66_17
; %bb.1:
	v_mbcnt_lo_u32_b32 v3, -1, 0
	s_clause 0x4
	s_load_b32 s16, s[0:1], 0x18
	s_load_b96 s[4:6], s[0:1], 0x38
	s_load_b128 s[12:15], s[0:1], 0x8
	s_load_b64 s[20:21], s[0:1], 0x20
	s_load_b32 s18, s[0:1], 0x0
	v_and_b32_e32 v2, 31, v0
	s_wait_xcnt 0x0
	v_cmp_eq_u32_e64 s1, 0, v0
	v_cmp_gt_u32_e64 s0, 24, v3
	v_lshl_or_b32 v12, v3, 2, 64
	v_cmp_gt_u32_e32 vcc_lo, 32, v0
	s_delay_alu instid0(VALU_DEP_3) | instskip(SKIP_1) | instid1(VALU_DEP_2)
	v_cndmask_b32_e64 v4, 0, 8, s0
	v_cmp_gt_u32_e64 s0, 28, v3
	v_add_lshl_u32 v13, v4, v3, 2
	s_delay_alu instid0(VALU_DEP_2)
	v_cndmask_b32_e64 v5, 0, 4, s0
	v_cmp_gt_u32_e64 s0, 30, v3
	v_lshrrev_b32_e32 v4, 1, v0
	s_wait_kmcnt 0x0
	s_ashr_i32 s17, s16, 31
	s_lshl_b32 s6, s6, 10
	v_cndmask_b32_e64 v6, 0, 2, s0
	v_cmp_ne_u32_e64 s0, 31, v3
	s_lshl_b64 s[10:11], s[14:15], 4
	s_ashr_i32 s7, s6, 31
	v_add_lshl_u32 v14, v5, v3, 2
	v_add_lshl_u32 v15, v6, v3, 2
	v_add_co_ci_u32_e64 v7, null, 0, v3, s0
	v_lshlrev_b32_e32 v1, 4, v2
	v_cmp_eq_u32_e64 s0, 0, v2
	v_and_b32_e32 v17, 0x1f0, v4
	s_delay_alu instid0(VALU_DEP_4)
	v_dual_lshlrev_b32 v16, 2, v7 :: v_dual_mov_b32 v2, 0
	s_add_nc_u64 s[10:11], s[12:13], s[10:11]
	s_lshl_b64 s[12:13], s[16:17], 4
	s_mul_u64 s[16:17], s[16:17], s[6:7]
	s_lshl_b64 s[14:15], s[20:21], 4
	s_lshl_b64 s[16:17], s[16:17], 4
	s_branch .LBB66_3
.LBB66_2:                               ;   in Loop: Header=BB66_3 Depth=1
	s_wait_xcnt 0x0
	s_or_b32 exec_lo, exec_lo, s2
	s_add_co_i32 s8, s8, 0x10000
	s_delay_alu instid0(SALU_CYCLE_1)
	s_cmp_lt_u32 s8, s3
	s_cbranch_scc0 .LBB66_17
.LBB66_3:                               ; =>This Loop Header: Depth=1
                                        ;     Child Loop BB66_5 Depth 2
	s_wait_dscnt 0x0
	v_mov_b64_e32 v[6:7], 0
	v_mov_b64_e32 v[8:9], 0
	s_mov_b32 s7, exec_lo
	v_cmpx_gt_i32_e64 s18, v0
	s_cbranch_execz .LBB66_7
; %bb.4:                                ;   in Loop: Header=BB66_3 Depth=1
	s_mul_u64 s[20:21], s[14:15], s[8:9]
	v_mov_b64_e32 v[6:7], 0
	s_add_nc_u64 s[20:21], s[10:11], s[20:21]
	v_mov_b64_e32 v[8:9], 0
	v_mad_nc_u64_u32 v[4:5], s12, v0, s[20:21]
	s_mov_b32 s19, 0
	s_mov_b32 s20, 0
	s_delay_alu instid0(VALU_DEP_1) | instskip(SKIP_1) | instid1(VALU_DEP_1)
	v_mad_u32 v3, s13, v0, v5
	v_ashrrev_i32_e32 v5, 31, v0
	v_mad_u32 v5, s12, v5, v3
.LBB66_5:                               ;   Parent Loop BB66_3 Depth=1
                                        ; =>  This Inner Loop Header: Depth=2
	global_load_b128 v[18:21], v[4:5], off
	s_add_co_i32 s21, s20, 1
	s_cmp_gt_u32 s20, 30
	s_wait_xcnt 0x0
	v_add_nc_u64_e32 v[4:5], s[16:17], v[4:5]
	s_cselect_b32 s20, -1, 0
	v_add_nc_u32_e32 v0, s6, v0
	s_delay_alu instid0(VALU_DEP_1) | instskip(SKIP_3) | instid1(SALU_CYCLE_1)
	v_cmp_le_i32_e64 s2, s18, v0
	s_or_b32 s2, s20, s2
	s_mov_b32 s20, s21
	s_and_b32 s2, exec_lo, s2
	s_or_b32 s19, s2, s19
	s_wait_loadcnt 0x0
	v_mul_f64_e32 v[10:11], v[20:21], v[20:21]
	v_mul_f64_e32 v[22:23], v[18:19], v[20:21]
	s_delay_alu instid0(VALU_DEP_2) | instskip(NEXT) | instid1(VALU_DEP_2)
	v_fmac_f64_e32 v[10:11], v[18:19], v[18:19]
	v_fma_f64 v[18:19], v[18:19], v[20:21], -v[22:23]
	s_delay_alu instid0(VALU_DEP_2) | instskip(NEXT) | instid1(VALU_DEP_2)
	v_add_f64_e32 v[8:9], v[8:9], v[10:11]
	v_add_f64_e32 v[6:7], v[6:7], v[18:19]
	s_and_not1_b32 exec_lo, exec_lo, s19
	s_cbranch_execnz .LBB66_5
; %bb.6:                                ;   in Loop: Header=BB66_3 Depth=1
	s_or_b32 exec_lo, exec_lo, s19
.LBB66_7:                               ;   in Loop: Header=BB66_3 Depth=1
	s_delay_alu instid0(SALU_CYCLE_1)
	s_or_b32 exec_lo, exec_lo, s7
	s_and_saveexec_b32 s2, vcc_lo
; %bb.8:                                ;   in Loop: Header=BB66_3 Depth=1
	v_dual_mov_b32 v3, v2 :: v_dual_mov_b32 v4, v2
	v_mov_b32_e32 v5, v2
	ds_store_b128 v1, v[2:5]
; %bb.9:                                ;   in Loop: Header=BB66_3 Depth=1
	s_or_b32 exec_lo, exec_lo, s2
	ds_bpermute_b32 v4, v12, v8
	ds_bpermute_b32 v5, v12, v9
	;; [unrolled: 1-line block ×4, first 2 shown]
	s_wait_dscnt 0x0
	s_barrier_signal -1
	s_barrier_wait -1
	v_add_f64_e32 v[4:5], v[8:9], v[4:5]
	v_add_f64_e32 v[6:7], v[6:7], v[10:11]
	ds_bpermute_b32 v8, v13, v4
	ds_bpermute_b32 v9, v13, v5
	ds_bpermute_b32 v10, v13, v6
	ds_bpermute_b32 v11, v13, v7
	s_wait_dscnt 0x2
	v_add_f64_e32 v[4:5], v[4:5], v[8:9]
	s_wait_dscnt 0x0
	v_add_f64_e32 v[6:7], v[6:7], v[10:11]
	ds_bpermute_b32 v8, v14, v4
	ds_bpermute_b32 v9, v14, v5
	ds_bpermute_b32 v10, v14, v6
	ds_bpermute_b32 v11, v14, v7
	s_wait_dscnt 0x2
	v_add_f64_e32 v[4:5], v[4:5], v[8:9]
	s_wait_dscnt 0x0
	;; [unrolled: 8-line block ×3, first 2 shown]
	v_add_f64_e32 v[8:9], v[6:7], v[10:11]
	ds_bpermute_b32 v6, v16, v4
	ds_bpermute_b32 v7, v16, v5
	;; [unrolled: 1-line block ×4, first 2 shown]
	s_and_saveexec_b32 s2, s0
	s_cbranch_execz .LBB66_11
; %bb.10:                               ;   in Loop: Header=BB66_3 Depth=1
	s_wait_dscnt 0x0
	v_add_f64_e32 v[8:9], v[8:9], v[10:11]
	v_add_f64_e32 v[6:7], v[4:5], v[6:7]
	ds_store_b128 v17, v[6:9]
.LBB66_11:                              ;   in Loop: Header=BB66_3 Depth=1
	s_or_b32 exec_lo, exec_lo, s2
	s_wait_dscnt 0x2
	v_mov_b64_e32 v[6:7], 0
	v_mov_b64_e32 v[4:5], 0
	s_wait_dscnt 0x0
	s_barrier_signal -1
	s_barrier_wait -1
	s_and_saveexec_b32 s2, vcc_lo
	s_cbranch_execnz .LBB66_14
; %bb.12:                               ;   in Loop: Header=BB66_3 Depth=1
	s_or_b32 exec_lo, exec_lo, s2
	s_and_saveexec_b32 s2, vcc_lo
	s_cbranch_execnz .LBB66_15
.LBB66_13:                              ;   in Loop: Header=BB66_3 Depth=1
	s_or_b32 exec_lo, exec_lo, s2
	s_and_saveexec_b32 s2, s1
	s_cbranch_execz .LBB66_2
	s_branch .LBB66_16
.LBB66_14:                              ;   in Loop: Header=BB66_3 Depth=1
	ds_load_b128 v[4:7], v1
	s_or_b32 exec_lo, exec_lo, s2
	s_and_saveexec_b32 s2, vcc_lo
	s_cbranch_execz .LBB66_13
.LBB66_15:                              ;   in Loop: Header=BB66_3 Depth=1
	s_wait_dscnt 0x0
	ds_bpermute_b32 v8, v12, v4
	ds_bpermute_b32 v9, v12, v5
	ds_bpermute_b32 v10, v12, v6
	ds_bpermute_b32 v11, v12, v7
	s_wait_dscnt 0x2
	v_add_f64_e32 v[4:5], v[4:5], v[8:9]
	s_wait_dscnt 0x0
	v_add_f64_e32 v[6:7], v[6:7], v[10:11]
	ds_bpermute_b32 v8, v13, v4
	ds_bpermute_b32 v9, v13, v5
	ds_bpermute_b32 v10, v13, v6
	ds_bpermute_b32 v11, v13, v7
	s_wait_dscnt 0x2
	v_add_f64_e32 v[4:5], v[4:5], v[8:9]
	s_wait_dscnt 0x0
	v_add_f64_e32 v[6:7], v[6:7], v[10:11]
	;; [unrolled: 8-line block ×5, first 2 shown]
	s_or_b32 exec_lo, exec_lo, s2
	s_and_saveexec_b32 s2, s1
	s_cbranch_execz .LBB66_2
.LBB66_16:                              ;   in Loop: Header=BB66_3 Depth=1
	s_lshl_b64 s[20:21], s[8:9], 4
	s_delay_alu instid0(SALU_CYCLE_1)
	s_add_nc_u64 s[20:21], s[4:5], s[20:21]
	s_wait_dscnt 0x0
	global_store_b128 v2, v[4:7], s[20:21]
	s_branch .LBB66_2
.LBB66_17:
	s_endpgm
	.section	.rodata,"a",@progbits
	.p2align	6, 0x0
	.amdhsa_kernel _ZL24rocblas_dot_kernel_magsqIiLb1ELi1024ELi32ELb1E19rocblas_complex_numIdEPKS1_S1_EviT5_lT_liPT6_PT4_
		.amdhsa_group_segment_fixed_size 512
		.amdhsa_private_segment_fixed_size 0
		.amdhsa_kernarg_size 320
		.amdhsa_user_sgpr_count 2
		.amdhsa_user_sgpr_dispatch_ptr 0
		.amdhsa_user_sgpr_queue_ptr 0
		.amdhsa_user_sgpr_kernarg_segment_ptr 1
		.amdhsa_user_sgpr_dispatch_id 0
		.amdhsa_user_sgpr_kernarg_preload_length 0
		.amdhsa_user_sgpr_kernarg_preload_offset 0
		.amdhsa_user_sgpr_private_segment_size 0
		.amdhsa_wavefront_size32 1
		.amdhsa_uses_dynamic_stack 0
		.amdhsa_enable_private_segment 0
		.amdhsa_system_sgpr_workgroup_id_x 1
		.amdhsa_system_sgpr_workgroup_id_y 0
		.amdhsa_system_sgpr_workgroup_id_z 1
		.amdhsa_system_sgpr_workgroup_info 0
		.amdhsa_system_vgpr_workitem_id 0
		.amdhsa_next_free_vgpr 24
		.amdhsa_next_free_sgpr 22
		.amdhsa_named_barrier_count 0
		.amdhsa_reserve_vcc 1
		.amdhsa_float_round_mode_32 0
		.amdhsa_float_round_mode_16_64 0
		.amdhsa_float_denorm_mode_32 3
		.amdhsa_float_denorm_mode_16_64 3
		.amdhsa_fp16_overflow 0
		.amdhsa_memory_ordered 1
		.amdhsa_forward_progress 1
		.amdhsa_inst_pref_size 10
		.amdhsa_round_robin_scheduling 0
		.amdhsa_exception_fp_ieee_invalid_op 0
		.amdhsa_exception_fp_denorm_src 0
		.amdhsa_exception_fp_ieee_div_zero 0
		.amdhsa_exception_fp_ieee_overflow 0
		.amdhsa_exception_fp_ieee_underflow 0
		.amdhsa_exception_fp_ieee_inexact 0
		.amdhsa_exception_int_div_zero 0
	.end_amdhsa_kernel
	.section	.text._ZL24rocblas_dot_kernel_magsqIiLb1ELi1024ELi32ELb1E19rocblas_complex_numIdEPKS1_S1_EviT5_lT_liPT6_PT4_,"axG",@progbits,_ZL24rocblas_dot_kernel_magsqIiLb1ELi1024ELi32ELb1E19rocblas_complex_numIdEPKS1_S1_EviT5_lT_liPT6_PT4_,comdat
.Lfunc_end66:
	.size	_ZL24rocblas_dot_kernel_magsqIiLb1ELi1024ELi32ELb1E19rocblas_complex_numIdEPKS1_S1_EviT5_lT_liPT6_PT4_, .Lfunc_end66-_ZL24rocblas_dot_kernel_magsqIiLb1ELi1024ELi32ELb1E19rocblas_complex_numIdEPKS1_S1_EviT5_lT_liPT6_PT4_
                                        ; -- End function
	.set _ZL24rocblas_dot_kernel_magsqIiLb1ELi1024ELi32ELb1E19rocblas_complex_numIdEPKS1_S1_EviT5_lT_liPT6_PT4_.num_vgpr, 24
	.set _ZL24rocblas_dot_kernel_magsqIiLb1ELi1024ELi32ELb1E19rocblas_complex_numIdEPKS1_S1_EviT5_lT_liPT6_PT4_.num_agpr, 0
	.set _ZL24rocblas_dot_kernel_magsqIiLb1ELi1024ELi32ELb1E19rocblas_complex_numIdEPKS1_S1_EviT5_lT_liPT6_PT4_.numbered_sgpr, 22
	.set _ZL24rocblas_dot_kernel_magsqIiLb1ELi1024ELi32ELb1E19rocblas_complex_numIdEPKS1_S1_EviT5_lT_liPT6_PT4_.num_named_barrier, 0
	.set _ZL24rocblas_dot_kernel_magsqIiLb1ELi1024ELi32ELb1E19rocblas_complex_numIdEPKS1_S1_EviT5_lT_liPT6_PT4_.private_seg_size, 0
	.set _ZL24rocblas_dot_kernel_magsqIiLb1ELi1024ELi32ELb1E19rocblas_complex_numIdEPKS1_S1_EviT5_lT_liPT6_PT4_.uses_vcc, 1
	.set _ZL24rocblas_dot_kernel_magsqIiLb1ELi1024ELi32ELb1E19rocblas_complex_numIdEPKS1_S1_EviT5_lT_liPT6_PT4_.uses_flat_scratch, 0
	.set _ZL24rocblas_dot_kernel_magsqIiLb1ELi1024ELi32ELb1E19rocblas_complex_numIdEPKS1_S1_EviT5_lT_liPT6_PT4_.has_dyn_sized_stack, 0
	.set _ZL24rocblas_dot_kernel_magsqIiLb1ELi1024ELi32ELb1E19rocblas_complex_numIdEPKS1_S1_EviT5_lT_liPT6_PT4_.has_recursion, 0
	.set _ZL24rocblas_dot_kernel_magsqIiLb1ELi1024ELi32ELb1E19rocblas_complex_numIdEPKS1_S1_EviT5_lT_liPT6_PT4_.has_indirect_call, 0
	.section	.AMDGPU.csdata,"",@progbits
; Kernel info:
; codeLenInByte = 1224
; TotalNumSgprs: 24
; NumVgprs: 24
; ScratchSize: 0
; MemoryBound: 0
; FloatMode: 240
; IeeeMode: 1
; LDSByteSize: 512 bytes/workgroup (compile time only)
; SGPRBlocks: 0
; VGPRBlocks: 1
; NumSGPRsForWavesPerEU: 24
; NumVGPRsForWavesPerEU: 24
; NamedBarCnt: 0
; Occupancy: 16
; WaveLimiterHint : 0
; COMPUTE_PGM_RSRC2:SCRATCH_EN: 0
; COMPUTE_PGM_RSRC2:USER_SGPR: 2
; COMPUTE_PGM_RSRC2:TRAP_HANDLER: 0
; COMPUTE_PGM_RSRC2:TGID_X_EN: 1
; COMPUTE_PGM_RSRC2:TGID_Y_EN: 0
; COMPUTE_PGM_RSRC2:TGID_Z_EN: 1
; COMPUTE_PGM_RSRC2:TIDIG_COMP_CNT: 0
	.section	.text._ZL23rocblas_dot_kernel_inc1ILb0ELi512ELi2ELb1E19rocblas_complex_numIdEPKS1_S1_EviT4_llS4_lliPT5_PT3_,"axG",@progbits,_ZL23rocblas_dot_kernel_inc1ILb0ELi512ELi2ELb1E19rocblas_complex_numIdEPKS1_S1_EviT4_llS4_lliPT5_PT3_,comdat
	.globl	_ZL23rocblas_dot_kernel_inc1ILb0ELi512ELi2ELb1E19rocblas_complex_numIdEPKS1_S1_EviT4_llS4_lliPT5_PT3_ ; -- Begin function _ZL23rocblas_dot_kernel_inc1ILb0ELi512ELi2ELb1E19rocblas_complex_numIdEPKS1_S1_EviT4_llS4_lliPT5_PT3_
	.p2align	8
	.type	_ZL23rocblas_dot_kernel_inc1ILb0ELi512ELi2ELb1E19rocblas_complex_numIdEPKS1_S1_EviT4_llS4_lliPT5_PT3_,@function
_ZL23rocblas_dot_kernel_inc1ILb0ELi512ELi2ELb1E19rocblas_complex_numIdEPKS1_S1_EviT4_llS4_lliPT5_PT3_: ; @_ZL23rocblas_dot_kernel_inc1ILb0ELi512ELi2ELb1E19rocblas_complex_numIdEPKS1_S1_EviT4_llS4_lliPT5_PT3_
; %bb.0:
	s_load_b32 s28, s[0:1], 0x38
	s_bfe_u32 s2, ttmp6, 0x40014
	s_lshr_b32 s3, ttmp7, 16
	s_add_co_i32 s2, s2, 1
	s_bfe_u32 s5, ttmp6, 0x40008
	s_mul_i32 s4, s3, s2
	s_getreg_b32 s2, hwreg(HW_REG_IB_STS2, 6, 4)
	s_add_co_i32 s5, s5, s4
	s_cmp_eq_u32 s2, 0
	s_mov_b32 s17, 0
	s_cselect_b32 s16, s3, s5
	s_wait_kmcnt 0x0
	s_cmp_ge_u32 s16, s28
	s_cbranch_scc1 .LBB67_21
; %bb.1:
	v_mbcnt_lo_u32_b32 v2, -1, 0
	s_clause 0x6
	s_load_b128 s[4:7], s[0:1], 0x10
	s_load_b128 s[8:11], s[0:1], 0x28
	s_load_b64 s[20:21], s[0:1], 0x8
	s_load_b64 s[22:23], s[0:1], 0x20
	s_load_b32 s18, s[0:1], 0x50
	s_load_b128 s[12:15], s[0:1], 0x40
	s_load_b32 s29, s[0:1], 0x0
	s_wait_xcnt 0x0
	s_bfe_u32 s0, ttmp6, 0x4000c
	s_and_b32 s1, ttmp6, 15
	s_add_co_i32 s3, s0, 1
	v_cmp_gt_u32_e32 vcc_lo, 24, v2
	s_mul_i32 s3, ttmp9, s3
	v_and_b32_e32 v1, 31, v0
	s_add_co_i32 s1, s1, s3
	v_cmp_gt_u32_e64 s0, 32, v0
	v_cndmask_b32_e64 v3, 0, 8, vcc_lo
	v_cmp_gt_u32_e32 vcc_lo, 28, v2
	v_lshl_or_b32 v13, v2, 2, 64
	v_cmp_eq_u32_e64 s3, 0, v0
	s_mov_b32 s19, s17
	s_wait_kmcnt 0x0
	s_lshl_b64 s[4:5], s[4:5], 4
	v_cndmask_b32_e64 v4, 0, 4, vcc_lo
	v_cmp_gt_u32_e32 vcc_lo, 30, v2
	s_lshl_b64 s[8:9], s[8:9], 4
	s_cmp_eq_u32 s2, 0
	v_add_lshl_u32 v14, v3, v2, 2
	v_lshrrev_b32_e32 v3, 1, v0
	v_cndmask_b32_e64 v5, 0, 2, vcc_lo
	v_cmp_ne_u32_e32 vcc_lo, 31, v2
	s_add_nc_u64 s[8:9], s[22:23], s[8:9]
	s_cselect_b32 s22, ttmp9, s1
	s_cmp_lg_u32 s18, 1
	s_add_nc_u64 s[4:5], s[20:21], s[4:5]
	v_add_co_ci_u32_e64 v7, null, 0, v2, vcc_lo
	s_cselect_b32 s30, -1, 0
	s_lshl_b32 s20, s18, 9
	s_mov_b32 s23, s17
	v_lshl_or_b32 v6, s22, 9, v0
	v_dual_lshlrev_b32 v12, 4, v1 :: v_dual_lshlrev_b32 v17, 2, v7
	v_add_lshl_u32 v15, v4, v2, 2
	v_add_lshl_u32 v16, v5, v2, 2
	v_cmp_eq_u32_e64 s1, 0, v1
	v_and_b32_e32 v18, 0xf0, v3
	v_cmp_gt_u32_e64 s2, 16, v0
	v_mov_b32_e32 v0, 0
	s_lshl_b64 s[22:23], s[22:23], 4
	s_ashr_i32 s21, s20, 31
	s_add_nc_u64 s[12:13], s[12:13], s[22:23]
	s_lshl_b64 s[22:23], s[20:21], 4
	s_branch .LBB67_4
.LBB67_2:                               ;   in Loop: Header=BB67_4 Depth=1
	s_wait_dscnt 0x0
	global_store_b64 v0, v[4:5], s[24:25] offset:8
.LBB67_3:                               ;   in Loop: Header=BB67_4 Depth=1
	s_wait_xcnt 0x0
	s_or_b32 exec_lo, exec_lo, s21
	s_add_co_i32 s16, s16, 0x10000
	s_delay_alu instid0(SALU_CYCLE_1)
	s_cmp_lt_u32 s16, s28
	s_cbranch_scc0 .LBB67_21
.LBB67_4:                               ; =>This Inner Loop Header: Depth=1
	s_wait_dscnt 0x0
	v_mov_b64_e32 v[4:5], 0
	v_mov_b64_e32 v[8:9], 0
	s_mov_b32 s21, exec_lo
	v_cmpx_gt_i32_e64 s29, v6
	s_cbranch_execz .LBB67_8
; %bb.5:                                ;   in Loop: Header=BB67_4 Depth=1
	s_mul_u64 s[24:25], s[10:11], s[16:17]
	s_mul_u64 s[26:27], s[6:7], s[16:17]
	s_lshl_b64 s[24:25], s[24:25], 4
	s_lshl_b64 s[34:35], s[26:27], 4
	s_add_nc_u64 s[26:27], s[8:9], s[24:25]
	s_add_nc_u64 s[24:25], s[4:5], s[34:35]
	s_clause 0x1
	global_load_b128 v[2:5], v6, s[26:27] scale_offset
	global_load_b128 v[8:11], v6, s[24:25] scale_offset
	s_mov_b32 s31, exec_lo
	v_add_nc_u32_e32 v1, s20, v6
	s_wait_loadcnt 0x0
	v_mul_f64_e32 v[20:21], v[4:5], v[10:11]
	v_mul_f64_e32 v[10:11], v[2:3], v[10:11]
	s_delay_alu instid0(VALU_DEP_2) | instskip(NEXT) | instid1(VALU_DEP_2)
	v_fmac_f64_e32 v[20:21], v[2:3], v[8:9]
	v_fma_f64 v[2:3], v[4:5], v[8:9], -v[10:11]
	s_delay_alu instid0(VALU_DEP_2) | instskip(NEXT) | instid1(VALU_DEP_2)
	v_add_f64_e32 v[4:5], 0, v[20:21]
	v_add_f64_e32 v[8:9], 0, v[2:3]
	s_wait_xcnt 0x0
	v_cmpx_gt_i32_e64 s29, v1
	s_cbranch_execz .LBB67_7
; %bb.6:                                ;   in Loop: Header=BB67_4 Depth=1
	v_dual_ashrrev_i32 v7, 31, v6 :: v_dual_add_nc_u32 v1, s20, v1
	s_delay_alu instid0(VALU_DEP_1) | instskip(NEXT) | instid1(VALU_DEP_1)
	v_lshlrev_b64_e32 v[2:3], 4, v[6:7]
	v_add_nc_u64_e32 v[6:7], s[26:27], v[2:3]
	v_add_nc_u64_e32 v[2:3], s[24:25], v[2:3]
	s_delay_alu instid0(VALU_DEP_2) | instskip(NEXT) | instid1(VALU_DEP_2)
	v_add_nc_u64_e32 v[6:7], s[22:23], v[6:7]
	v_add_nc_u64_e32 v[2:3], s[22:23], v[2:3]
	global_load_b128 v[20:23], v[6:7], off
	global_load_b128 v[24:27], v[2:3], off
	s_wait_loadcnt 0x0
	s_wait_xcnt 0x0
	v_mul_f64_e32 v[2:3], v[20:21], v[26:27]
	v_mul_f64_e32 v[6:7], v[22:23], v[26:27]
	s_delay_alu instid0(VALU_DEP_2) | instskip(NEXT) | instid1(VALU_DEP_2)
	v_fma_f64 v[2:3], v[22:23], v[24:25], -v[2:3]
	v_fmac_f64_e32 v[6:7], v[20:21], v[24:25]
	s_delay_alu instid0(VALU_DEP_2) | instskip(NEXT) | instid1(VALU_DEP_2)
	v_add_f64_e32 v[8:9], v[8:9], v[2:3]
	v_add_f64_e32 v[4:5], v[4:5], v[6:7]
.LBB67_7:                               ;   in Loop: Header=BB67_4 Depth=1
	s_or_b32 exec_lo, exec_lo, s31
	v_mov_b32_e32 v6, v1
.LBB67_8:                               ;   in Loop: Header=BB67_4 Depth=1
	s_or_b32 exec_lo, exec_lo, s21
	s_and_saveexec_b32 s21, s0
; %bb.9:                                ;   in Loop: Header=BB67_4 Depth=1
	v_dual_mov_b32 v1, v0 :: v_dual_mov_b32 v2, v0
	v_mov_b32_e32 v3, v0
	ds_store_b128 v12, v[0:3]
; %bb.10:                               ;   in Loop: Header=BB67_4 Depth=1
	s_or_b32 exec_lo, exec_lo, s21
	ds_bpermute_b32 v2, v13, v4
	ds_bpermute_b32 v3, v13, v5
	;; [unrolled: 1-line block ×4, first 2 shown]
	s_wait_dscnt 0x0
	s_barrier_signal -1
	s_barrier_wait -1
	v_add_f64_e32 v[2:3], v[4:5], v[2:3]
	v_add_f64_e32 v[4:5], v[8:9], v[10:11]
	ds_bpermute_b32 v8, v14, v2
	ds_bpermute_b32 v9, v14, v3
	ds_bpermute_b32 v10, v14, v4
	ds_bpermute_b32 v11, v14, v5
	s_wait_dscnt 0x2
	v_add_f64_e32 v[2:3], v[2:3], v[8:9]
	s_wait_dscnt 0x0
	v_add_f64_e32 v[4:5], v[4:5], v[10:11]
	ds_bpermute_b32 v8, v15, v2
	ds_bpermute_b32 v9, v15, v3
	ds_bpermute_b32 v10, v15, v4
	ds_bpermute_b32 v11, v15, v5
	s_wait_dscnt 0x2
	v_add_f64_e32 v[2:3], v[2:3], v[8:9]
	s_wait_dscnt 0x0
	;; [unrolled: 8-line block ×3, first 2 shown]
	v_add_f64_e32 v[8:9], v[4:5], v[10:11]
	ds_bpermute_b32 v4, v17, v2
	ds_bpermute_b32 v5, v17, v3
	;; [unrolled: 1-line block ×4, first 2 shown]
	s_and_saveexec_b32 s21, s1
	s_cbranch_execz .LBB67_12
; %bb.11:                               ;   in Loop: Header=BB67_4 Depth=1
	s_wait_dscnt 0x0
	v_add_f64_e32 v[10:11], v[8:9], v[10:11]
	v_add_f64_e32 v[8:9], v[2:3], v[4:5]
	ds_store_b128 v18, v[8:11]
.LBB67_12:                              ;   in Loop: Header=BB67_4 Depth=1
	s_or_b32 exec_lo, exec_lo, s21
	s_wait_dscnt 0x2
	v_mov_b64_e32 v[4:5], 0
	v_mov_b64_e32 v[2:3], 0
	s_wait_dscnt 0x0
	s_barrier_signal -1
	s_barrier_wait -1
	s_and_saveexec_b32 s21, s2
	s_cbranch_execnz .LBB67_15
; %bb.13:                               ;   in Loop: Header=BB67_4 Depth=1
	s_or_b32 exec_lo, exec_lo, s21
	s_and_saveexec_b32 s21, s0
	s_cbranch_execnz .LBB67_16
.LBB67_14:                              ;   in Loop: Header=BB67_4 Depth=1
	s_or_b32 exec_lo, exec_lo, s21
	s_and_saveexec_b32 s21, s3
	s_cbranch_execz .LBB67_3
	s_branch .LBB67_17
.LBB67_15:                              ;   in Loop: Header=BB67_4 Depth=1
	ds_load_b128 v[2:5], v12
	s_or_b32 exec_lo, exec_lo, s21
	s_and_saveexec_b32 s21, s0
	s_cbranch_execz .LBB67_14
.LBB67_16:                              ;   in Loop: Header=BB67_4 Depth=1
	s_wait_dscnt 0x0
	ds_bpermute_b32 v8, v14, v2
	ds_bpermute_b32 v9, v14, v3
	ds_bpermute_b32 v10, v14, v4
	ds_bpermute_b32 v11, v14, v5
	s_wait_dscnt 0x2
	v_add_f64_e32 v[2:3], v[2:3], v[8:9]
	s_wait_dscnt 0x0
	v_add_f64_e32 v[4:5], v[4:5], v[10:11]
	ds_bpermute_b32 v8, v15, v2
	ds_bpermute_b32 v9, v15, v3
	ds_bpermute_b32 v10, v15, v4
	ds_bpermute_b32 v11, v15, v5
	s_wait_dscnt 0x2
	v_add_f64_e32 v[2:3], v[2:3], v[8:9]
	s_wait_dscnt 0x0
	v_add_f64_e32 v[4:5], v[4:5], v[10:11]
	;; [unrolled: 8-line block ×4, first 2 shown]
	s_or_b32 exec_lo, exec_lo, s21
	s_and_saveexec_b32 s21, s3
	s_cbranch_execz .LBB67_3
.LBB67_17:                              ;   in Loop: Header=BB67_4 Depth=1
	s_and_b32 vcc_lo, exec_lo, s30
	s_mov_b32 s26, -1
                                        ; implicit-def: $sgpr24_sgpr25
	s_cbranch_vccz .LBB67_19
; %bb.18:                               ;   in Loop: Header=BB67_4 Depth=1
	s_mul_u64 s[24:25], s[18:19], s[16:17]
	s_mov_b32 s26, 0
	s_lshl_b64 s[24:25], s[24:25], 4
	s_delay_alu instid0(SALU_CYCLE_1)
	s_add_nc_u64 s[24:25], s[12:13], s[24:25]
	s_wait_dscnt 0x0
	global_store_b64 v0, v[2:3], s[24:25]
.LBB67_19:                              ;   in Loop: Header=BB67_4 Depth=1
	s_and_not1_b32 vcc_lo, exec_lo, s26
	s_cbranch_vccnz .LBB67_2
; %bb.20:                               ;   in Loop: Header=BB67_4 Depth=1
	s_wait_xcnt 0x0
	s_lshl_b64 s[24:25], s[16:17], 4
	s_delay_alu instid0(SALU_CYCLE_1)
	s_add_nc_u64 s[24:25], s[14:15], s[24:25]
	s_wait_dscnt 0x0
	global_store_b64 v0, v[2:3], s[24:25]
	s_branch .LBB67_2
.LBB67_21:
	s_endpgm
	.section	.rodata,"a",@progbits
	.p2align	6, 0x0
	.amdhsa_kernel _ZL23rocblas_dot_kernel_inc1ILb0ELi512ELi2ELb1E19rocblas_complex_numIdEPKS1_S1_EviT4_llS4_lliPT5_PT3_
		.amdhsa_group_segment_fixed_size 512
		.amdhsa_private_segment_fixed_size 0
		.amdhsa_kernarg_size 336
		.amdhsa_user_sgpr_count 2
		.amdhsa_user_sgpr_dispatch_ptr 0
		.amdhsa_user_sgpr_queue_ptr 0
		.amdhsa_user_sgpr_kernarg_segment_ptr 1
		.amdhsa_user_sgpr_dispatch_id 0
		.amdhsa_user_sgpr_kernarg_preload_length 0
		.amdhsa_user_sgpr_kernarg_preload_offset 0
		.amdhsa_user_sgpr_private_segment_size 0
		.amdhsa_wavefront_size32 1
		.amdhsa_uses_dynamic_stack 0
		.amdhsa_enable_private_segment 0
		.amdhsa_system_sgpr_workgroup_id_x 1
		.amdhsa_system_sgpr_workgroup_id_y 0
		.amdhsa_system_sgpr_workgroup_id_z 1
		.amdhsa_system_sgpr_workgroup_info 0
		.amdhsa_system_vgpr_workitem_id 0
		.amdhsa_next_free_vgpr 28
		.amdhsa_next_free_sgpr 36
		.amdhsa_named_barrier_count 0
		.amdhsa_reserve_vcc 1
		.amdhsa_float_round_mode_32 0
		.amdhsa_float_round_mode_16_64 0
		.amdhsa_float_denorm_mode_32 3
		.amdhsa_float_denorm_mode_16_64 3
		.amdhsa_fp16_overflow 0
		.amdhsa_memory_ordered 1
		.amdhsa_forward_progress 1
		.amdhsa_inst_pref_size 11
		.amdhsa_round_robin_scheduling 0
		.amdhsa_exception_fp_ieee_invalid_op 0
		.amdhsa_exception_fp_denorm_src 0
		.amdhsa_exception_fp_ieee_div_zero 0
		.amdhsa_exception_fp_ieee_overflow 0
		.amdhsa_exception_fp_ieee_underflow 0
		.amdhsa_exception_fp_ieee_inexact 0
		.amdhsa_exception_int_div_zero 0
	.end_amdhsa_kernel
	.section	.text._ZL23rocblas_dot_kernel_inc1ILb0ELi512ELi2ELb1E19rocblas_complex_numIdEPKS1_S1_EviT4_llS4_lliPT5_PT3_,"axG",@progbits,_ZL23rocblas_dot_kernel_inc1ILb0ELi512ELi2ELb1E19rocblas_complex_numIdEPKS1_S1_EviT4_llS4_lliPT5_PT3_,comdat
.Lfunc_end67:
	.size	_ZL23rocblas_dot_kernel_inc1ILb0ELi512ELi2ELb1E19rocblas_complex_numIdEPKS1_S1_EviT4_llS4_lliPT5_PT3_, .Lfunc_end67-_ZL23rocblas_dot_kernel_inc1ILb0ELi512ELi2ELb1E19rocblas_complex_numIdEPKS1_S1_EviT4_llS4_lliPT5_PT3_
                                        ; -- End function
	.set _ZL23rocblas_dot_kernel_inc1ILb0ELi512ELi2ELb1E19rocblas_complex_numIdEPKS1_S1_EviT4_llS4_lliPT5_PT3_.num_vgpr, 28
	.set _ZL23rocblas_dot_kernel_inc1ILb0ELi512ELi2ELb1E19rocblas_complex_numIdEPKS1_S1_EviT4_llS4_lliPT5_PT3_.num_agpr, 0
	.set _ZL23rocblas_dot_kernel_inc1ILb0ELi512ELi2ELb1E19rocblas_complex_numIdEPKS1_S1_EviT4_llS4_lliPT5_PT3_.numbered_sgpr, 36
	.set _ZL23rocblas_dot_kernel_inc1ILb0ELi512ELi2ELb1E19rocblas_complex_numIdEPKS1_S1_EviT4_llS4_lliPT5_PT3_.num_named_barrier, 0
	.set _ZL23rocblas_dot_kernel_inc1ILb0ELi512ELi2ELb1E19rocblas_complex_numIdEPKS1_S1_EviT4_llS4_lliPT5_PT3_.private_seg_size, 0
	.set _ZL23rocblas_dot_kernel_inc1ILb0ELi512ELi2ELb1E19rocblas_complex_numIdEPKS1_S1_EviT4_llS4_lliPT5_PT3_.uses_vcc, 1
	.set _ZL23rocblas_dot_kernel_inc1ILb0ELi512ELi2ELb1E19rocblas_complex_numIdEPKS1_S1_EviT4_llS4_lliPT5_PT3_.uses_flat_scratch, 0
	.set _ZL23rocblas_dot_kernel_inc1ILb0ELi512ELi2ELb1E19rocblas_complex_numIdEPKS1_S1_EviT4_llS4_lliPT5_PT3_.has_dyn_sized_stack, 0
	.set _ZL23rocblas_dot_kernel_inc1ILb0ELi512ELi2ELb1E19rocblas_complex_numIdEPKS1_S1_EviT4_llS4_lliPT5_PT3_.has_recursion, 0
	.set _ZL23rocblas_dot_kernel_inc1ILb0ELi512ELi2ELb1E19rocblas_complex_numIdEPKS1_S1_EviT4_llS4_lliPT5_PT3_.has_indirect_call, 0
	.section	.AMDGPU.csdata,"",@progbits
; Kernel info:
; codeLenInByte = 1364
; TotalNumSgprs: 38
; NumVgprs: 28
; ScratchSize: 0
; MemoryBound: 0
; FloatMode: 240
; IeeeMode: 1
; LDSByteSize: 512 bytes/workgroup (compile time only)
; SGPRBlocks: 0
; VGPRBlocks: 1
; NumSGPRsForWavesPerEU: 38
; NumVGPRsForWavesPerEU: 28
; NamedBarCnt: 0
; Occupancy: 16
; WaveLimiterHint : 0
; COMPUTE_PGM_RSRC2:SCRATCH_EN: 0
; COMPUTE_PGM_RSRC2:USER_SGPR: 2
; COMPUTE_PGM_RSRC2:TRAP_HANDLER: 0
; COMPUTE_PGM_RSRC2:TGID_X_EN: 1
; COMPUTE_PGM_RSRC2:TGID_Y_EN: 0
; COMPUTE_PGM_RSRC2:TGID_Z_EN: 1
; COMPUTE_PGM_RSRC2:TIDIG_COMP_CNT: 0
	.section	.text._ZL18rocblas_dot_kernelIiLb0ELi512ELi2ELb1E19rocblas_complex_numIdEPKS1_S1_EviT5_lT_lS4_lS5_liPT6_PT4_,"axG",@progbits,_ZL18rocblas_dot_kernelIiLb0ELi512ELi2ELb1E19rocblas_complex_numIdEPKS1_S1_EviT5_lT_lS4_lS5_liPT6_PT4_,comdat
	.globl	_ZL18rocblas_dot_kernelIiLb0ELi512ELi2ELb1E19rocblas_complex_numIdEPKS1_S1_EviT5_lT_lS4_lS5_liPT6_PT4_ ; -- Begin function _ZL18rocblas_dot_kernelIiLb0ELi512ELi2ELb1E19rocblas_complex_numIdEPKS1_S1_EviT5_lT_lS4_lS5_liPT6_PT4_
	.p2align	8
	.type	_ZL18rocblas_dot_kernelIiLb0ELi512ELi2ELb1E19rocblas_complex_numIdEPKS1_S1_EviT5_lT_lS4_lS5_liPT6_PT4_,@function
_ZL18rocblas_dot_kernelIiLb0ELi512ELi2ELb1E19rocblas_complex_numIdEPKS1_S1_EviT5_lT_lS4_lS5_liPT6_PT4_: ; @_ZL18rocblas_dot_kernelIiLb0ELi512ELi2ELb1E19rocblas_complex_numIdEPKS1_S1_EviT5_lT_lS4_lS5_liPT6_PT4_
; %bb.0:
	s_load_b32 s28, s[0:1], 0x48
	s_bfe_u32 s2, ttmp6, 0x40014
	s_lshr_b32 s3, ttmp7, 16
	s_add_co_i32 s2, s2, 1
	s_bfe_u32 s5, ttmp6, 0x40008
	s_mul_i32 s4, s3, s2
	s_getreg_b32 s2, hwreg(HW_REG_IB_STS2, 6, 4)
	s_add_co_i32 s5, s5, s4
	s_cmp_eq_u32 s2, 0
	s_mov_b32 s13, 0
	s_cselect_b32 s12, s3, s5
	s_wait_kmcnt 0x0
	s_cmp_ge_u32 s12, s28
	s_cbranch_scc1 .LBB68_21
; %bb.1:
	v_mbcnt_lo_u32_b32 v2, -1, 0
	s_clause 0x7
	s_load_b32 s14, s[0:1], 0x18
	s_load_b96 s[36:38], s[0:1], 0x30
	s_load_b128 s[24:27], s[0:1], 0x8
	s_load_b128 s[4:7], s[0:1], 0x20
	s_load_b32 s16, s[0:1], 0x60
	s_load_b32 s29, s[0:1], 0x0
	s_load_b128 s[8:11], s[0:1], 0x50
	s_load_b64 s[18:19], s[0:1], 0x40
	s_wait_xcnt 0x0
	s_bfe_u32 s0, ttmp6, 0x4000c
	s_and_b32 s1, ttmp6, 15
	s_add_co_i32 s0, s0, 1
	v_cmp_gt_u32_e32 vcc_lo, 24, v2
	s_mul_i32 s0, ttmp9, s0
	v_and_b32_e32 v1, 31, v0
	s_add_co_i32 s3, s1, s0
	v_lshl_or_b32 v13, v2, 2, 64
	v_cndmask_b32_e64 v3, 0, 8, vcc_lo
	v_cmp_gt_u32_e32 vcc_lo, 28, v2
	s_mov_b32 s17, s13
	s_wait_kmcnt 0x0
	s_ashr_i32 s15, s14, 31
	s_ashr_i32 s21, s38, 31
	v_cndmask_b32_e64 v4, 0, 4, vcc_lo
	v_cmp_gt_u32_e32 vcc_lo, 30, v2
	s_lshl_b64 s[0:1], s[26:27], 4
	s_lshl_b64 s[26:27], s[36:37], 4
	v_add_lshl_u32 v14, v3, v2, 2
	v_lshrrev_b32_e32 v3, 1, v0
	v_cndmask_b32_e64 v5, 0, 2, vcc_lo
	v_cmp_ne_u32_e32 vcc_lo, 31, v2
	s_cmp_eq_u32 s2, 0
	s_add_nc_u64 s[22:23], s[24:25], s[0:1]
	s_cselect_b32 s24, ttmp9, s3
	s_cmp_lg_u32 s16, 1
	v_add_co_ci_u32_e64 v7, null, 0, v2, vcc_lo
	s_mov_b32 s25, s13
	v_lshl_or_b32 v6, s24, 9, v0
	v_cmp_gt_u32_e64 s0, 32, v0
	v_dual_lshlrev_b32 v12, 4, v1 :: v_dual_lshlrev_b32 v17, 2, v7
	v_add_lshl_u32 v15, v4, v2, 2
	v_add_lshl_u32 v16, v5, v2, 2
	v_cmp_eq_u32_e64 s1, 0, v1
	v_and_b32_e32 v18, 0xf0, v3
	v_cmp_gt_u32_e64 s2, 16, v0
	v_cmp_eq_u32_e64 s3, 0, v0
	v_mov_b32_e32 v0, 0
	s_cselect_b32 s30, -1, 0
	s_lshl_b64 s[24:25], s[24:25], 4
	s_mov_b32 s20, s38
	s_add_nc_u64 s[6:7], s[6:7], s[26:27]
	s_lshl_b32 s31, s16, 9
	s_add_nc_u64 s[8:9], s[8:9], s[24:25]
	s_branch .LBB68_4
.LBB68_2:                               ;   in Loop: Header=BB68_4 Depth=1
	s_wait_dscnt 0x0
	global_store_b64 v0, v[4:5], s[24:25] offset:8
.LBB68_3:                               ;   in Loop: Header=BB68_4 Depth=1
	s_wait_xcnt 0x0
	s_or_b32 exec_lo, exec_lo, s26
	s_add_co_i32 s12, s12, 0x10000
	s_delay_alu instid0(SALU_CYCLE_1)
	s_cmp_lt_u32 s12, s28
	s_cbranch_scc0 .LBB68_21
.LBB68_4:                               ; =>This Inner Loop Header: Depth=1
	s_wait_dscnt 0x0
	v_mov_b64_e32 v[4:5], 0
	v_mov_b64_e32 v[8:9], 0
	s_mov_b32 s33, exec_lo
	v_cmpx_gt_i32_e64 s29, v6
	s_cbranch_execz .LBB68_8
; %bb.5:                                ;   in Loop: Header=BB68_4 Depth=1
	v_ashrrev_i32_e32 v7, 31, v6
	s_mul_u64 s[24:25], s[18:19], s[12:13]
	s_mul_u64 s[26:27], s[4:5], s[12:13]
	s_lshl_b64 s[24:25], s[24:25], 4
	s_lshl_b64 s[34:35], s[26:27], 4
	v_mul_u64_e32 v[2:3], s[20:21], v[6:7]
	v_mul_u64_e32 v[4:5], s[14:15], v[6:7]
	s_add_nc_u64 s[26:27], s[6:7], s[24:25]
	s_add_nc_u64 s[24:25], s[22:23], s[34:35]
	s_mov_b32 s34, exec_lo
	v_add_nc_u32_e32 v6, s31, v6
	s_delay_alu instid0(VALU_DEP_3) | instskip(NEXT) | instid1(VALU_DEP_3)
	v_lshl_add_u64 v[20:21], v[2:3], 4, s[26:27]
	v_lshl_add_u64 v[22:23], v[4:5], 4, s[24:25]
	global_load_b128 v[2:5], v[20:21], off
	global_load_b128 v[8:11], v[22:23], off
	s_wait_loadcnt 0x0
	s_wait_xcnt 0x1
	v_mul_f64_e32 v[20:21], v[4:5], v[10:11]
	v_mul_f64_e32 v[10:11], v[2:3], v[10:11]
	s_delay_alu instid0(VALU_DEP_2) | instskip(NEXT) | instid1(VALU_DEP_2)
	v_fmac_f64_e32 v[20:21], v[2:3], v[8:9]
	v_fma_f64 v[2:3], v[4:5], v[8:9], -v[10:11]
	s_delay_alu instid0(VALU_DEP_2) | instskip(NEXT) | instid1(VALU_DEP_2)
	v_add_f64_e32 v[4:5], 0, v[20:21]
	v_add_f64_e32 v[8:9], 0, v[2:3]
	s_wait_xcnt 0x0
	v_cmpx_gt_i32_e64 s29, v6
	s_cbranch_execz .LBB68_7
; %bb.6:                                ;   in Loop: Header=BB68_4 Depth=1
	v_ashrrev_i32_e32 v7, 31, v6
	s_delay_alu instid0(VALU_DEP_1) | instskip(SKIP_2) | instid1(VALU_DEP_3)
	v_mul_u64_e32 v[2:3], s[20:21], v[6:7]
	v_mul_u64_e32 v[10:11], s[14:15], v[6:7]
	v_add_nc_u32_e32 v6, s31, v6
	v_lshl_add_u64 v[2:3], v[2:3], 4, s[26:27]
	s_delay_alu instid0(VALU_DEP_3)
	v_lshl_add_u64 v[10:11], v[10:11], 4, s[24:25]
	global_load_b128 v[20:23], v[2:3], off
	global_load_b128 v[24:27], v[10:11], off
	s_wait_loadcnt 0x0
	s_wait_xcnt 0x1
	v_mul_f64_e32 v[2:3], v[20:21], v[26:27]
	s_wait_xcnt 0x0
	v_mul_f64_e32 v[10:11], v[22:23], v[26:27]
	s_delay_alu instid0(VALU_DEP_2) | instskip(NEXT) | instid1(VALU_DEP_2)
	v_fma_f64 v[2:3], v[22:23], v[24:25], -v[2:3]
	v_fmac_f64_e32 v[10:11], v[20:21], v[24:25]
	s_delay_alu instid0(VALU_DEP_2) | instskip(NEXT) | instid1(VALU_DEP_2)
	v_add_f64_e32 v[8:9], v[8:9], v[2:3]
	v_add_f64_e32 v[4:5], v[4:5], v[10:11]
.LBB68_7:                               ;   in Loop: Header=BB68_4 Depth=1
	s_or_b32 exec_lo, exec_lo, s34
.LBB68_8:                               ;   in Loop: Header=BB68_4 Depth=1
	s_delay_alu instid0(SALU_CYCLE_1)
	s_or_b32 exec_lo, exec_lo, s33
	s_and_saveexec_b32 s24, s0
; %bb.9:                                ;   in Loop: Header=BB68_4 Depth=1
	v_dual_mov_b32 v1, v0 :: v_dual_mov_b32 v2, v0
	v_mov_b32_e32 v3, v0
	ds_store_b128 v12, v[0:3]
; %bb.10:                               ;   in Loop: Header=BB68_4 Depth=1
	s_or_b32 exec_lo, exec_lo, s24
	ds_bpermute_b32 v2, v13, v4
	ds_bpermute_b32 v3, v13, v5
	;; [unrolled: 1-line block ×4, first 2 shown]
	s_wait_dscnt 0x0
	s_barrier_signal -1
	s_barrier_wait -1
	v_add_f64_e32 v[2:3], v[4:5], v[2:3]
	v_add_f64_e32 v[4:5], v[8:9], v[10:11]
	ds_bpermute_b32 v8, v14, v2
	ds_bpermute_b32 v9, v14, v3
	ds_bpermute_b32 v10, v14, v4
	ds_bpermute_b32 v11, v14, v5
	s_wait_dscnt 0x2
	v_add_f64_e32 v[2:3], v[2:3], v[8:9]
	s_wait_dscnt 0x0
	v_add_f64_e32 v[4:5], v[4:5], v[10:11]
	ds_bpermute_b32 v8, v15, v2
	ds_bpermute_b32 v9, v15, v3
	ds_bpermute_b32 v10, v15, v4
	ds_bpermute_b32 v11, v15, v5
	s_wait_dscnt 0x2
	v_add_f64_e32 v[2:3], v[2:3], v[8:9]
	s_wait_dscnt 0x0
	v_add_f64_e32 v[4:5], v[4:5], v[10:11]
	ds_bpermute_b32 v8, v16, v2
	ds_bpermute_b32 v9, v16, v3
	ds_bpermute_b32 v10, v16, v4
	ds_bpermute_b32 v11, v16, v5
	s_wait_dscnt 0x2
	v_add_f64_e32 v[2:3], v[2:3], v[8:9]
	s_wait_dscnt 0x0
	v_add_f64_e32 v[8:9], v[4:5], v[10:11]
	ds_bpermute_b32 v4, v17, v2
	ds_bpermute_b32 v5, v17, v3
	;; [unrolled: 1-line block ×4, first 2 shown]
	s_and_saveexec_b32 s24, s1
	s_cbranch_execz .LBB68_12
; %bb.11:                               ;   in Loop: Header=BB68_4 Depth=1
	s_wait_dscnt 0x0
	v_add_f64_e32 v[10:11], v[8:9], v[10:11]
	v_add_f64_e32 v[8:9], v[2:3], v[4:5]
	ds_store_b128 v18, v[8:11]
.LBB68_12:                              ;   in Loop: Header=BB68_4 Depth=1
	s_or_b32 exec_lo, exec_lo, s24
	s_wait_dscnt 0x2
	v_mov_b64_e32 v[4:5], 0
	v_mov_b64_e32 v[2:3], 0
	s_wait_dscnt 0x0
	s_barrier_signal -1
	s_barrier_wait -1
	s_and_saveexec_b32 s24, s2
	s_cbranch_execnz .LBB68_15
; %bb.13:                               ;   in Loop: Header=BB68_4 Depth=1
	s_or_b32 exec_lo, exec_lo, s24
	s_and_saveexec_b32 s24, s0
	s_cbranch_execnz .LBB68_16
.LBB68_14:                              ;   in Loop: Header=BB68_4 Depth=1
	s_or_b32 exec_lo, exec_lo, s24
	s_and_saveexec_b32 s26, s3
	s_cbranch_execz .LBB68_3
	s_branch .LBB68_17
.LBB68_15:                              ;   in Loop: Header=BB68_4 Depth=1
	ds_load_b128 v[2:5], v12
	s_or_b32 exec_lo, exec_lo, s24
	s_and_saveexec_b32 s24, s0
	s_cbranch_execz .LBB68_14
.LBB68_16:                              ;   in Loop: Header=BB68_4 Depth=1
	s_wait_dscnt 0x0
	ds_bpermute_b32 v8, v14, v2
	ds_bpermute_b32 v9, v14, v3
	ds_bpermute_b32 v10, v14, v4
	ds_bpermute_b32 v11, v14, v5
	s_wait_dscnt 0x2
	v_add_f64_e32 v[2:3], v[2:3], v[8:9]
	s_wait_dscnt 0x0
	v_add_f64_e32 v[4:5], v[4:5], v[10:11]
	ds_bpermute_b32 v8, v15, v2
	ds_bpermute_b32 v9, v15, v3
	ds_bpermute_b32 v10, v15, v4
	ds_bpermute_b32 v11, v15, v5
	s_wait_dscnt 0x2
	v_add_f64_e32 v[2:3], v[2:3], v[8:9]
	s_wait_dscnt 0x0
	v_add_f64_e32 v[4:5], v[4:5], v[10:11]
	;; [unrolled: 8-line block ×4, first 2 shown]
	s_or_b32 exec_lo, exec_lo, s24
	s_and_saveexec_b32 s26, s3
	s_cbranch_execz .LBB68_3
.LBB68_17:                              ;   in Loop: Header=BB68_4 Depth=1
	s_and_b32 vcc_lo, exec_lo, s30
	s_mov_b32 s27, -1
                                        ; implicit-def: $sgpr24_sgpr25
	s_cbranch_vccz .LBB68_19
; %bb.18:                               ;   in Loop: Header=BB68_4 Depth=1
	s_mul_u64 s[24:25], s[16:17], s[12:13]
	s_mov_b32 s27, 0
	s_lshl_b64 s[24:25], s[24:25], 4
	s_delay_alu instid0(SALU_CYCLE_1)
	s_add_nc_u64 s[24:25], s[8:9], s[24:25]
	s_wait_dscnt 0x0
	global_store_b64 v0, v[2:3], s[24:25]
.LBB68_19:                              ;   in Loop: Header=BB68_4 Depth=1
	s_and_not1_b32 vcc_lo, exec_lo, s27
	s_cbranch_vccnz .LBB68_2
; %bb.20:                               ;   in Loop: Header=BB68_4 Depth=1
	s_wait_xcnt 0x0
	s_lshl_b64 s[24:25], s[12:13], 4
	s_delay_alu instid0(SALU_CYCLE_1)
	s_add_nc_u64 s[24:25], s[10:11], s[24:25]
	s_wait_dscnt 0x0
	global_store_b64 v0, v[2:3], s[24:25]
	s_branch .LBB68_2
.LBB68_21:
	s_endpgm
	.section	.rodata,"a",@progbits
	.p2align	6, 0x0
	.amdhsa_kernel _ZL18rocblas_dot_kernelIiLb0ELi512ELi2ELb1E19rocblas_complex_numIdEPKS1_S1_EviT5_lT_lS4_lS5_liPT6_PT4_
		.amdhsa_group_segment_fixed_size 512
		.amdhsa_private_segment_fixed_size 0
		.amdhsa_kernarg_size 352
		.amdhsa_user_sgpr_count 2
		.amdhsa_user_sgpr_dispatch_ptr 0
		.amdhsa_user_sgpr_queue_ptr 0
		.amdhsa_user_sgpr_kernarg_segment_ptr 1
		.amdhsa_user_sgpr_dispatch_id 0
		.amdhsa_user_sgpr_kernarg_preload_length 0
		.amdhsa_user_sgpr_kernarg_preload_offset 0
		.amdhsa_user_sgpr_private_segment_size 0
		.amdhsa_wavefront_size32 1
		.amdhsa_uses_dynamic_stack 0
		.amdhsa_enable_private_segment 0
		.amdhsa_system_sgpr_workgroup_id_x 1
		.amdhsa_system_sgpr_workgroup_id_y 0
		.amdhsa_system_sgpr_workgroup_id_z 1
		.amdhsa_system_sgpr_workgroup_info 0
		.amdhsa_system_vgpr_workitem_id 0
		.amdhsa_next_free_vgpr 28
		.amdhsa_next_free_sgpr 39
		.amdhsa_named_barrier_count 0
		.amdhsa_reserve_vcc 1
		.amdhsa_float_round_mode_32 0
		.amdhsa_float_round_mode_16_64 0
		.amdhsa_float_denorm_mode_32 3
		.amdhsa_float_denorm_mode_16_64 3
		.amdhsa_fp16_overflow 0
		.amdhsa_memory_ordered 1
		.amdhsa_forward_progress 1
		.amdhsa_inst_pref_size 12
		.amdhsa_round_robin_scheduling 0
		.amdhsa_exception_fp_ieee_invalid_op 0
		.amdhsa_exception_fp_denorm_src 0
		.amdhsa_exception_fp_ieee_div_zero 0
		.amdhsa_exception_fp_ieee_overflow 0
		.amdhsa_exception_fp_ieee_underflow 0
		.amdhsa_exception_fp_ieee_inexact 0
		.amdhsa_exception_int_div_zero 0
	.end_amdhsa_kernel
	.section	.text._ZL18rocblas_dot_kernelIiLb0ELi512ELi2ELb1E19rocblas_complex_numIdEPKS1_S1_EviT5_lT_lS4_lS5_liPT6_PT4_,"axG",@progbits,_ZL18rocblas_dot_kernelIiLb0ELi512ELi2ELb1E19rocblas_complex_numIdEPKS1_S1_EviT5_lT_lS4_lS5_liPT6_PT4_,comdat
.Lfunc_end68:
	.size	_ZL18rocblas_dot_kernelIiLb0ELi512ELi2ELb1E19rocblas_complex_numIdEPKS1_S1_EviT5_lT_lS4_lS5_liPT6_PT4_, .Lfunc_end68-_ZL18rocblas_dot_kernelIiLb0ELi512ELi2ELb1E19rocblas_complex_numIdEPKS1_S1_EviT5_lT_lS4_lS5_liPT6_PT4_
                                        ; -- End function
	.set _ZL18rocblas_dot_kernelIiLb0ELi512ELi2ELb1E19rocblas_complex_numIdEPKS1_S1_EviT5_lT_lS4_lS5_liPT6_PT4_.num_vgpr, 28
	.set _ZL18rocblas_dot_kernelIiLb0ELi512ELi2ELb1E19rocblas_complex_numIdEPKS1_S1_EviT5_lT_lS4_lS5_liPT6_PT4_.num_agpr, 0
	.set _ZL18rocblas_dot_kernelIiLb0ELi512ELi2ELb1E19rocblas_complex_numIdEPKS1_S1_EviT5_lT_lS4_lS5_liPT6_PT4_.numbered_sgpr, 39
	.set _ZL18rocblas_dot_kernelIiLb0ELi512ELi2ELb1E19rocblas_complex_numIdEPKS1_S1_EviT5_lT_lS4_lS5_liPT6_PT4_.num_named_barrier, 0
	.set _ZL18rocblas_dot_kernelIiLb0ELi512ELi2ELb1E19rocblas_complex_numIdEPKS1_S1_EviT5_lT_lS4_lS5_liPT6_PT4_.private_seg_size, 0
	.set _ZL18rocblas_dot_kernelIiLb0ELi512ELi2ELb1E19rocblas_complex_numIdEPKS1_S1_EviT5_lT_lS4_lS5_liPT6_PT4_.uses_vcc, 1
	.set _ZL18rocblas_dot_kernelIiLb0ELi512ELi2ELb1E19rocblas_complex_numIdEPKS1_S1_EviT5_lT_lS4_lS5_liPT6_PT4_.uses_flat_scratch, 0
	.set _ZL18rocblas_dot_kernelIiLb0ELi512ELi2ELb1E19rocblas_complex_numIdEPKS1_S1_EviT5_lT_lS4_lS5_liPT6_PT4_.has_dyn_sized_stack, 0
	.set _ZL18rocblas_dot_kernelIiLb0ELi512ELi2ELb1E19rocblas_complex_numIdEPKS1_S1_EviT5_lT_lS4_lS5_liPT6_PT4_.has_recursion, 0
	.set _ZL18rocblas_dot_kernelIiLb0ELi512ELi2ELb1E19rocblas_complex_numIdEPKS1_S1_EviT5_lT_lS4_lS5_liPT6_PT4_.has_indirect_call, 0
	.section	.AMDGPU.csdata,"",@progbits
; Kernel info:
; codeLenInByte = 1412
; TotalNumSgprs: 41
; NumVgprs: 28
; ScratchSize: 0
; MemoryBound: 0
; FloatMode: 240
; IeeeMode: 1
; LDSByteSize: 512 bytes/workgroup (compile time only)
; SGPRBlocks: 0
; VGPRBlocks: 1
; NumSGPRsForWavesPerEU: 41
; NumVGPRsForWavesPerEU: 28
; NamedBarCnt: 0
; Occupancy: 16
; WaveLimiterHint : 0
; COMPUTE_PGM_RSRC2:SCRATCH_EN: 0
; COMPUTE_PGM_RSRC2:USER_SGPR: 2
; COMPUTE_PGM_RSRC2:TRAP_HANDLER: 0
; COMPUTE_PGM_RSRC2:TGID_X_EN: 1
; COMPUTE_PGM_RSRC2:TGID_Y_EN: 0
; COMPUTE_PGM_RSRC2:TGID_Z_EN: 1
; COMPUTE_PGM_RSRC2:TIDIG_COMP_CNT: 0
	.section	.text._ZL24rocblas_dot_kernel_magsqIiLb0ELi512ELi2ELb1E19rocblas_complex_numIdEPKS1_S1_EviT5_lT_liPT6_PT4_,"axG",@progbits,_ZL24rocblas_dot_kernel_magsqIiLb0ELi512ELi2ELb1E19rocblas_complex_numIdEPKS1_S1_EviT5_lT_liPT6_PT4_,comdat
	.globl	_ZL24rocblas_dot_kernel_magsqIiLb0ELi512ELi2ELb1E19rocblas_complex_numIdEPKS1_S1_EviT5_lT_liPT6_PT4_ ; -- Begin function _ZL24rocblas_dot_kernel_magsqIiLb0ELi512ELi2ELb1E19rocblas_complex_numIdEPKS1_S1_EviT5_lT_liPT6_PT4_
	.p2align	8
	.type	_ZL24rocblas_dot_kernel_magsqIiLb0ELi512ELi2ELb1E19rocblas_complex_numIdEPKS1_S1_EviT5_lT_liPT6_PT4_,@function
_ZL24rocblas_dot_kernel_magsqIiLb0ELi512ELi2ELb1E19rocblas_complex_numIdEPKS1_S1_EviT5_lT_liPT6_PT4_: ; @_ZL24rocblas_dot_kernel_magsqIiLb0ELi512ELi2ELb1E19rocblas_complex_numIdEPKS1_S1_EviT5_lT_liPT6_PT4_
; %bb.0:
	s_load_b32 s20, s[0:1], 0x28
	s_bfe_u32 s2, ttmp6, 0x40014
	s_lshr_b32 s3, ttmp7, 16
	s_add_co_i32 s2, s2, 1
	s_bfe_u32 s5, ttmp6, 0x40008
	s_mul_i32 s4, s3, s2
	s_getreg_b32 s2, hwreg(HW_REG_IB_STS2, 6, 4)
	s_add_co_i32 s5, s5, s4
	s_cmp_eq_u32 s2, 0
	s_mov_b32 s9, 0
	s_cselect_b32 s8, s3, s5
	s_wait_kmcnt 0x0
	s_cmp_ge_u32 s8, s20
	s_cbranch_scc1 .LBB69_21
; %bb.1:
	v_mbcnt_lo_u32_b32 v2, -1, 0
	s_clause 0x5
	s_load_b32 s10, s[0:1], 0x18
	s_load_b128 s[16:19], s[0:1], 0x8
	s_load_b32 s12, s[0:1], 0x40
	s_load_b128 s[4:7], s[0:1], 0x30
	s_load_b64 s[14:15], s[0:1], 0x20
	s_load_b32 s21, s[0:1], 0x0
	s_wait_xcnt 0x0
	s_bfe_u32 s0, ttmp6, 0x4000c
	s_and_b32 s1, ttmp6, 15
	s_add_co_i32 s3, s0, 1
	v_cmp_gt_u32_e32 vcc_lo, 24, v2
	s_mul_i32 s3, ttmp9, s3
	v_and_b32_e32 v1, 31, v0
	s_add_co_i32 s1, s1, s3
	v_cmp_gt_u32_e64 s0, 32, v0
	v_cndmask_b32_e64 v3, 0, 8, vcc_lo
	v_cmp_gt_u32_e32 vcc_lo, 28, v2
	v_lshl_or_b32 v13, v2, 2, 64
	v_cmp_eq_u32_e64 s3, 0, v0
	s_mov_b32 s13, s9
	v_add_lshl_u32 v14, v3, v2, 2
	v_cndmask_b32_e64 v4, 0, 4, vcc_lo
	v_cmp_gt_u32_e32 vcc_lo, 30, v2
	s_wait_kmcnt 0x0
	s_ashr_i32 s11, s10, 31
	s_lshl_b64 s[18:19], s[18:19], 4
	v_lshrrev_b32_e32 v3, 1, v0
	s_cmp_eq_u32 s2, 0
	v_cndmask_b32_e64 v5, 0, 2, vcc_lo
	v_cmp_ne_u32_e32 vcc_lo, 31, v2
	s_add_nc_u64 s[16:17], s[16:17], s[18:19]
	s_cselect_b32 s18, ttmp9, s1
	s_cmp_lg_u32 s12, 1
	s_mov_b32 s19, s9
	v_add_co_ci_u32_e64 v7, null, 0, v2, vcc_lo
	v_lshlrev_b32_e32 v12, 4, v1
	v_lshl_or_b32 v6, s18, 9, v0
	v_add_lshl_u32 v15, v4, v2, 2
	v_add_lshl_u32 v16, v5, v2, 2
	v_lshlrev_b32_e32 v17, 2, v7
	v_cmp_eq_u32_e64 s1, 0, v1
	v_and_b32_e32 v18, 0xf0, v3
	v_cmp_gt_u32_e64 s2, 16, v0
	v_mov_b32_e32 v0, 0
	s_cselect_b32 s22, -1, 0
	s_lshl_b64 s[18:19], s[18:19], 4
	s_lshl_b32 s23, s12, 9
	s_add_nc_u64 s[4:5], s[4:5], s[18:19]
	s_branch .LBB69_4
.LBB69_2:                               ;   in Loop: Header=BB69_4 Depth=1
	s_wait_dscnt 0x0
	global_store_b64 v0, v[4:5], s[18:19] offset:8
.LBB69_3:                               ;   in Loop: Header=BB69_4 Depth=1
	s_wait_xcnt 0x0
	s_or_b32 exec_lo, exec_lo, s24
	s_add_co_i32 s8, s8, 0x10000
	s_delay_alu instid0(SALU_CYCLE_1)
	s_cmp_lt_u32 s8, s20
	s_cbranch_scc0 .LBB69_21
.LBB69_4:                               ; =>This Inner Loop Header: Depth=1
	s_wait_dscnt 0x0
	v_mov_b64_e32 v[4:5], 0
	v_mov_b64_e32 v[8:9], 0
	s_mov_b32 s24, exec_lo
	v_cmpx_gt_i32_e64 s21, v6
	s_cbranch_execz .LBB69_8
; %bb.5:                                ;   in Loop: Header=BB69_4 Depth=1
	v_ashrrev_i32_e32 v7, 31, v6
	s_mul_u64 s[18:19], s[14:15], s[8:9]
	s_mov_b32 s25, exec_lo
	s_lshl_b64 s[18:19], s[18:19], 4
	s_delay_alu instid0(SALU_CYCLE_1) | instskip(SKIP_2) | instid1(VALU_DEP_2)
	s_add_nc_u64 s[18:19], s[16:17], s[18:19]
	v_mul_u64_e32 v[2:3], s[10:11], v[6:7]
	v_add_nc_u32_e32 v6, s23, v6
	v_lshl_add_u64 v[2:3], v[2:3], 4, s[18:19]
	global_load_b128 v[8:11], v[2:3], off
	s_wait_loadcnt 0x0
	s_wait_xcnt 0x0
	v_mul_f64_e32 v[2:3], v[8:9], v[10:11]
	v_mul_f64_e32 v[4:5], v[10:11], v[10:11]
	s_delay_alu instid0(VALU_DEP_2) | instskip(NEXT) | instid1(VALU_DEP_2)
	v_fma_f64 v[2:3], v[8:9], v[10:11], -v[2:3]
	v_fmac_f64_e32 v[4:5], v[8:9], v[8:9]
	s_delay_alu instid0(VALU_DEP_2)
	v_add_f64_e32 v[8:9], 0, v[2:3]
	v_cmpx_gt_i32_e64 s21, v6
	s_cbranch_execz .LBB69_7
; %bb.6:                                ;   in Loop: Header=BB69_4 Depth=1
	v_ashrrev_i32_e32 v7, 31, v6
	s_delay_alu instid0(VALU_DEP_1) | instskip(SKIP_1) | instid1(VALU_DEP_2)
	v_mul_u64_e32 v[2:3], s[10:11], v[6:7]
	v_add_nc_u32_e32 v6, s23, v6
	v_lshl_add_u64 v[2:3], v[2:3], 4, s[18:19]
	global_load_b128 v[20:23], v[2:3], off
	s_wait_loadcnt 0x0
	s_wait_xcnt 0x0
	v_mul_f64_e32 v[2:3], v[20:21], v[22:23]
	v_mul_f64_e32 v[10:11], v[22:23], v[22:23]
	s_delay_alu instid0(VALU_DEP_2) | instskip(NEXT) | instid1(VALU_DEP_2)
	v_fma_f64 v[2:3], v[20:21], v[22:23], -v[2:3]
	v_fmac_f64_e32 v[10:11], v[20:21], v[20:21]
	s_delay_alu instid0(VALU_DEP_2) | instskip(NEXT) | instid1(VALU_DEP_2)
	v_add_f64_e32 v[8:9], v[8:9], v[2:3]
	v_add_f64_e32 v[4:5], v[4:5], v[10:11]
.LBB69_7:                               ;   in Loop: Header=BB69_4 Depth=1
	s_or_b32 exec_lo, exec_lo, s25
.LBB69_8:                               ;   in Loop: Header=BB69_4 Depth=1
	s_delay_alu instid0(SALU_CYCLE_1)
	s_or_b32 exec_lo, exec_lo, s24
	s_and_saveexec_b32 s18, s0
; %bb.9:                                ;   in Loop: Header=BB69_4 Depth=1
	v_dual_mov_b32 v1, v0 :: v_dual_mov_b32 v2, v0
	v_mov_b32_e32 v3, v0
	ds_store_b128 v12, v[0:3]
; %bb.10:                               ;   in Loop: Header=BB69_4 Depth=1
	s_or_b32 exec_lo, exec_lo, s18
	ds_bpermute_b32 v2, v13, v4
	ds_bpermute_b32 v3, v13, v5
	;; [unrolled: 1-line block ×4, first 2 shown]
	s_wait_dscnt 0x0
	s_barrier_signal -1
	s_barrier_wait -1
	v_add_f64_e32 v[2:3], v[4:5], v[2:3]
	v_add_f64_e32 v[4:5], v[8:9], v[10:11]
	ds_bpermute_b32 v8, v14, v2
	ds_bpermute_b32 v9, v14, v3
	ds_bpermute_b32 v10, v14, v4
	ds_bpermute_b32 v11, v14, v5
	s_wait_dscnt 0x2
	v_add_f64_e32 v[2:3], v[2:3], v[8:9]
	s_wait_dscnt 0x0
	v_add_f64_e32 v[4:5], v[4:5], v[10:11]
	ds_bpermute_b32 v8, v15, v2
	ds_bpermute_b32 v9, v15, v3
	ds_bpermute_b32 v10, v15, v4
	ds_bpermute_b32 v11, v15, v5
	s_wait_dscnt 0x2
	v_add_f64_e32 v[2:3], v[2:3], v[8:9]
	s_wait_dscnt 0x0
	;; [unrolled: 8-line block ×3, first 2 shown]
	v_add_f64_e32 v[8:9], v[4:5], v[10:11]
	ds_bpermute_b32 v4, v17, v2
	ds_bpermute_b32 v5, v17, v3
	;; [unrolled: 1-line block ×4, first 2 shown]
	s_and_saveexec_b32 s18, s1
	s_cbranch_execz .LBB69_12
; %bb.11:                               ;   in Loop: Header=BB69_4 Depth=1
	s_wait_dscnt 0x0
	v_add_f64_e32 v[10:11], v[8:9], v[10:11]
	v_add_f64_e32 v[8:9], v[2:3], v[4:5]
	ds_store_b128 v18, v[8:11]
.LBB69_12:                              ;   in Loop: Header=BB69_4 Depth=1
	s_or_b32 exec_lo, exec_lo, s18
	s_wait_dscnt 0x2
	v_mov_b64_e32 v[4:5], 0
	v_mov_b64_e32 v[2:3], 0
	s_wait_dscnt 0x0
	s_barrier_signal -1
	s_barrier_wait -1
	s_and_saveexec_b32 s18, s2
	s_cbranch_execnz .LBB69_15
; %bb.13:                               ;   in Loop: Header=BB69_4 Depth=1
	s_or_b32 exec_lo, exec_lo, s18
	s_and_saveexec_b32 s18, s0
	s_cbranch_execnz .LBB69_16
.LBB69_14:                              ;   in Loop: Header=BB69_4 Depth=1
	s_or_b32 exec_lo, exec_lo, s18
	s_and_saveexec_b32 s24, s3
	s_cbranch_execz .LBB69_3
	s_branch .LBB69_17
.LBB69_15:                              ;   in Loop: Header=BB69_4 Depth=1
	ds_load_b128 v[2:5], v12
	s_or_b32 exec_lo, exec_lo, s18
	s_and_saveexec_b32 s18, s0
	s_cbranch_execz .LBB69_14
.LBB69_16:                              ;   in Loop: Header=BB69_4 Depth=1
	s_wait_dscnt 0x0
	ds_bpermute_b32 v8, v14, v2
	ds_bpermute_b32 v9, v14, v3
	ds_bpermute_b32 v10, v14, v4
	ds_bpermute_b32 v11, v14, v5
	s_wait_dscnt 0x2
	v_add_f64_e32 v[2:3], v[2:3], v[8:9]
	s_wait_dscnt 0x0
	v_add_f64_e32 v[4:5], v[4:5], v[10:11]
	ds_bpermute_b32 v8, v15, v2
	ds_bpermute_b32 v9, v15, v3
	ds_bpermute_b32 v10, v15, v4
	ds_bpermute_b32 v11, v15, v5
	s_wait_dscnt 0x2
	v_add_f64_e32 v[2:3], v[2:3], v[8:9]
	s_wait_dscnt 0x0
	v_add_f64_e32 v[4:5], v[4:5], v[10:11]
	;; [unrolled: 8-line block ×4, first 2 shown]
	s_or_b32 exec_lo, exec_lo, s18
	s_and_saveexec_b32 s24, s3
	s_cbranch_execz .LBB69_3
.LBB69_17:                              ;   in Loop: Header=BB69_4 Depth=1
	s_and_b32 vcc_lo, exec_lo, s22
	s_mov_b32 s25, -1
                                        ; implicit-def: $sgpr18_sgpr19
	s_cbranch_vccz .LBB69_19
; %bb.18:                               ;   in Loop: Header=BB69_4 Depth=1
	s_mul_u64 s[18:19], s[12:13], s[8:9]
	s_mov_b32 s25, 0
	s_lshl_b64 s[18:19], s[18:19], 4
	s_delay_alu instid0(SALU_CYCLE_1)
	s_add_nc_u64 s[18:19], s[4:5], s[18:19]
	s_wait_dscnt 0x0
	global_store_b64 v0, v[2:3], s[18:19]
.LBB69_19:                              ;   in Loop: Header=BB69_4 Depth=1
	s_and_not1_b32 vcc_lo, exec_lo, s25
	s_cbranch_vccnz .LBB69_2
; %bb.20:                               ;   in Loop: Header=BB69_4 Depth=1
	s_wait_xcnt 0x0
	s_lshl_b64 s[18:19], s[8:9], 4
	s_delay_alu instid0(SALU_CYCLE_1)
	s_add_nc_u64 s[18:19], s[6:7], s[18:19]
	s_wait_dscnt 0x0
	global_store_b64 v0, v[2:3], s[18:19]
	s_branch .LBB69_2
.LBB69_21:
	s_endpgm
	.section	.rodata,"a",@progbits
	.p2align	6, 0x0
	.amdhsa_kernel _ZL24rocblas_dot_kernel_magsqIiLb0ELi512ELi2ELb1E19rocblas_complex_numIdEPKS1_S1_EviT5_lT_liPT6_PT4_
		.amdhsa_group_segment_fixed_size 512
		.amdhsa_private_segment_fixed_size 0
		.amdhsa_kernarg_size 320
		.amdhsa_user_sgpr_count 2
		.amdhsa_user_sgpr_dispatch_ptr 0
		.amdhsa_user_sgpr_queue_ptr 0
		.amdhsa_user_sgpr_kernarg_segment_ptr 1
		.amdhsa_user_sgpr_dispatch_id 0
		.amdhsa_user_sgpr_kernarg_preload_length 0
		.amdhsa_user_sgpr_kernarg_preload_offset 0
		.amdhsa_user_sgpr_private_segment_size 0
		.amdhsa_wavefront_size32 1
		.amdhsa_uses_dynamic_stack 0
		.amdhsa_enable_private_segment 0
		.amdhsa_system_sgpr_workgroup_id_x 1
		.amdhsa_system_sgpr_workgroup_id_y 0
		.amdhsa_system_sgpr_workgroup_id_z 1
		.amdhsa_system_sgpr_workgroup_info 0
		.amdhsa_system_vgpr_workitem_id 0
		.amdhsa_next_free_vgpr 24
		.amdhsa_next_free_sgpr 26
		.amdhsa_named_barrier_count 0
		.amdhsa_reserve_vcc 1
		.amdhsa_float_round_mode_32 0
		.amdhsa_float_round_mode_16_64 0
		.amdhsa_float_denorm_mode_32 3
		.amdhsa_float_denorm_mode_16_64 3
		.amdhsa_fp16_overflow 0
		.amdhsa_memory_ordered 1
		.amdhsa_forward_progress 1
		.amdhsa_inst_pref_size 11
		.amdhsa_round_robin_scheduling 0
		.amdhsa_exception_fp_ieee_invalid_op 0
		.amdhsa_exception_fp_denorm_src 0
		.amdhsa_exception_fp_ieee_div_zero 0
		.amdhsa_exception_fp_ieee_overflow 0
		.amdhsa_exception_fp_ieee_underflow 0
		.amdhsa_exception_fp_ieee_inexact 0
		.amdhsa_exception_int_div_zero 0
	.end_amdhsa_kernel
	.section	.text._ZL24rocblas_dot_kernel_magsqIiLb0ELi512ELi2ELb1E19rocblas_complex_numIdEPKS1_S1_EviT5_lT_liPT6_PT4_,"axG",@progbits,_ZL24rocblas_dot_kernel_magsqIiLb0ELi512ELi2ELb1E19rocblas_complex_numIdEPKS1_S1_EviT5_lT_liPT6_PT4_,comdat
.Lfunc_end69:
	.size	_ZL24rocblas_dot_kernel_magsqIiLb0ELi512ELi2ELb1E19rocblas_complex_numIdEPKS1_S1_EviT5_lT_liPT6_PT4_, .Lfunc_end69-_ZL24rocblas_dot_kernel_magsqIiLb0ELi512ELi2ELb1E19rocblas_complex_numIdEPKS1_S1_EviT5_lT_liPT6_PT4_
                                        ; -- End function
	.set _ZL24rocblas_dot_kernel_magsqIiLb0ELi512ELi2ELb1E19rocblas_complex_numIdEPKS1_S1_EviT5_lT_liPT6_PT4_.num_vgpr, 24
	.set _ZL24rocblas_dot_kernel_magsqIiLb0ELi512ELi2ELb1E19rocblas_complex_numIdEPKS1_S1_EviT5_lT_liPT6_PT4_.num_agpr, 0
	.set _ZL24rocblas_dot_kernel_magsqIiLb0ELi512ELi2ELb1E19rocblas_complex_numIdEPKS1_S1_EviT5_lT_liPT6_PT4_.numbered_sgpr, 26
	.set _ZL24rocblas_dot_kernel_magsqIiLb0ELi512ELi2ELb1E19rocblas_complex_numIdEPKS1_S1_EviT5_lT_liPT6_PT4_.num_named_barrier, 0
	.set _ZL24rocblas_dot_kernel_magsqIiLb0ELi512ELi2ELb1E19rocblas_complex_numIdEPKS1_S1_EviT5_lT_liPT6_PT4_.private_seg_size, 0
	.set _ZL24rocblas_dot_kernel_magsqIiLb0ELi512ELi2ELb1E19rocblas_complex_numIdEPKS1_S1_EviT5_lT_liPT6_PT4_.uses_vcc, 1
	.set _ZL24rocblas_dot_kernel_magsqIiLb0ELi512ELi2ELb1E19rocblas_complex_numIdEPKS1_S1_EviT5_lT_liPT6_PT4_.uses_flat_scratch, 0
	.set _ZL24rocblas_dot_kernel_magsqIiLb0ELi512ELi2ELb1E19rocblas_complex_numIdEPKS1_S1_EviT5_lT_liPT6_PT4_.has_dyn_sized_stack, 0
	.set _ZL24rocblas_dot_kernel_magsqIiLb0ELi512ELi2ELb1E19rocblas_complex_numIdEPKS1_S1_EviT5_lT_liPT6_PT4_.has_recursion, 0
	.set _ZL24rocblas_dot_kernel_magsqIiLb0ELi512ELi2ELb1E19rocblas_complex_numIdEPKS1_S1_EviT5_lT_liPT6_PT4_.has_indirect_call, 0
	.section	.AMDGPU.csdata,"",@progbits
; Kernel info:
; codeLenInByte = 1300
; TotalNumSgprs: 28
; NumVgprs: 24
; ScratchSize: 0
; MemoryBound: 0
; FloatMode: 240
; IeeeMode: 1
; LDSByteSize: 512 bytes/workgroup (compile time only)
; SGPRBlocks: 0
; VGPRBlocks: 1
; NumSGPRsForWavesPerEU: 28
; NumVGPRsForWavesPerEU: 24
; NamedBarCnt: 0
; Occupancy: 16
; WaveLimiterHint : 0
; COMPUTE_PGM_RSRC2:SCRATCH_EN: 0
; COMPUTE_PGM_RSRC2:USER_SGPR: 2
; COMPUTE_PGM_RSRC2:TRAP_HANDLER: 0
; COMPUTE_PGM_RSRC2:TGID_X_EN: 1
; COMPUTE_PGM_RSRC2:TGID_Y_EN: 0
; COMPUTE_PGM_RSRC2:TGID_Z_EN: 1
; COMPUTE_PGM_RSRC2:TIDIG_COMP_CNT: 0
	.section	.text._ZL28rocblas_dot_batched_4_kernelIiLi32ELi4ELb0EDF16_DF16_PKPKDF16_EviT5_lT_lS4_lS5_liPT4_,"axG",@progbits,_ZL28rocblas_dot_batched_4_kernelIiLi32ELi4ELb0EDF16_DF16_PKPKDF16_EviT5_lT_lS4_lS5_liPT4_,comdat
	.globl	_ZL28rocblas_dot_batched_4_kernelIiLi32ELi4ELb0EDF16_DF16_PKPKDF16_EviT5_lT_lS4_lS5_liPT4_ ; -- Begin function _ZL28rocblas_dot_batched_4_kernelIiLi32ELi4ELb0EDF16_DF16_PKPKDF16_EviT5_lT_lS4_lS5_liPT4_
	.p2align	8
	.type	_ZL28rocblas_dot_batched_4_kernelIiLi32ELi4ELb0EDF16_DF16_PKPKDF16_EviT5_lT_lS4_lS5_liPT4_,@function
_ZL28rocblas_dot_batched_4_kernelIiLi32ELi4ELb0EDF16_DF16_PKPKDF16_EviT5_lT_lS4_lS5_liPT4_: ; @_ZL28rocblas_dot_batched_4_kernelIiLi32ELi4ELb0EDF16_DF16_PKPKDF16_EviT5_lT_lS4_lS5_liPT4_
; %bb.0:
	s_load_b32 s2, s[0:1], 0x48
	s_bfe_u32 s3, ttmp6, 0x4000c
	s_and_b32 s4, ttmp6, 15
	s_add_co_i32 s3, s3, 1
	v_bfe_u32 v1, v0, 10, 10
	s_mul_i32 s3, ttmp9, s3
	s_delay_alu instid0(SALU_CYCLE_1) | instskip(SKIP_1) | instid1(SALU_CYCLE_1)
	s_add_co_i32 s4, s4, s3
	s_getreg_b32 s3, hwreg(HW_REG_IB_STS2, 6, 4)
	s_cmp_eq_u32 s3, 0
	s_cselect_b32 s3, ttmp9, s4
	s_delay_alu instid0(SALU_CYCLE_1) | instskip(SKIP_1) | instid1(VALU_DEP_1)
	v_lshl_add_u32 v2, s3, 2, v1
	s_wait_kmcnt 0x0
	v_cmp_gt_u32_e32 vcc_lo, s2, v2
	s_and_saveexec_b32 s2, vcc_lo
	s_cbranch_execz .LBB70_7
; %bb.1:
	s_load_b32 s6, s[0:1], 0x0
	v_mov_b32_e32 v3, 0
	v_and_b32_e32 v0, 0x3ff, v0
	s_mov_b32 s7, exec_lo
	s_delay_alu instid0(VALU_DEP_2) | instskip(SKIP_1) | instid1(VALU_DEP_2)
	v_mov_b32_e32 v1, v3
	s_wait_kmcnt 0x0
	v_cmpx_gt_i32_e64 s6, v0
	s_cbranch_execz .LBB70_5
; %bb.2:
	s_clause 0x1
	s_load_b128 s[8:11], s[0:1], 0x8
	s_load_b128 s[12:15], s[0:1], 0x28
	v_lshlrev_b64_e32 v[4:5], 3, v[2:3]
	s_clause 0x1
	s_load_b32 s2, s[0:1], 0x18
	s_load_b32 s4, s[0:1], 0x38
	v_mov_b32_e32 v1, 0
	s_wait_kmcnt 0x0
	s_delay_alu instid0(VALU_DEP_2)
	v_add_nc_u64_e32 v[6:7], s[8:9], v[4:5]
	v_add_nc_u64_e32 v[4:5], s[12:13], v[4:5]
	s_ashr_i32 s3, s2, 31
	s_lshl_b64 s[8:9], s[10:11], 1
	s_ashr_i32 s5, s4, 31
	s_lshl_b64 s[10:11], s[14:15], 1
	global_load_b64 v[8:9], v[6:7], off
	global_load_b64 v[10:11], v[4:5], off
	s_wait_xcnt 0x0
	v_mul_u64_e32 v[4:5], s[2:3], v[0:1]
	s_lshl_b64 s[2:3], s[2:3], 6
	s_delay_alu instid0(VALU_DEP_1) | instskip(SKIP_2) | instid1(VALU_DEP_1)
	v_lshl_add_u64 v[4:5], v[4:5], 1, s[8:9]
	s_mov_b32 s8, 0
	s_wait_loadcnt 0x1
	v_add_nc_u64_e32 v[4:5], v[8:9], v[4:5]
	v_mov_b32_e32 v8, v0
	v_mul_u64_e32 v[6:7], s[4:5], v[0:1]
	s_lshl_b64 s[4:5], s[4:5], 6
	s_delay_alu instid0(VALU_DEP_1) | instskip(SKIP_1) | instid1(VALU_DEP_1)
	v_lshl_add_u64 v[6:7], v[6:7], 1, s[10:11]
	s_wait_loadcnt 0x0
	v_add_nc_u64_e32 v[6:7], v[10:11], v[6:7]
.LBB70_3:                               ; =>This Inner Loop Header: Depth=1
	flat_load_u16 v9, v[4:5]
	flat_load_u16 v10, v[6:7]
	v_add_nc_u32_e32 v8, 32, v8
	s_wait_xcnt 0x1
	v_add_nc_u64_e32 v[4:5], s[2:3], v[4:5]
	s_wait_xcnt 0x0
	v_add_nc_u64_e32 v[6:7], s[4:5], v[6:7]
	v_cmp_le_i32_e32 vcc_lo, s6, v8
	s_or_b32 s8, vcc_lo, s8
	s_wait_loadcnt_dscnt 0x0
	v_fmac_f16_e32 v1, v9, v10
	s_and_not1_b32 exec_lo, exec_lo, s8
	s_cbranch_execnz .LBB70_3
; %bb.4:
	s_or_b32 exec_lo, exec_lo, s8
.LBB70_5:
	s_delay_alu instid0(SALU_CYCLE_1) | instskip(SKIP_4) | instid1(VALU_DEP_2)
	s_or_b32 exec_lo, exec_lo, s7
	v_mbcnt_lo_u32_b32 v4, -1, 0
	v_and_b32_e32 v5, 0xffff, v1
	s_load_b64 s[0:1], s[0:1], 0x50
	s_barrier_signal -1
	v_lshl_or_b32 v6, v4, 2, 64
	v_cmp_gt_u32_e32 vcc_lo, 24, v4
	s_barrier_wait -1
	ds_bpermute_b32 v5, v6, v5
	v_cndmask_b32_e64 v6, 0, 8, vcc_lo
	v_cmp_gt_u32_e32 vcc_lo, 28, v4
	s_delay_alu instid0(VALU_DEP_2) | instskip(SKIP_2) | instid1(VALU_DEP_1)
	v_add_lshl_u32 v6, v6, v4, 2
	s_wait_dscnt 0x0
	v_add_f16_e32 v1, v1, v5
	v_and_b32_e32 v7, 0xffff, v1
	s_delay_alu instid0(VALU_DEP_1) | instskip(SKIP_3) | instid1(VALU_DEP_2)
	v_and_or_b32 v5, 0xffff0000, v5, v7
	ds_bpermute_b32 v5, v6, v5
	v_cndmask_b32_e64 v6, 0, 4, vcc_lo
	v_cmp_gt_u32_e32 vcc_lo, 30, v4
	v_add_lshl_u32 v6, v6, v4, 2
	s_wait_dscnt 0x0
	v_add_f16_e32 v1, v1, v5
	s_delay_alu instid0(VALU_DEP_1) | instskip(NEXT) | instid1(VALU_DEP_1)
	v_and_b32_e32 v7, 0xffff, v1
	v_and_or_b32 v5, 0xffff0000, v5, v7
	ds_bpermute_b32 v5, v6, v5
	v_cndmask_b32_e64 v6, 0, 2, vcc_lo
	v_cmp_ne_u32_e32 vcc_lo, 31, v4
	s_delay_alu instid0(VALU_DEP_2) | instskip(SKIP_2) | instid1(VALU_DEP_2)
	v_add_lshl_u32 v6, v6, v4, 2
	v_add_co_ci_u32_e64 v4, null, 0, v4, vcc_lo
	v_cmp_eq_u32_e32 vcc_lo, 0, v0
	v_lshlrev_b32_e32 v4, 2, v4
	s_wait_dscnt 0x0
	v_add_f16_e32 v1, v1, v5
	s_delay_alu instid0(VALU_DEP_1) | instskip(NEXT) | instid1(VALU_DEP_1)
	v_and_b32_e32 v7, 0xffff, v1
	v_and_or_b32 v5, 0xffff0000, v5, v7
	ds_bpermute_b32 v5, v6, v5
	s_wait_dscnt 0x0
	v_add_f16_e32 v1, v1, v5
	s_delay_alu instid0(VALU_DEP_1) | instskip(NEXT) | instid1(VALU_DEP_1)
	v_and_b32_e32 v6, 0xffff, v1
	v_and_or_b32 v5, 0xffff0000, v5, v6
	ds_bpermute_b32 v4, v4, v5
	s_and_b32 exec_lo, exec_lo, vcc_lo
	s_cbranch_execz .LBB70_7
; %bb.6:
	s_wait_kmcnt 0x0
	v_lshl_add_u64 v[2:3], v[2:3], 1, s[0:1]
	s_wait_dscnt 0x0
	v_add_f16_e32 v0, v1, v4
	global_store_b16 v[2:3], v0, off
.LBB70_7:
	s_endpgm
	.section	.rodata,"a",@progbits
	.p2align	6, 0x0
	.amdhsa_kernel _ZL28rocblas_dot_batched_4_kernelIiLi32ELi4ELb0EDF16_DF16_PKPKDF16_EviT5_lT_lS4_lS5_liPT4_
		.amdhsa_group_segment_fixed_size 0
		.amdhsa_private_segment_fixed_size 0
		.amdhsa_kernarg_size 88
		.amdhsa_user_sgpr_count 2
		.amdhsa_user_sgpr_dispatch_ptr 0
		.amdhsa_user_sgpr_queue_ptr 0
		.amdhsa_user_sgpr_kernarg_segment_ptr 1
		.amdhsa_user_sgpr_dispatch_id 0
		.amdhsa_user_sgpr_kernarg_preload_length 0
		.amdhsa_user_sgpr_kernarg_preload_offset 0
		.amdhsa_user_sgpr_private_segment_size 0
		.amdhsa_wavefront_size32 1
		.amdhsa_uses_dynamic_stack 0
		.amdhsa_enable_private_segment 0
		.amdhsa_system_sgpr_workgroup_id_x 1
		.amdhsa_system_sgpr_workgroup_id_y 0
		.amdhsa_system_sgpr_workgroup_id_z 0
		.amdhsa_system_sgpr_workgroup_info 0
		.amdhsa_system_vgpr_workitem_id 1
		.amdhsa_next_free_vgpr 12
		.amdhsa_next_free_sgpr 16
		.amdhsa_named_barrier_count 0
		.amdhsa_reserve_vcc 1
		.amdhsa_float_round_mode_32 0
		.amdhsa_float_round_mode_16_64 0
		.amdhsa_float_denorm_mode_32 3
		.amdhsa_float_denorm_mode_16_64 3
		.amdhsa_fp16_overflow 0
		.amdhsa_memory_ordered 1
		.amdhsa_forward_progress 1
		.amdhsa_inst_pref_size 6
		.amdhsa_round_robin_scheduling 0
		.amdhsa_exception_fp_ieee_invalid_op 0
		.amdhsa_exception_fp_denorm_src 0
		.amdhsa_exception_fp_ieee_div_zero 0
		.amdhsa_exception_fp_ieee_overflow 0
		.amdhsa_exception_fp_ieee_underflow 0
		.amdhsa_exception_fp_ieee_inexact 0
		.amdhsa_exception_int_div_zero 0
	.end_amdhsa_kernel
	.section	.text._ZL28rocblas_dot_batched_4_kernelIiLi32ELi4ELb0EDF16_DF16_PKPKDF16_EviT5_lT_lS4_lS5_liPT4_,"axG",@progbits,_ZL28rocblas_dot_batched_4_kernelIiLi32ELi4ELb0EDF16_DF16_PKPKDF16_EviT5_lT_lS4_lS5_liPT4_,comdat
.Lfunc_end70:
	.size	_ZL28rocblas_dot_batched_4_kernelIiLi32ELi4ELb0EDF16_DF16_PKPKDF16_EviT5_lT_lS4_lS5_liPT4_, .Lfunc_end70-_ZL28rocblas_dot_batched_4_kernelIiLi32ELi4ELb0EDF16_DF16_PKPKDF16_EviT5_lT_lS4_lS5_liPT4_
                                        ; -- End function
	.set _ZL28rocblas_dot_batched_4_kernelIiLi32ELi4ELb0EDF16_DF16_PKPKDF16_EviT5_lT_lS4_lS5_liPT4_.num_vgpr, 12
	.set _ZL28rocblas_dot_batched_4_kernelIiLi32ELi4ELb0EDF16_DF16_PKPKDF16_EviT5_lT_lS4_lS5_liPT4_.num_agpr, 0
	.set _ZL28rocblas_dot_batched_4_kernelIiLi32ELi4ELb0EDF16_DF16_PKPKDF16_EviT5_lT_lS4_lS5_liPT4_.numbered_sgpr, 16
	.set _ZL28rocblas_dot_batched_4_kernelIiLi32ELi4ELb0EDF16_DF16_PKPKDF16_EviT5_lT_lS4_lS5_liPT4_.num_named_barrier, 0
	.set _ZL28rocblas_dot_batched_4_kernelIiLi32ELi4ELb0EDF16_DF16_PKPKDF16_EviT5_lT_lS4_lS5_liPT4_.private_seg_size, 0
	.set _ZL28rocblas_dot_batched_4_kernelIiLi32ELi4ELb0EDF16_DF16_PKPKDF16_EviT5_lT_lS4_lS5_liPT4_.uses_vcc, 1
	.set _ZL28rocblas_dot_batched_4_kernelIiLi32ELi4ELb0EDF16_DF16_PKPKDF16_EviT5_lT_lS4_lS5_liPT4_.uses_flat_scratch, 0
	.set _ZL28rocblas_dot_batched_4_kernelIiLi32ELi4ELb0EDF16_DF16_PKPKDF16_EviT5_lT_lS4_lS5_liPT4_.has_dyn_sized_stack, 0
	.set _ZL28rocblas_dot_batched_4_kernelIiLi32ELi4ELb0EDF16_DF16_PKPKDF16_EviT5_lT_lS4_lS5_liPT4_.has_recursion, 0
	.set _ZL28rocblas_dot_batched_4_kernelIiLi32ELi4ELb0EDF16_DF16_PKPKDF16_EviT5_lT_lS4_lS5_liPT4_.has_indirect_call, 0
	.section	.AMDGPU.csdata,"",@progbits
; Kernel info:
; codeLenInByte = 724
; TotalNumSgprs: 18
; NumVgprs: 12
; ScratchSize: 0
; MemoryBound: 0
; FloatMode: 240
; IeeeMode: 1
; LDSByteSize: 0 bytes/workgroup (compile time only)
; SGPRBlocks: 0
; VGPRBlocks: 0
; NumSGPRsForWavesPerEU: 18
; NumVGPRsForWavesPerEU: 12
; NamedBarCnt: 0
; Occupancy: 16
; WaveLimiterHint : 0
; COMPUTE_PGM_RSRC2:SCRATCH_EN: 0
; COMPUTE_PGM_RSRC2:USER_SGPR: 2
; COMPUTE_PGM_RSRC2:TRAP_HANDLER: 0
; COMPUTE_PGM_RSRC2:TGID_X_EN: 1
; COMPUTE_PGM_RSRC2:TGID_Y_EN: 0
; COMPUTE_PGM_RSRC2:TGID_Z_EN: 0
; COMPUTE_PGM_RSRC2:TIDIG_COMP_CNT: 1
	.section	.text._ZL28rocblas_dot_batched_4_kernelIiLi64ELi4ELb0EDF16_DF16_PKPKDF16_EviT5_lT_lS4_lS5_liPT4_,"axG",@progbits,_ZL28rocblas_dot_batched_4_kernelIiLi64ELi4ELb0EDF16_DF16_PKPKDF16_EviT5_lT_lS4_lS5_liPT4_,comdat
	.globl	_ZL28rocblas_dot_batched_4_kernelIiLi64ELi4ELb0EDF16_DF16_PKPKDF16_EviT5_lT_lS4_lS5_liPT4_ ; -- Begin function _ZL28rocblas_dot_batched_4_kernelIiLi64ELi4ELb0EDF16_DF16_PKPKDF16_EviT5_lT_lS4_lS5_liPT4_
	.p2align	8
	.type	_ZL28rocblas_dot_batched_4_kernelIiLi64ELi4ELb0EDF16_DF16_PKPKDF16_EviT5_lT_lS4_lS5_liPT4_,@function
_ZL28rocblas_dot_batched_4_kernelIiLi64ELi4ELb0EDF16_DF16_PKPKDF16_EviT5_lT_lS4_lS5_liPT4_: ; @_ZL28rocblas_dot_batched_4_kernelIiLi64ELi4ELb0EDF16_DF16_PKPKDF16_EviT5_lT_lS4_lS5_liPT4_
; %bb.0:
	s_load_b32 s2, s[0:1], 0x48
	s_bfe_u32 s3, ttmp6, 0x4000c
	s_and_b32 s4, ttmp6, 15
	s_add_co_i32 s3, s3, 1
	v_bfe_u32 v1, v0, 10, 10
	s_mul_i32 s3, ttmp9, s3
	s_delay_alu instid0(SALU_CYCLE_1) | instskip(SKIP_1) | instid1(SALU_CYCLE_1)
	s_add_co_i32 s4, s4, s3
	s_getreg_b32 s3, hwreg(HW_REG_IB_STS2, 6, 4)
	s_cmp_eq_u32 s3, 0
	s_cselect_b32 s3, ttmp9, s4
	s_delay_alu instid0(SALU_CYCLE_1) | instskip(SKIP_1) | instid1(VALU_DEP_1)
	v_lshl_add_u32 v2, s3, 2, v1
	s_wait_kmcnt 0x0
	v_cmp_gt_u32_e32 vcc_lo, s2, v2
	s_and_saveexec_b32 s2, vcc_lo
	s_cbranch_execz .LBB71_7
; %bb.1:
	s_load_b32 s6, s[0:1], 0x0
	v_mov_b32_e32 v3, 0
	v_and_b32_e32 v0, 0x3ff, v0
	s_mov_b32 s7, exec_lo
	s_delay_alu instid0(VALU_DEP_2) | instskip(SKIP_1) | instid1(VALU_DEP_2)
	v_mov_b32_e32 v1, v3
	s_wait_kmcnt 0x0
	v_cmpx_gt_i32_e64 s6, v0
	s_cbranch_execz .LBB71_5
; %bb.2:
	s_clause 0x1
	s_load_b128 s[8:11], s[0:1], 0x8
	s_load_b128 s[12:15], s[0:1], 0x28
	v_lshlrev_b64_e32 v[4:5], 3, v[2:3]
	s_clause 0x1
	s_load_b32 s2, s[0:1], 0x18
	s_load_b32 s4, s[0:1], 0x38
	v_mov_b32_e32 v1, 0
	s_wait_kmcnt 0x0
	s_delay_alu instid0(VALU_DEP_2)
	v_add_nc_u64_e32 v[6:7], s[8:9], v[4:5]
	v_add_nc_u64_e32 v[4:5], s[12:13], v[4:5]
	s_ashr_i32 s3, s2, 31
	s_lshl_b64 s[8:9], s[10:11], 1
	s_ashr_i32 s5, s4, 31
	s_lshl_b64 s[10:11], s[14:15], 1
	global_load_b64 v[8:9], v[6:7], off
	global_load_b64 v[10:11], v[4:5], off
	s_wait_xcnt 0x0
	v_mul_u64_e32 v[4:5], s[2:3], v[0:1]
	s_lshl_b64 s[2:3], s[2:3], 7
	s_delay_alu instid0(VALU_DEP_1) | instskip(SKIP_2) | instid1(VALU_DEP_1)
	v_lshl_add_u64 v[4:5], v[4:5], 1, s[8:9]
	s_mov_b32 s8, 0
	s_wait_loadcnt 0x1
	v_add_nc_u64_e32 v[4:5], v[8:9], v[4:5]
	v_mov_b32_e32 v8, v0
	v_mul_u64_e32 v[6:7], s[4:5], v[0:1]
	s_lshl_b64 s[4:5], s[4:5], 7
	s_delay_alu instid0(VALU_DEP_1) | instskip(SKIP_1) | instid1(VALU_DEP_1)
	v_lshl_add_u64 v[6:7], v[6:7], 1, s[10:11]
	s_wait_loadcnt 0x0
	v_add_nc_u64_e32 v[6:7], v[10:11], v[6:7]
.LBB71_3:                               ; =>This Inner Loop Header: Depth=1
	flat_load_u16 v9, v[4:5]
	flat_load_u16 v10, v[6:7]
	v_add_nc_u32_e32 v8, 64, v8
	s_wait_xcnt 0x1
	v_add_nc_u64_e32 v[4:5], s[2:3], v[4:5]
	s_wait_xcnt 0x0
	v_add_nc_u64_e32 v[6:7], s[4:5], v[6:7]
	v_cmp_le_i32_e32 vcc_lo, s6, v8
	s_or_b32 s8, vcc_lo, s8
	s_wait_loadcnt_dscnt 0x0
	v_fmac_f16_e32 v1, v9, v10
	s_and_not1_b32 exec_lo, exec_lo, s8
	s_cbranch_execnz .LBB71_3
; %bb.4:
	s_or_b32 exec_lo, exec_lo, s8
.LBB71_5:
	s_delay_alu instid0(SALU_CYCLE_1) | instskip(SKIP_4) | instid1(VALU_DEP_2)
	s_or_b32 exec_lo, exec_lo, s7
	v_mbcnt_lo_u32_b32 v4, -1, 0
	v_and_b32_e32 v5, 0xffff, v1
	s_load_b64 s[0:1], s[0:1], 0x50
	s_barrier_signal -1
	v_lshlrev_b32_e32 v6, 2, v4
	v_cmp_gt_u32_e32 vcc_lo, 24, v4
	s_barrier_wait -1
	ds_bpermute_b32 v5, v6, v5
	v_or_b32_e32 v6, 64, v6
	s_wait_dscnt 0x0
	v_add_f16_e32 v1, v1, v5
	s_delay_alu instid0(VALU_DEP_1) | instskip(NEXT) | instid1(VALU_DEP_1)
	v_and_b32_e32 v7, 0xffff, v1
	v_and_or_b32 v5, 0xffff0000, v5, v7
	ds_bpermute_b32 v5, v6, v5
	v_cndmask_b32_e64 v6, 0, 8, vcc_lo
	v_cmp_gt_u32_e32 vcc_lo, 28, v4
	s_delay_alu instid0(VALU_DEP_2) | instskip(SKIP_2) | instid1(VALU_DEP_1)
	v_add_lshl_u32 v6, v6, v4, 2
	s_wait_dscnt 0x0
	v_add_f16_e32 v1, v1, v5
	v_and_b32_e32 v7, 0xffff, v1
	s_delay_alu instid0(VALU_DEP_1) | instskip(SKIP_3) | instid1(VALU_DEP_2)
	v_and_or_b32 v5, 0xffff0000, v5, v7
	ds_bpermute_b32 v5, v6, v5
	v_cndmask_b32_e64 v6, 0, 4, vcc_lo
	v_cmp_gt_u32_e32 vcc_lo, 30, v4
	v_add_lshl_u32 v6, v6, v4, 2
	s_wait_dscnt 0x0
	v_add_f16_e32 v1, v1, v5
	s_delay_alu instid0(VALU_DEP_1) | instskip(NEXT) | instid1(VALU_DEP_1)
	v_and_b32_e32 v7, 0xffff, v1
	v_and_or_b32 v5, 0xffff0000, v5, v7
	ds_bpermute_b32 v5, v6, v5
	v_cndmask_b32_e64 v6, 0, 2, vcc_lo
	v_cmp_ne_u32_e32 vcc_lo, 31, v4
	s_delay_alu instid0(VALU_DEP_2) | instskip(SKIP_2) | instid1(VALU_DEP_2)
	v_add_lshl_u32 v6, v6, v4, 2
	v_add_co_ci_u32_e64 v4, null, 0, v4, vcc_lo
	v_cmp_eq_u32_e32 vcc_lo, 0, v0
	v_lshlrev_b32_e32 v4, 2, v4
	s_wait_dscnt 0x0
	v_add_f16_e32 v1, v1, v5
	s_delay_alu instid0(VALU_DEP_1) | instskip(NEXT) | instid1(VALU_DEP_1)
	v_and_b32_e32 v7, 0xffff, v1
	v_and_or_b32 v5, 0xffff0000, v5, v7
	ds_bpermute_b32 v5, v6, v5
	s_wait_dscnt 0x0
	v_add_f16_e32 v1, v1, v5
	s_delay_alu instid0(VALU_DEP_1) | instskip(NEXT) | instid1(VALU_DEP_1)
	v_and_b32_e32 v6, 0xffff, v1
	v_and_or_b32 v5, 0xffff0000, v5, v6
	ds_bpermute_b32 v4, v4, v5
	s_and_b32 exec_lo, exec_lo, vcc_lo
	s_cbranch_execz .LBB71_7
; %bb.6:
	s_wait_kmcnt 0x0
	v_lshl_add_u64 v[2:3], v[2:3], 1, s[0:1]
	s_wait_dscnt 0x0
	v_add_f16_e32 v0, v1, v4
	global_store_b16 v[2:3], v0, off
.LBB71_7:
	s_endpgm
	.section	.rodata,"a",@progbits
	.p2align	6, 0x0
	.amdhsa_kernel _ZL28rocblas_dot_batched_4_kernelIiLi64ELi4ELb0EDF16_DF16_PKPKDF16_EviT5_lT_lS4_lS5_liPT4_
		.amdhsa_group_segment_fixed_size 0
		.amdhsa_private_segment_fixed_size 0
		.amdhsa_kernarg_size 88
		.amdhsa_user_sgpr_count 2
		.amdhsa_user_sgpr_dispatch_ptr 0
		.amdhsa_user_sgpr_queue_ptr 0
		.amdhsa_user_sgpr_kernarg_segment_ptr 1
		.amdhsa_user_sgpr_dispatch_id 0
		.amdhsa_user_sgpr_kernarg_preload_length 0
		.amdhsa_user_sgpr_kernarg_preload_offset 0
		.amdhsa_user_sgpr_private_segment_size 0
		.amdhsa_wavefront_size32 1
		.amdhsa_uses_dynamic_stack 0
		.amdhsa_enable_private_segment 0
		.amdhsa_system_sgpr_workgroup_id_x 1
		.amdhsa_system_sgpr_workgroup_id_y 0
		.amdhsa_system_sgpr_workgroup_id_z 0
		.amdhsa_system_sgpr_workgroup_info 0
		.amdhsa_system_vgpr_workitem_id 1
		.amdhsa_next_free_vgpr 12
		.amdhsa_next_free_sgpr 16
		.amdhsa_named_barrier_count 0
		.amdhsa_reserve_vcc 1
		.amdhsa_float_round_mode_32 0
		.amdhsa_float_round_mode_16_64 0
		.amdhsa_float_denorm_mode_32 3
		.amdhsa_float_denorm_mode_16_64 3
		.amdhsa_fp16_overflow 0
		.amdhsa_memory_ordered 1
		.amdhsa_forward_progress 1
		.amdhsa_inst_pref_size 6
		.amdhsa_round_robin_scheduling 0
		.amdhsa_exception_fp_ieee_invalid_op 0
		.amdhsa_exception_fp_denorm_src 0
		.amdhsa_exception_fp_ieee_div_zero 0
		.amdhsa_exception_fp_ieee_overflow 0
		.amdhsa_exception_fp_ieee_underflow 0
		.amdhsa_exception_fp_ieee_inexact 0
		.amdhsa_exception_int_div_zero 0
	.end_amdhsa_kernel
	.section	.text._ZL28rocblas_dot_batched_4_kernelIiLi64ELi4ELb0EDF16_DF16_PKPKDF16_EviT5_lT_lS4_lS5_liPT4_,"axG",@progbits,_ZL28rocblas_dot_batched_4_kernelIiLi64ELi4ELb0EDF16_DF16_PKPKDF16_EviT5_lT_lS4_lS5_liPT4_,comdat
.Lfunc_end71:
	.size	_ZL28rocblas_dot_batched_4_kernelIiLi64ELi4ELb0EDF16_DF16_PKPKDF16_EviT5_lT_lS4_lS5_liPT4_, .Lfunc_end71-_ZL28rocblas_dot_batched_4_kernelIiLi64ELi4ELb0EDF16_DF16_PKPKDF16_EviT5_lT_lS4_lS5_liPT4_
                                        ; -- End function
	.set _ZL28rocblas_dot_batched_4_kernelIiLi64ELi4ELb0EDF16_DF16_PKPKDF16_EviT5_lT_lS4_lS5_liPT4_.num_vgpr, 12
	.set _ZL28rocblas_dot_batched_4_kernelIiLi64ELi4ELb0EDF16_DF16_PKPKDF16_EviT5_lT_lS4_lS5_liPT4_.num_agpr, 0
	.set _ZL28rocblas_dot_batched_4_kernelIiLi64ELi4ELb0EDF16_DF16_PKPKDF16_EviT5_lT_lS4_lS5_liPT4_.numbered_sgpr, 16
	.set _ZL28rocblas_dot_batched_4_kernelIiLi64ELi4ELb0EDF16_DF16_PKPKDF16_EviT5_lT_lS4_lS5_liPT4_.num_named_barrier, 0
	.set _ZL28rocblas_dot_batched_4_kernelIiLi64ELi4ELb0EDF16_DF16_PKPKDF16_EviT5_lT_lS4_lS5_liPT4_.private_seg_size, 0
	.set _ZL28rocblas_dot_batched_4_kernelIiLi64ELi4ELb0EDF16_DF16_PKPKDF16_EviT5_lT_lS4_lS5_liPT4_.uses_vcc, 1
	.set _ZL28rocblas_dot_batched_4_kernelIiLi64ELi4ELb0EDF16_DF16_PKPKDF16_EviT5_lT_lS4_lS5_liPT4_.uses_flat_scratch, 0
	.set _ZL28rocblas_dot_batched_4_kernelIiLi64ELi4ELb0EDF16_DF16_PKPKDF16_EviT5_lT_lS4_lS5_liPT4_.has_dyn_sized_stack, 0
	.set _ZL28rocblas_dot_batched_4_kernelIiLi64ELi4ELb0EDF16_DF16_PKPKDF16_EviT5_lT_lS4_lS5_liPT4_.has_recursion, 0
	.set _ZL28rocblas_dot_batched_4_kernelIiLi64ELi4ELb0EDF16_DF16_PKPKDF16_EviT5_lT_lS4_lS5_liPT4_.has_indirect_call, 0
	.section	.AMDGPU.csdata,"",@progbits
; Kernel info:
; codeLenInByte = 764
; TotalNumSgprs: 18
; NumVgprs: 12
; ScratchSize: 0
; MemoryBound: 0
; FloatMode: 240
; IeeeMode: 1
; LDSByteSize: 0 bytes/workgroup (compile time only)
; SGPRBlocks: 0
; VGPRBlocks: 0
; NumSGPRsForWavesPerEU: 18
; NumVGPRsForWavesPerEU: 12
; NamedBarCnt: 0
; Occupancy: 16
; WaveLimiterHint : 0
; COMPUTE_PGM_RSRC2:SCRATCH_EN: 0
; COMPUTE_PGM_RSRC2:USER_SGPR: 2
; COMPUTE_PGM_RSRC2:TRAP_HANDLER: 0
; COMPUTE_PGM_RSRC2:TGID_X_EN: 1
; COMPUTE_PGM_RSRC2:TGID_Y_EN: 0
; COMPUTE_PGM_RSRC2:TGID_Z_EN: 0
; COMPUTE_PGM_RSRC2:TIDIG_COMP_CNT: 1
	.section	.text._ZL26rocblas_dot_kernel_inc1by2ILb1ELi1024ELi32ELb0EDF16_PKPKDF16_DF16_EviT4_llS4_lliPT5_PT3_,"axG",@progbits,_ZL26rocblas_dot_kernel_inc1by2ILb1ELi1024ELi32ELb0EDF16_PKPKDF16_DF16_EviT4_llS4_lliPT5_PT3_,comdat
	.globl	_ZL26rocblas_dot_kernel_inc1by2ILb1ELi1024ELi32ELb0EDF16_PKPKDF16_DF16_EviT4_llS4_lliPT5_PT3_ ; -- Begin function _ZL26rocblas_dot_kernel_inc1by2ILb1ELi1024ELi32ELb0EDF16_PKPKDF16_DF16_EviT4_llS4_lliPT5_PT3_
	.p2align	8
	.type	_ZL26rocblas_dot_kernel_inc1by2ILb1ELi1024ELi32ELb0EDF16_PKPKDF16_DF16_EviT4_llS4_lliPT5_PT3_,@function
_ZL26rocblas_dot_kernel_inc1by2ILb1ELi1024ELi32ELb0EDF16_PKPKDF16_DF16_EviT4_llS4_lliPT5_PT3_: ; @_ZL26rocblas_dot_kernel_inc1by2ILb1ELi1024ELi32ELb0EDF16_PKPKDF16_DF16_EviT4_llS4_lliPT5_PT3_
; %bb.0:
	s_load_b32 s3, s[0:1], 0x38
	s_bfe_u32 s2, ttmp6, 0x40014
	s_lshr_b32 s4, ttmp7, 16
	s_add_co_i32 s2, s2, 1
	s_bfe_u32 s5, ttmp6, 0x40008
	s_mul_i32 s2, s4, s2
	s_getreg_b32 s6, hwreg(HW_REG_IB_STS2, 6, 4)
	s_add_co_i32 s5, s5, s2
	s_cmp_eq_u32 s6, 0
	s_mov_b32 s13, 0
	s_cselect_b32 s12, s4, s5
	s_wait_kmcnt 0x0
	s_cmp_ge_u32 s12, s3
	s_cbranch_scc1 .LBB72_19
; %bb.1:
	v_mbcnt_lo_u32_b32 v2, -1, 0
	s_clause 0x3
	s_load_b32 s16, s[0:1], 0x0
	s_load_b128 s[4:7], s[0:1], 0x8
	s_load_b64 s[14:15], s[0:1], 0x48
	s_load_b128 s[8:11], s[0:1], 0x20
	v_dual_lshrrev_b32 v3, 4, v0 :: v_dual_bitop2_b32 v1, 31, v0 bitop3:0x40
	s_wait_xcnt 0x0
	v_cmp_gt_u32_e64 s0, 24, v2
	v_lshl_or_b32 v7, v2, 2, 64
	v_cmp_eq_u32_e64 s1, 0, v0
	v_dual_mov_b32 v13, 0 :: v_dual_bitop2_b32 v12, 62, v3 bitop3:0x40
	s_delay_alu instid0(VALU_DEP_4) | instskip(SKIP_2) | instid1(VALU_DEP_3)
	v_cndmask_b32_e64 v4, 0, 8, s0
	v_cmp_gt_u32_e64 s0, 28, v2
	v_cmp_gt_u32_e32 vcc_lo, 32, v0
	v_add_lshl_u32 v8, v4, v2, 2
	s_delay_alu instid0(VALU_DEP_3)
	v_cndmask_b32_e64 v5, 0, 4, s0
	v_cmp_gt_u32_e64 s0, 30, v2
	s_wait_kmcnt 0x0
	s_ashr_i32 s17, s16, 31
	s_add_co_i32 s22, s16, -1
	v_cndmask_b32_e64 v10, 0, 2, s0
	v_cmp_ne_u32_e64 s0, 31, v2
	v_add_lshl_u32 v9, v5, v2, 2
	s_bitcmp1_b32 s16, 0
	v_add_lshl_u32 v10, v10, v2, 2
	v_add_co_ci_u32_e64 v11, null, 0, v2, s0
	v_lshlrev_b32_e32 v6, 1, v1
	v_cmp_eq_u32_e64 s0, 0, v1
	s_cselect_b32 s23, -1, 0
	v_lshlrev_b32_e32 v11, 2, v11
	s_lshl_b64 s[6:7], s[6:7], 1
	s_lshl_b64 s[10:11], s[10:11], 1
	;; [unrolled: 1-line block ×3, first 2 shown]
	s_branch .LBB72_3
.LBB72_2:                               ;   in Loop: Header=BB72_3 Depth=1
	s_wait_xcnt 0x0
	s_or_b32 exec_lo, exec_lo, s2
	s_add_co_i32 s12, s12, 0x10000
	s_delay_alu instid0(SALU_CYCLE_1)
	s_cmp_lt_u32 s12, s3
	s_cbranch_scc0 .LBB72_19
.LBB72_3:                               ; =>This Loop Header: Depth=1
                                        ;     Child Loop BB72_5 Depth 2
	s_load_b64 s[18:19], s[4:5], s12 offset:0x0 scale_offset
	s_load_b64 s[20:21], s[8:9], s12 offset:0x0 scale_offset
	s_wait_dscnt 0x0
	v_dual_mov_b32 v1, 0 :: v_dual_lshlrev_b32 v0, 1, v0
	s_mov_b32 s24, exec_lo
	s_wait_kmcnt 0x0
	s_add_nc_u64 s[18:19], s[18:19], s[6:7]
	s_add_nc_u64 s[20:21], s[20:21], s[10:11]
	v_cmpx_gt_i32_e64 s22, v0
	s_cbranch_execz .LBB72_7
; %bb.4:                                ;   in Loop: Header=BB72_3 Depth=1
	v_ashrrev_i32_e32 v1, 31, v0
	s_mov_b32 s25, 0
	s_mov_b32 s2, 0
	s_delay_alu instid0(VALU_DEP_1) | instskip(SKIP_1) | instid1(VALU_DEP_2)
	v_lshlrev_b64_e32 v[4:5], 1, v[0:1]
	v_mov_b32_e32 v1, 0
	v_add_nc_u64_e32 v[2:3], s[18:19], v[4:5]
	v_add_nc_u64_e32 v[4:5], s[20:21], v[4:5]
.LBB72_5:                               ;   Parent Loop BB72_3 Depth=1
                                        ; =>  This Inner Loop Header: Depth=2
	flat_load_b32 v14, v[4:5]
	flat_load_b32 v15, v[2:3]
	v_add_nc_u32_e32 v0, 0x800, v0
	s_add_co_i32 s26, s2, 1
	s_cmp_gt_u32 s2, 30
	s_wait_xcnt 0x0
	v_add_nc_u64_e32 v[2:3], 0x1000, v[2:3]
	s_cselect_b32 s27, -1, 0
	v_cmp_le_i32_e64 s2, s22, v0
	v_add_nc_u64_e32 v[4:5], 0x1000, v[4:5]
	s_or_b32 s2, s27, s2
	s_delay_alu instid0(SALU_CYCLE_1) | instskip(NEXT) | instid1(SALU_CYCLE_1)
	s_and_b32 s2, exec_lo, s2
	s_or_b32 s25, s2, s25
	s_mov_b32 s2, s26
	s_wait_loadcnt_dscnt 0x0
	v_pk_mul_f16 v14, v14, v15
	s_delay_alu instid0(VALU_DEP_1) | instskip(SKIP_1) | instid1(VALU_DEP_1)
	v_add_f16_e32 v1, v1, v14
	v_lshrrev_b32_e32 v14, 16, v14
	v_add_f16_e32 v1, v1, v14
	s_and_not1_b32 exec_lo, exec_lo, s25
	s_cbranch_execnz .LBB72_5
; %bb.6:                                ;   in Loop: Header=BB72_3 Depth=1
	s_or_b32 exec_lo, exec_lo, s25
.LBB72_7:                               ;   in Loop: Header=BB72_3 Depth=1
	s_delay_alu instid0(SALU_CYCLE_1) | instskip(SKIP_2) | instid1(SALU_CYCLE_1)
	s_or_b32 exec_lo, exec_lo, s24
	v_cmp_eq_u32_e64 s2, s22, v0
	s_and_b32 s24, s23, s2
	s_and_saveexec_b32 s2, s24
	s_cbranch_execz .LBB72_9
; %bb.8:                                ;   in Loop: Header=BB72_3 Depth=1
	s_add_nc_u64 s[20:21], s[20:21], s[16:17]
	s_add_nc_u64 s[18:19], s[18:19], s[16:17]
	s_clause 0x1
	flat_load_u16 v2, v13, s[20:21] offset:-2
	flat_load_u16 v3, v13, s[18:19] offset:-2
	s_wait_loadcnt_dscnt 0x0
	v_fmac_f16_e32 v1, v2, v3
.LBB72_9:                               ;   in Loop: Header=BB72_3 Depth=1
	s_wait_xcnt 0x0
	s_or_b32 exec_lo, exec_lo, s2
	s_and_saveexec_b32 s2, vcc_lo
; %bb.10:                               ;   in Loop: Header=BB72_3 Depth=1
	ds_store_b16 v6, v13
; %bb.11:                               ;   in Loop: Header=BB72_3 Depth=1
	s_or_b32 exec_lo, exec_lo, s2
	v_and_b32_e32 v2, 0xffff, v1
	s_wait_dscnt 0x0
	s_barrier_signal -1
	s_barrier_wait -1
	ds_bpermute_b32 v2, v7, v2
	s_wait_dscnt 0x0
	v_add_f16_e32 v1, v1, v2
	s_delay_alu instid0(VALU_DEP_1) | instskip(NEXT) | instid1(VALU_DEP_1)
	v_and_b32_e32 v3, 0xffff, v1
	v_and_or_b32 v2, 0xffff0000, v2, v3
	ds_bpermute_b32 v2, v8, v2
	s_wait_dscnt 0x0
	v_add_f16_e32 v1, v1, v2
	s_delay_alu instid0(VALU_DEP_1) | instskip(NEXT) | instid1(VALU_DEP_1)
	v_and_b32_e32 v3, 0xffff, v1
	v_and_or_b32 v2, 0xffff0000, v2, v3
	;; [unrolled: 6-line block ×4, first 2 shown]
	ds_bpermute_b32 v2, v11, v2
	s_and_saveexec_b32 s2, s0
	s_cbranch_execz .LBB72_13
; %bb.12:                               ;   in Loop: Header=BB72_3 Depth=1
	s_wait_dscnt 0x0
	v_add_f16_e32 v1, v1, v2
	ds_store_b16 v12, v1
.LBB72_13:                              ;   in Loop: Header=BB72_3 Depth=1
	s_or_b32 exec_lo, exec_lo, s2
	v_mov_b32_e32 v1, 0
	s_wait_dscnt 0x0
	s_barrier_signal -1
	s_barrier_wait -1
	s_and_saveexec_b32 s2, vcc_lo
	s_cbranch_execnz .LBB72_16
; %bb.14:                               ;   in Loop: Header=BB72_3 Depth=1
	s_or_b32 exec_lo, exec_lo, s2
	s_and_saveexec_b32 s2, vcc_lo
	s_cbranch_execnz .LBB72_17
.LBB72_15:                              ;   in Loop: Header=BB72_3 Depth=1
	s_or_b32 exec_lo, exec_lo, s2
	s_and_saveexec_b32 s2, s1
	s_cbranch_execz .LBB72_2
	s_branch .LBB72_18
.LBB72_16:                              ;   in Loop: Header=BB72_3 Depth=1
	ds_load_u16 v1, v6
	s_or_b32 exec_lo, exec_lo, s2
	s_and_saveexec_b32 s2, vcc_lo
	s_cbranch_execz .LBB72_15
.LBB72_17:                              ;   in Loop: Header=BB72_3 Depth=1
	s_wait_dscnt 0x0
	v_and_b32_e32 v2, 0xffff, v1
	ds_bpermute_b32 v2, v7, v2
	s_wait_dscnt 0x0
	v_add_f16_e32 v1, v1, v2
	s_delay_alu instid0(VALU_DEP_1) | instskip(NEXT) | instid1(VALU_DEP_1)
	v_and_b32_e32 v3, 0xffff, v1
	v_and_or_b32 v2, 0xffff0000, v2, v3
	ds_bpermute_b32 v2, v8, v2
	s_wait_dscnt 0x0
	v_add_f16_e32 v1, v1, v2
	s_delay_alu instid0(VALU_DEP_1) | instskip(NEXT) | instid1(VALU_DEP_1)
	v_and_b32_e32 v3, 0xffff, v1
	v_and_or_b32 v2, 0xffff0000, v2, v3
	;; [unrolled: 6-line block ×4, first 2 shown]
	ds_bpermute_b32 v2, v11, v2
	s_wait_dscnt 0x0
	v_add_f16_e32 v1, v1, v2
	s_or_b32 exec_lo, exec_lo, s2
	s_and_saveexec_b32 s2, s1
	s_cbranch_execz .LBB72_2
.LBB72_18:                              ;   in Loop: Header=BB72_3 Depth=1
	s_lshl_b64 s[18:19], s[12:13], 1
	s_delay_alu instid0(SALU_CYCLE_1)
	s_add_nc_u64 s[18:19], s[14:15], s[18:19]
	s_wait_dscnt 0x0
	global_store_b16 v13, v1, s[18:19]
	s_branch .LBB72_2
.LBB72_19:
	s_endpgm
	.section	.rodata,"a",@progbits
	.p2align	6, 0x0
	.amdhsa_kernel _ZL26rocblas_dot_kernel_inc1by2ILb1ELi1024ELi32ELb0EDF16_PKPKDF16_DF16_EviT4_llS4_lliPT5_PT3_
		.amdhsa_group_segment_fixed_size 64
		.amdhsa_private_segment_fixed_size 0
		.amdhsa_kernarg_size 80
		.amdhsa_user_sgpr_count 2
		.amdhsa_user_sgpr_dispatch_ptr 0
		.amdhsa_user_sgpr_queue_ptr 0
		.amdhsa_user_sgpr_kernarg_segment_ptr 1
		.amdhsa_user_sgpr_dispatch_id 0
		.amdhsa_user_sgpr_kernarg_preload_length 0
		.amdhsa_user_sgpr_kernarg_preload_offset 0
		.amdhsa_user_sgpr_private_segment_size 0
		.amdhsa_wavefront_size32 1
		.amdhsa_uses_dynamic_stack 0
		.amdhsa_enable_private_segment 0
		.amdhsa_system_sgpr_workgroup_id_x 1
		.amdhsa_system_sgpr_workgroup_id_y 0
		.amdhsa_system_sgpr_workgroup_id_z 1
		.amdhsa_system_sgpr_workgroup_info 0
		.amdhsa_system_vgpr_workitem_id 0
		.amdhsa_next_free_vgpr 16
		.amdhsa_next_free_sgpr 28
		.amdhsa_named_barrier_count 0
		.amdhsa_reserve_vcc 1
		.amdhsa_float_round_mode_32 0
		.amdhsa_float_round_mode_16_64 0
		.amdhsa_float_denorm_mode_32 3
		.amdhsa_float_denorm_mode_16_64 3
		.amdhsa_fp16_overflow 0
		.amdhsa_memory_ordered 1
		.amdhsa_forward_progress 1
		.amdhsa_inst_pref_size 10
		.amdhsa_round_robin_scheduling 0
		.amdhsa_exception_fp_ieee_invalid_op 0
		.amdhsa_exception_fp_denorm_src 0
		.amdhsa_exception_fp_ieee_div_zero 0
		.amdhsa_exception_fp_ieee_overflow 0
		.amdhsa_exception_fp_ieee_underflow 0
		.amdhsa_exception_fp_ieee_inexact 0
		.amdhsa_exception_int_div_zero 0
	.end_amdhsa_kernel
	.section	.text._ZL26rocblas_dot_kernel_inc1by2ILb1ELi1024ELi32ELb0EDF16_PKPKDF16_DF16_EviT4_llS4_lliPT5_PT3_,"axG",@progbits,_ZL26rocblas_dot_kernel_inc1by2ILb1ELi1024ELi32ELb0EDF16_PKPKDF16_DF16_EviT4_llS4_lliPT5_PT3_,comdat
.Lfunc_end72:
	.size	_ZL26rocblas_dot_kernel_inc1by2ILb1ELi1024ELi32ELb0EDF16_PKPKDF16_DF16_EviT4_llS4_lliPT5_PT3_, .Lfunc_end72-_ZL26rocblas_dot_kernel_inc1by2ILb1ELi1024ELi32ELb0EDF16_PKPKDF16_DF16_EviT4_llS4_lliPT5_PT3_
                                        ; -- End function
	.set _ZL26rocblas_dot_kernel_inc1by2ILb1ELi1024ELi32ELb0EDF16_PKPKDF16_DF16_EviT4_llS4_lliPT5_PT3_.num_vgpr, 16
	.set _ZL26rocblas_dot_kernel_inc1by2ILb1ELi1024ELi32ELb0EDF16_PKPKDF16_DF16_EviT4_llS4_lliPT5_PT3_.num_agpr, 0
	.set _ZL26rocblas_dot_kernel_inc1by2ILb1ELi1024ELi32ELb0EDF16_PKPKDF16_DF16_EviT4_llS4_lliPT5_PT3_.numbered_sgpr, 28
	.set _ZL26rocblas_dot_kernel_inc1by2ILb1ELi1024ELi32ELb0EDF16_PKPKDF16_DF16_EviT4_llS4_lliPT5_PT3_.num_named_barrier, 0
	.set _ZL26rocblas_dot_kernel_inc1by2ILb1ELi1024ELi32ELb0EDF16_PKPKDF16_DF16_EviT4_llS4_lliPT5_PT3_.private_seg_size, 0
	.set _ZL26rocblas_dot_kernel_inc1by2ILb1ELi1024ELi32ELb0EDF16_PKPKDF16_DF16_EviT4_llS4_lliPT5_PT3_.uses_vcc, 1
	.set _ZL26rocblas_dot_kernel_inc1by2ILb1ELi1024ELi32ELb0EDF16_PKPKDF16_DF16_EviT4_llS4_lliPT5_PT3_.uses_flat_scratch, 1
	.set _ZL26rocblas_dot_kernel_inc1by2ILb1ELi1024ELi32ELb0EDF16_PKPKDF16_DF16_EviT4_llS4_lliPT5_PT3_.has_dyn_sized_stack, 0
	.set _ZL26rocblas_dot_kernel_inc1by2ILb1ELi1024ELi32ELb0EDF16_PKPKDF16_DF16_EviT4_llS4_lliPT5_PT3_.has_recursion, 0
	.set _ZL26rocblas_dot_kernel_inc1by2ILb1ELi1024ELi32ELb0EDF16_PKPKDF16_DF16_EviT4_llS4_lliPT5_PT3_.has_indirect_call, 0
	.section	.AMDGPU.csdata,"",@progbits
; Kernel info:
; codeLenInByte = 1176
; TotalNumSgprs: 30
; NumVgprs: 16
; ScratchSize: 0
; MemoryBound: 0
; FloatMode: 240
; IeeeMode: 1
; LDSByteSize: 64 bytes/workgroup (compile time only)
; SGPRBlocks: 0
; VGPRBlocks: 0
; NumSGPRsForWavesPerEU: 30
; NumVGPRsForWavesPerEU: 16
; NamedBarCnt: 0
; Occupancy: 16
; WaveLimiterHint : 1
; COMPUTE_PGM_RSRC2:SCRATCH_EN: 0
; COMPUTE_PGM_RSRC2:USER_SGPR: 2
; COMPUTE_PGM_RSRC2:TRAP_HANDLER: 0
; COMPUTE_PGM_RSRC2:TGID_X_EN: 1
; COMPUTE_PGM_RSRC2:TGID_Y_EN: 0
; COMPUTE_PGM_RSRC2:TGID_Z_EN: 1
; COMPUTE_PGM_RSRC2:TIDIG_COMP_CNT: 0
	.section	.text._ZL18rocblas_dot_kernelIiLb1ELi1024ELi32ELb0EDF16_PKPKDF16_DF16_EviT5_lT_lS4_lS5_liPT6_PT4_,"axG",@progbits,_ZL18rocblas_dot_kernelIiLb1ELi1024ELi32ELb0EDF16_PKPKDF16_DF16_EviT5_lT_lS4_lS5_liPT6_PT4_,comdat
	.globl	_ZL18rocblas_dot_kernelIiLb1ELi1024ELi32ELb0EDF16_PKPKDF16_DF16_EviT5_lT_lS4_lS5_liPT6_PT4_ ; -- Begin function _ZL18rocblas_dot_kernelIiLb1ELi1024ELi32ELb0EDF16_PKPKDF16_DF16_EviT5_lT_lS4_lS5_liPT6_PT4_
	.p2align	8
	.type	_ZL18rocblas_dot_kernelIiLb1ELi1024ELi32ELb0EDF16_PKPKDF16_DF16_EviT5_lT_lS4_lS5_liPT6_PT4_,@function
_ZL18rocblas_dot_kernelIiLb1ELi1024ELi32ELb0EDF16_PKPKDF16_DF16_EviT5_lT_lS4_lS5_liPT6_PT4_: ; @_ZL18rocblas_dot_kernelIiLb1ELi1024ELi32ELb0EDF16_PKPKDF16_DF16_EviT5_lT_lS4_lS5_liPT6_PT4_
; %bb.0:
	s_load_b32 s3, s[0:1], 0x48
	s_bfe_u32 s2, ttmp6, 0x40014
	s_lshr_b32 s4, ttmp7, 16
	s_add_co_i32 s2, s2, 1
	s_bfe_u32 s5, ttmp6, 0x40008
	s_mul_i32 s2, s4, s2
	s_getreg_b32 s6, hwreg(HW_REG_IB_STS2, 6, 4)
	s_add_co_i32 s5, s5, s2
	s_cmp_eq_u32 s6, 0
	s_mov_b32 s17, 0
	s_cselect_b32 s16, s4, s5
	s_wait_kmcnt 0x0
	s_cmp_ge_u32 s16, s3
	s_cbranch_scc1 .LBB73_17
; %bb.1:
	v_mbcnt_lo_u32_b32 v3, -1, 0
	s_clause 0x5
	s_load_b32 s18, s[0:1], 0x18
	s_load_b32 s22, s[0:1], 0x38
	s_load_b96 s[12:14], s[0:1], 0x58
	s_load_b128 s[4:7], s[0:1], 0x28
	s_load_b128 s[8:11], s[0:1], 0x8
	s_load_b32 s26, s[0:1], 0x0
	v_and_b32_e32 v2, 31, v0
	s_wait_xcnt 0x0
	v_cmp_eq_u32_e64 s1, 0, v0
	v_cmp_gt_u32_e64 s0, 24, v3
	v_lshl_or_b32 v6, v3, 2, 64
	v_cmp_gt_u32_e32 vcc_lo, 32, v0
	v_mov_b32_e32 v12, 0
	s_delay_alu instid0(VALU_DEP_4) | instskip(SKIP_1) | instid1(VALU_DEP_2)
	v_cndmask_b32_e64 v4, 0, 8, s0
	v_cmp_gt_u32_e64 s0, 28, v3
	v_add_lshl_u32 v7, v4, v3, 2
	s_delay_alu instid0(VALU_DEP_2)
	v_cndmask_b32_e64 v5, 0, 4, s0
	v_cmp_gt_u32_e64 s0, 30, v3
	v_lshrrev_b32_e32 v4, 4, v0
	s_wait_kmcnt 0x0
	s_ashr_i32 s19, s18, 31
	s_lshl_b32 s14, s14, 10
	s_ashr_i32 s23, s22, 31
	v_cndmask_b32_e64 v9, 0, 2, s0
	v_cmp_ne_u32_e64 s0, 31, v3
	s_ashr_i32 s15, s14, 31
	v_dual_lshlrev_b32 v1, 1, v2 :: v_dual_bitop2_b32 v11, 62, v4 bitop3:0x40
	v_add_lshl_u32 v8, v5, v3, 2
	v_add_co_ci_u32_e64 v10, null, 0, v3, s0
	v_add_lshl_u32 v9, v9, v3, 2
	v_cmp_eq_u32_e64 s0, 0, v2
	s_mul_u64 s[20:21], s[18:19], s[14:15]
	v_lshlrev_b32_e32 v10, 2, v10
	s_mul_u64 s[24:25], s[22:23], s[14:15]
	s_lshl_b64 s[10:11], s[10:11], 1
	s_lshl_b64 s[18:19], s[18:19], 1
	;; [unrolled: 1-line block ×6, first 2 shown]
	s_branch .LBB73_3
.LBB73_2:                               ;   in Loop: Header=BB73_3 Depth=1
	s_wait_xcnt 0x0
	s_or_b32 exec_lo, exec_lo, s2
	s_add_co_i32 s16, s16, 0x10000
	s_delay_alu instid0(SALU_CYCLE_1)
	s_cmp_lt_u32 s16, s3
	s_cbranch_scc0 .LBB73_17
.LBB73_3:                               ; =>This Loop Header: Depth=1
                                        ;     Child Loop BB73_5 Depth 2
	v_mov_b32_e32 v13, 0
	s_mov_b32 s15, exec_lo
	v_cmpx_gt_i32_e64 s26, v0
	s_cbranch_execz .LBB73_7
; %bb.4:                                ;   in Loop: Header=BB73_3 Depth=1
	s_lshl_b64 s[28:29], s[16:17], 3
	v_ashrrev_i32_e32 v13, 31, v0
	s_add_nc_u64 s[30:31], s[8:9], s[28:29]
	s_add_nc_u64 s[28:29], s[4:5], s[28:29]
	s_load_b64 s[34:35], s[30:31], 0x0
	s_load_b64 s[36:37], s[28:29], 0x0
	s_mov_b32 s27, 0
	s_wait_kmcnt 0x0
	s_wait_xcnt 0x0
	s_add_nc_u64 s[28:29], s[34:35], s[10:11]
	s_add_nc_u64 s[30:31], s[36:37], s[6:7]
	s_wait_dscnt 0x0
	v_mad_nc_u64_u32 v[2:3], s18, v0, s[28:29]
	v_mad_nc_u64_u32 v[4:5], s22, v0, s[30:31]
	s_mov_b32 s28, 0
	s_delay_alu instid0(VALU_DEP_2) | instskip(NEXT) | instid1(VALU_DEP_2)
	v_mad_u32 v3, s19, v0, v3
	v_mad_u32 v5, s23, v0, v5
	s_delay_alu instid0(VALU_DEP_2) | instskip(NEXT) | instid1(VALU_DEP_2)
	v_mad_u32 v3, s18, v13, v3
	v_mad_u32 v5, s22, v13, v5
	v_mov_b32_e32 v13, 0
.LBB73_5:                               ;   Parent Loop BB73_3 Depth=1
                                        ; =>  This Inner Loop Header: Depth=2
	flat_load_u16 v14, v[4:5]
	flat_load_u16 v15, v[2:3]
	v_add_nc_u32_e32 v0, s14, v0
	s_add_co_i32 s29, s28, 1
	s_cmp_gt_u32 s28, 30
	s_wait_xcnt 0x0
	v_add_nc_u64_e32 v[2:3], s[20:21], v[2:3]
	s_cselect_b32 s28, -1, 0
	v_cmp_le_i32_e64 s2, s26, v0
	v_add_nc_u64_e32 v[4:5], s[24:25], v[4:5]
	s_or_b32 s2, s28, s2
	s_mov_b32 s28, s29
	s_and_b32 s2, exec_lo, s2
	s_delay_alu instid0(SALU_CYCLE_1)
	s_or_b32 s27, s2, s27
	s_wait_loadcnt_dscnt 0x0
	v_fmac_f16_e32 v13, v14, v15
	s_and_not1_b32 exec_lo, exec_lo, s27
	s_cbranch_execnz .LBB73_5
; %bb.6:                                ;   in Loop: Header=BB73_3 Depth=1
	s_or_b32 exec_lo, exec_lo, s27
.LBB73_7:                               ;   in Loop: Header=BB73_3 Depth=1
	s_delay_alu instid0(SALU_CYCLE_1)
	s_or_b32 exec_lo, exec_lo, s15
	s_and_saveexec_b32 s2, vcc_lo
; %bb.8:                                ;   in Loop: Header=BB73_3 Depth=1
	ds_store_b16 v1, v12
; %bb.9:                                ;   in Loop: Header=BB73_3 Depth=1
	s_or_b32 exec_lo, exec_lo, s2
	s_wait_dscnt 0x0
	v_and_b32_e32 v2, 0xffff, v13
	s_wait_dscnt 0x0
	s_barrier_signal -1
	s_barrier_wait -1
	ds_bpermute_b32 v2, v6, v2
	s_wait_dscnt 0x0
	v_add_f16_e32 v3, v13, v2
	s_delay_alu instid0(VALU_DEP_1) | instskip(NEXT) | instid1(VALU_DEP_1)
	v_and_b32_e32 v4, 0xffff, v3
	v_and_or_b32 v2, 0xffff0000, v2, v4
	ds_bpermute_b32 v2, v7, v2
	s_wait_dscnt 0x0
	v_add_f16_e32 v3, v3, v2
	s_delay_alu instid0(VALU_DEP_1) | instskip(NEXT) | instid1(VALU_DEP_1)
	v_and_b32_e32 v4, 0xffff, v3
	v_and_or_b32 v2, 0xffff0000, v2, v4
	;; [unrolled: 6-line block ×4, first 2 shown]
	ds_bpermute_b32 v3, v10, v3
	s_and_saveexec_b32 s2, s0
	s_cbranch_execz .LBB73_11
; %bb.10:                               ;   in Loop: Header=BB73_3 Depth=1
	s_wait_dscnt 0x0
	v_add_f16_e32 v2, v2, v3
	ds_store_b16 v11, v2
.LBB73_11:                              ;   in Loop: Header=BB73_3 Depth=1
	s_or_b32 exec_lo, exec_lo, s2
	v_mov_b32_e32 v2, 0
	s_wait_dscnt 0x0
	s_barrier_signal -1
	s_barrier_wait -1
	s_and_saveexec_b32 s2, vcc_lo
	s_cbranch_execnz .LBB73_14
; %bb.12:                               ;   in Loop: Header=BB73_3 Depth=1
	s_or_b32 exec_lo, exec_lo, s2
	s_and_saveexec_b32 s2, vcc_lo
	s_cbranch_execnz .LBB73_15
.LBB73_13:                              ;   in Loop: Header=BB73_3 Depth=1
	s_or_b32 exec_lo, exec_lo, s2
	s_and_saveexec_b32 s2, s1
	s_cbranch_execz .LBB73_2
	s_branch .LBB73_16
.LBB73_14:                              ;   in Loop: Header=BB73_3 Depth=1
	ds_load_u16 v2, v1
	s_or_b32 exec_lo, exec_lo, s2
	s_and_saveexec_b32 s2, vcc_lo
	s_cbranch_execz .LBB73_13
.LBB73_15:                              ;   in Loop: Header=BB73_3 Depth=1
	s_wait_dscnt 0x0
	v_and_b32_e32 v3, 0xffff, v2
	ds_bpermute_b32 v3, v6, v3
	s_wait_dscnt 0x0
	v_add_f16_e32 v2, v2, v3
	s_delay_alu instid0(VALU_DEP_1) | instskip(NEXT) | instid1(VALU_DEP_1)
	v_and_b32_e32 v4, 0xffff, v2
	v_and_or_b32 v3, 0xffff0000, v3, v4
	ds_bpermute_b32 v3, v7, v3
	s_wait_dscnt 0x0
	v_add_f16_e32 v2, v2, v3
	s_delay_alu instid0(VALU_DEP_1) | instskip(NEXT) | instid1(VALU_DEP_1)
	v_and_b32_e32 v4, 0xffff, v2
	v_and_or_b32 v3, 0xffff0000, v3, v4
	;; [unrolled: 6-line block ×4, first 2 shown]
	ds_bpermute_b32 v3, v10, v3
	s_wait_dscnt 0x0
	v_add_f16_e32 v2, v2, v3
	s_or_b32 exec_lo, exec_lo, s2
	s_and_saveexec_b32 s2, s1
	s_cbranch_execz .LBB73_2
.LBB73_16:                              ;   in Loop: Header=BB73_3 Depth=1
	s_lshl_b64 s[28:29], s[16:17], 1
	s_delay_alu instid0(SALU_CYCLE_1)
	s_add_nc_u64 s[28:29], s[12:13], s[28:29]
	s_wait_dscnt 0x0
	global_store_b16 v12, v2, s[28:29]
	s_branch .LBB73_2
.LBB73_17:
	s_endpgm
	.section	.rodata,"a",@progbits
	.p2align	6, 0x0
	.amdhsa_kernel _ZL18rocblas_dot_kernelIiLb1ELi1024ELi32ELb0EDF16_PKPKDF16_DF16_EviT5_lT_lS4_lS5_liPT6_PT4_
		.amdhsa_group_segment_fixed_size 64
		.amdhsa_private_segment_fixed_size 0
		.amdhsa_kernarg_size 352
		.amdhsa_user_sgpr_count 2
		.amdhsa_user_sgpr_dispatch_ptr 0
		.amdhsa_user_sgpr_queue_ptr 0
		.amdhsa_user_sgpr_kernarg_segment_ptr 1
		.amdhsa_user_sgpr_dispatch_id 0
		.amdhsa_user_sgpr_kernarg_preload_length 0
		.amdhsa_user_sgpr_kernarg_preload_offset 0
		.amdhsa_user_sgpr_private_segment_size 0
		.amdhsa_wavefront_size32 1
		.amdhsa_uses_dynamic_stack 0
		.amdhsa_enable_private_segment 0
		.amdhsa_system_sgpr_workgroup_id_x 1
		.amdhsa_system_sgpr_workgroup_id_y 0
		.amdhsa_system_sgpr_workgroup_id_z 1
		.amdhsa_system_sgpr_workgroup_info 0
		.amdhsa_system_vgpr_workitem_id 0
		.amdhsa_next_free_vgpr 16
		.amdhsa_next_free_sgpr 38
		.amdhsa_named_barrier_count 0
		.amdhsa_reserve_vcc 1
		.amdhsa_float_round_mode_32 0
		.amdhsa_float_round_mode_16_64 0
		.amdhsa_float_denorm_mode_32 3
		.amdhsa_float_denorm_mode_16_64 3
		.amdhsa_fp16_overflow 0
		.amdhsa_memory_ordered 1
		.amdhsa_forward_progress 1
		.amdhsa_inst_pref_size 10
		.amdhsa_round_robin_scheduling 0
		.amdhsa_exception_fp_ieee_invalid_op 0
		.amdhsa_exception_fp_denorm_src 0
		.amdhsa_exception_fp_ieee_div_zero 0
		.amdhsa_exception_fp_ieee_overflow 0
		.amdhsa_exception_fp_ieee_underflow 0
		.amdhsa_exception_fp_ieee_inexact 0
		.amdhsa_exception_int_div_zero 0
	.end_amdhsa_kernel
	.section	.text._ZL18rocblas_dot_kernelIiLb1ELi1024ELi32ELb0EDF16_PKPKDF16_DF16_EviT5_lT_lS4_lS5_liPT6_PT4_,"axG",@progbits,_ZL18rocblas_dot_kernelIiLb1ELi1024ELi32ELb0EDF16_PKPKDF16_DF16_EviT5_lT_lS4_lS5_liPT6_PT4_,comdat
.Lfunc_end73:
	.size	_ZL18rocblas_dot_kernelIiLb1ELi1024ELi32ELb0EDF16_PKPKDF16_DF16_EviT5_lT_lS4_lS5_liPT6_PT4_, .Lfunc_end73-_ZL18rocblas_dot_kernelIiLb1ELi1024ELi32ELb0EDF16_PKPKDF16_DF16_EviT5_lT_lS4_lS5_liPT6_PT4_
                                        ; -- End function
	.set _ZL18rocblas_dot_kernelIiLb1ELi1024ELi32ELb0EDF16_PKPKDF16_DF16_EviT5_lT_lS4_lS5_liPT6_PT4_.num_vgpr, 16
	.set _ZL18rocblas_dot_kernelIiLb1ELi1024ELi32ELb0EDF16_PKPKDF16_DF16_EviT5_lT_lS4_lS5_liPT6_PT4_.num_agpr, 0
	.set _ZL18rocblas_dot_kernelIiLb1ELi1024ELi32ELb0EDF16_PKPKDF16_DF16_EviT5_lT_lS4_lS5_liPT6_PT4_.numbered_sgpr, 38
	.set _ZL18rocblas_dot_kernelIiLb1ELi1024ELi32ELb0EDF16_PKPKDF16_DF16_EviT5_lT_lS4_lS5_liPT6_PT4_.num_named_barrier, 0
	.set _ZL18rocblas_dot_kernelIiLb1ELi1024ELi32ELb0EDF16_PKPKDF16_DF16_EviT5_lT_lS4_lS5_liPT6_PT4_.private_seg_size, 0
	.set _ZL18rocblas_dot_kernelIiLb1ELi1024ELi32ELb0EDF16_PKPKDF16_DF16_EviT5_lT_lS4_lS5_liPT6_PT4_.uses_vcc, 1
	.set _ZL18rocblas_dot_kernelIiLb1ELi1024ELi32ELb0EDF16_PKPKDF16_DF16_EviT5_lT_lS4_lS5_liPT6_PT4_.uses_flat_scratch, 0
	.set _ZL18rocblas_dot_kernelIiLb1ELi1024ELi32ELb0EDF16_PKPKDF16_DF16_EviT5_lT_lS4_lS5_liPT6_PT4_.has_dyn_sized_stack, 0
	.set _ZL18rocblas_dot_kernelIiLb1ELi1024ELi32ELb0EDF16_PKPKDF16_DF16_EviT5_lT_lS4_lS5_liPT6_PT4_.has_recursion, 0
	.set _ZL18rocblas_dot_kernelIiLb1ELi1024ELi32ELb0EDF16_PKPKDF16_DF16_EviT5_lT_lS4_lS5_liPT6_PT4_.has_indirect_call, 0
	.section	.AMDGPU.csdata,"",@progbits
; Kernel info:
; codeLenInByte = 1160
; TotalNumSgprs: 40
; NumVgprs: 16
; ScratchSize: 0
; MemoryBound: 0
; FloatMode: 240
; IeeeMode: 1
; LDSByteSize: 64 bytes/workgroup (compile time only)
; SGPRBlocks: 0
; VGPRBlocks: 0
; NumSGPRsForWavesPerEU: 40
; NumVGPRsForWavesPerEU: 16
; NamedBarCnt: 0
; Occupancy: 16
; WaveLimiterHint : 0
; COMPUTE_PGM_RSRC2:SCRATCH_EN: 0
; COMPUTE_PGM_RSRC2:USER_SGPR: 2
; COMPUTE_PGM_RSRC2:TRAP_HANDLER: 0
; COMPUTE_PGM_RSRC2:TGID_X_EN: 1
; COMPUTE_PGM_RSRC2:TGID_Y_EN: 0
; COMPUTE_PGM_RSRC2:TGID_Z_EN: 1
; COMPUTE_PGM_RSRC2:TIDIG_COMP_CNT: 0
	.section	.text._ZL24rocblas_dot_kernel_magsqIiLb1ELi1024ELi32ELb0EDF16_PKPKDF16_DF16_EviT5_lT_liPT6_PT4_,"axG",@progbits,_ZL24rocblas_dot_kernel_magsqIiLb1ELi1024ELi32ELb0EDF16_PKPKDF16_DF16_EviT5_lT_liPT6_PT4_,comdat
	.globl	_ZL24rocblas_dot_kernel_magsqIiLb1ELi1024ELi32ELb0EDF16_PKPKDF16_DF16_EviT5_lT_liPT6_PT4_ ; -- Begin function _ZL24rocblas_dot_kernel_magsqIiLb1ELi1024ELi32ELb0EDF16_PKPKDF16_DF16_EviT5_lT_liPT6_PT4_
	.p2align	8
	.type	_ZL24rocblas_dot_kernel_magsqIiLb1ELi1024ELi32ELb0EDF16_PKPKDF16_DF16_EviT5_lT_liPT6_PT4_,@function
_ZL24rocblas_dot_kernel_magsqIiLb1ELi1024ELi32ELb0EDF16_PKPKDF16_DF16_EviT5_lT_liPT6_PT4_: ; @_ZL24rocblas_dot_kernel_magsqIiLb1ELi1024ELi32ELb0EDF16_PKPKDF16_DF16_EviT5_lT_liPT6_PT4_
; %bb.0:
	s_load_b32 s3, s[0:1], 0x28
	s_bfe_u32 s2, ttmp6, 0x40014
	s_lshr_b32 s4, ttmp7, 16
	s_add_co_i32 s2, s2, 1
	s_bfe_u32 s5, ttmp6, 0x40008
	s_mul_i32 s2, s4, s2
	s_getreg_b32 s6, hwreg(HW_REG_IB_STS2, 6, 4)
	s_add_co_i32 s5, s5, s2
	s_cmp_eq_u32 s6, 0
	s_mov_b32 s13, 0
	s_cselect_b32 s12, s4, s5
	s_wait_kmcnt 0x0
	s_cmp_ge_u32 s12, s3
	s_cbranch_scc1 .LBB74_17
; %bb.1:
	v_mbcnt_lo_u32_b32 v3, -1, 0
	s_clause 0x3
	s_load_b32 s14, s[0:1], 0x18
	s_load_b96 s[8:10], s[0:1], 0x38
	s_load_b128 s[4:7], s[0:1], 0x8
	s_load_b32 s18, s[0:1], 0x0
	v_dual_lshrrev_b32 v9, 4, v0 :: v_dual_bitop2_b32 v2, 31, v0 bitop3:0x40
	s_wait_xcnt 0x0
	v_cmp_gt_u32_e64 s0, 24, v3
	v_lshl_or_b32 v4, v3, 2, 64
	v_cmp_eq_u32_e64 s1, 0, v0
	v_dual_mov_b32 v10, 0 :: v_dual_bitop2_b32 v9, 62, v9 bitop3:0x40
	s_delay_alu instid0(VALU_DEP_4) | instskip(SKIP_2) | instid1(VALU_DEP_3)
	v_cndmask_b32_e64 v5, 0, 8, s0
	v_cmp_gt_u32_e64 s0, 28, v3
	v_cmp_gt_u32_e32 vcc_lo, 32, v0
	v_add_lshl_u32 v5, v5, v3, 2
	s_delay_alu instid0(VALU_DEP_3)
	v_cndmask_b32_e64 v6, 0, 4, s0
	v_cmp_gt_u32_e64 s0, 30, v3
	s_wait_kmcnt 0x0
	s_ashr_i32 s15, s14, 31
	s_lshl_b32 s10, s10, 10
	v_cndmask_b32_e64 v7, 0, 2, s0
	v_cmp_ne_u32_e64 s0, 31, v3
	s_ashr_i32 s11, s10, 31
	v_add_lshl_u32 v6, v6, v3, 2
	s_mul_u64 s[16:17], s[14:15], s[10:11]
	v_add_lshl_u32 v7, v7, v3, 2
	v_add_co_ci_u32_e64 v8, null, 0, v3, s0
	v_lshlrev_b32_e32 v1, 1, v2
	v_cmp_eq_u32_e64 s0, 0, v2
	s_lshl_b64 s[6:7], s[6:7], 1
	v_lshlrev_b32_e32 v8, 2, v8
	s_lshl_b64 s[14:15], s[14:15], 1
	s_lshl_b64 s[16:17], s[16:17], 1
	s_branch .LBB74_3
.LBB74_2:                               ;   in Loop: Header=BB74_3 Depth=1
	s_wait_xcnt 0x0
	s_or_b32 exec_lo, exec_lo, s2
	s_add_co_i32 s12, s12, 0x10000
	s_delay_alu instid0(SALU_CYCLE_1)
	s_cmp_lt_u32 s12, s3
	s_cbranch_scc0 .LBB74_17
.LBB74_3:                               ; =>This Loop Header: Depth=1
                                        ;     Child Loop BB74_5 Depth 2
	v_mov_b32_e32 v11, 0
	s_mov_b32 s11, exec_lo
	v_cmpx_gt_i32_e64 s18, v0
	s_cbranch_execz .LBB74_7
; %bb.4:                                ;   in Loop: Header=BB74_3 Depth=1
	s_lshl_b64 s[20:21], s[12:13], 3
	v_ashrrev_i32_e32 v11, 31, v0
	s_add_nc_u64 s[20:21], s[4:5], s[20:21]
	s_mov_b32 s19, 0
	s_load_b64 s[20:21], s[20:21], 0x0
	s_wait_kmcnt 0x0
	s_wait_xcnt 0x0
	s_add_nc_u64 s[20:21], s[20:21], s[6:7]
	s_wait_dscnt 0x0
	v_mad_nc_u64_u32 v[2:3], s14, v0, s[20:21]
	s_mov_b32 s20, 0
	s_delay_alu instid0(VALU_DEP_1) | instskip(NEXT) | instid1(VALU_DEP_1)
	v_mad_u32 v3, s15, v0, v3
	v_mad_u32 v3, s14, v11, v3
	v_mov_b32_e32 v11, 0
.LBB74_5:                               ;   Parent Loop BB74_3 Depth=1
                                        ; =>  This Inner Loop Header: Depth=2
	flat_load_u16 v12, v[2:3]
	v_add_nc_u32_e32 v0, s10, v0
	s_add_co_i32 s21, s20, 1
	s_cmp_gt_u32 s20, 30
	s_wait_xcnt 0x0
	v_add_nc_u64_e32 v[2:3], s[16:17], v[2:3]
	s_cselect_b32 s20, -1, 0
	v_cmp_le_i32_e64 s2, s18, v0
	s_or_b32 s2, s20, s2
	s_mov_b32 s20, s21
	s_and_b32 s2, exec_lo, s2
	s_delay_alu instid0(SALU_CYCLE_1)
	s_or_b32 s19, s2, s19
	s_wait_loadcnt_dscnt 0x0
	v_fmac_f16_e32 v11, v12, v12
	s_and_not1_b32 exec_lo, exec_lo, s19
	s_cbranch_execnz .LBB74_5
; %bb.6:                                ;   in Loop: Header=BB74_3 Depth=1
	s_or_b32 exec_lo, exec_lo, s19
.LBB74_7:                               ;   in Loop: Header=BB74_3 Depth=1
	s_delay_alu instid0(SALU_CYCLE_1)
	s_or_b32 exec_lo, exec_lo, s11
	s_and_saveexec_b32 s2, vcc_lo
; %bb.8:                                ;   in Loop: Header=BB74_3 Depth=1
	ds_store_b16 v1, v10
; %bb.9:                                ;   in Loop: Header=BB74_3 Depth=1
	s_or_b32 exec_lo, exec_lo, s2
	s_wait_dscnt 0x0
	v_and_b32_e32 v2, 0xffff, v11
	s_wait_dscnt 0x0
	s_barrier_signal -1
	s_barrier_wait -1
	ds_bpermute_b32 v2, v4, v2
	s_wait_dscnt 0x0
	v_add_f16_e32 v3, v11, v2
	s_delay_alu instid0(VALU_DEP_1) | instskip(NEXT) | instid1(VALU_DEP_1)
	v_and_b32_e32 v11, 0xffff, v3
	v_and_or_b32 v2, 0xffff0000, v2, v11
	ds_bpermute_b32 v2, v5, v2
	s_wait_dscnt 0x0
	v_add_f16_e32 v3, v3, v2
	s_delay_alu instid0(VALU_DEP_1) | instskip(NEXT) | instid1(VALU_DEP_1)
	v_and_b32_e32 v11, 0xffff, v3
	v_and_or_b32 v2, 0xffff0000, v2, v11
	;; [unrolled: 6-line block ×4, first 2 shown]
	ds_bpermute_b32 v3, v8, v3
	s_and_saveexec_b32 s2, s0
	s_cbranch_execz .LBB74_11
; %bb.10:                               ;   in Loop: Header=BB74_3 Depth=1
	s_wait_dscnt 0x0
	v_add_f16_e32 v2, v2, v3
	ds_store_b16 v9, v2
.LBB74_11:                              ;   in Loop: Header=BB74_3 Depth=1
	s_or_b32 exec_lo, exec_lo, s2
	v_mov_b32_e32 v2, 0
	s_wait_dscnt 0x0
	s_barrier_signal -1
	s_barrier_wait -1
	s_and_saveexec_b32 s2, vcc_lo
	s_cbranch_execnz .LBB74_14
; %bb.12:                               ;   in Loop: Header=BB74_3 Depth=1
	s_or_b32 exec_lo, exec_lo, s2
	s_and_saveexec_b32 s2, vcc_lo
	s_cbranch_execnz .LBB74_15
.LBB74_13:                              ;   in Loop: Header=BB74_3 Depth=1
	s_or_b32 exec_lo, exec_lo, s2
	s_and_saveexec_b32 s2, s1
	s_cbranch_execz .LBB74_2
	s_branch .LBB74_16
.LBB74_14:                              ;   in Loop: Header=BB74_3 Depth=1
	ds_load_u16 v2, v1
	s_or_b32 exec_lo, exec_lo, s2
	s_and_saveexec_b32 s2, vcc_lo
	s_cbranch_execz .LBB74_13
.LBB74_15:                              ;   in Loop: Header=BB74_3 Depth=1
	s_wait_dscnt 0x0
	v_and_b32_e32 v3, 0xffff, v2
	ds_bpermute_b32 v3, v4, v3
	s_wait_dscnt 0x0
	v_add_f16_e32 v2, v2, v3
	s_delay_alu instid0(VALU_DEP_1) | instskip(NEXT) | instid1(VALU_DEP_1)
	v_and_b32_e32 v11, 0xffff, v2
	v_and_or_b32 v3, 0xffff0000, v3, v11
	ds_bpermute_b32 v3, v5, v3
	s_wait_dscnt 0x0
	v_add_f16_e32 v2, v2, v3
	s_delay_alu instid0(VALU_DEP_1) | instskip(NEXT) | instid1(VALU_DEP_1)
	v_and_b32_e32 v11, 0xffff, v2
	v_and_or_b32 v3, 0xffff0000, v3, v11
	;; [unrolled: 6-line block ×4, first 2 shown]
	ds_bpermute_b32 v3, v8, v3
	s_wait_dscnt 0x0
	v_add_f16_e32 v2, v2, v3
	s_or_b32 exec_lo, exec_lo, s2
	s_and_saveexec_b32 s2, s1
	s_cbranch_execz .LBB74_2
.LBB74_16:                              ;   in Loop: Header=BB74_3 Depth=1
	s_lshl_b64 s[20:21], s[12:13], 1
	s_delay_alu instid0(SALU_CYCLE_1)
	s_add_nc_u64 s[20:21], s[8:9], s[20:21]
	s_wait_dscnt 0x0
	global_store_b16 v10, v2, s[20:21]
	s_branch .LBB74_2
.LBB74_17:
	s_endpgm
	.section	.rodata,"a",@progbits
	.p2align	6, 0x0
	.amdhsa_kernel _ZL24rocblas_dot_kernel_magsqIiLb1ELi1024ELi32ELb0EDF16_PKPKDF16_DF16_EviT5_lT_liPT6_PT4_
		.amdhsa_group_segment_fixed_size 64
		.amdhsa_private_segment_fixed_size 0
		.amdhsa_kernarg_size 320
		.amdhsa_user_sgpr_count 2
		.amdhsa_user_sgpr_dispatch_ptr 0
		.amdhsa_user_sgpr_queue_ptr 0
		.amdhsa_user_sgpr_kernarg_segment_ptr 1
		.amdhsa_user_sgpr_dispatch_id 0
		.amdhsa_user_sgpr_kernarg_preload_length 0
		.amdhsa_user_sgpr_kernarg_preload_offset 0
		.amdhsa_user_sgpr_private_segment_size 0
		.amdhsa_wavefront_size32 1
		.amdhsa_uses_dynamic_stack 0
		.amdhsa_enable_private_segment 0
		.amdhsa_system_sgpr_workgroup_id_x 1
		.amdhsa_system_sgpr_workgroup_id_y 0
		.amdhsa_system_sgpr_workgroup_id_z 1
		.amdhsa_system_sgpr_workgroup_info 0
		.amdhsa_system_vgpr_workitem_id 0
		.amdhsa_next_free_vgpr 13
		.amdhsa_next_free_sgpr 22
		.amdhsa_named_barrier_count 0
		.amdhsa_reserve_vcc 1
		.amdhsa_float_round_mode_32 0
		.amdhsa_float_round_mode_16_64 0
		.amdhsa_float_denorm_mode_32 3
		.amdhsa_float_denorm_mode_16_64 3
		.amdhsa_fp16_overflow 0
		.amdhsa_memory_ordered 1
		.amdhsa_forward_progress 1
		.amdhsa_inst_pref_size 9
		.amdhsa_round_robin_scheduling 0
		.amdhsa_exception_fp_ieee_invalid_op 0
		.amdhsa_exception_fp_denorm_src 0
		.amdhsa_exception_fp_ieee_div_zero 0
		.amdhsa_exception_fp_ieee_overflow 0
		.amdhsa_exception_fp_ieee_underflow 0
		.amdhsa_exception_fp_ieee_inexact 0
		.amdhsa_exception_int_div_zero 0
	.end_amdhsa_kernel
	.section	.text._ZL24rocblas_dot_kernel_magsqIiLb1ELi1024ELi32ELb0EDF16_PKPKDF16_DF16_EviT5_lT_liPT6_PT4_,"axG",@progbits,_ZL24rocblas_dot_kernel_magsqIiLb1ELi1024ELi32ELb0EDF16_PKPKDF16_DF16_EviT5_lT_liPT6_PT4_,comdat
.Lfunc_end74:
	.size	_ZL24rocblas_dot_kernel_magsqIiLb1ELi1024ELi32ELb0EDF16_PKPKDF16_DF16_EviT5_lT_liPT6_PT4_, .Lfunc_end74-_ZL24rocblas_dot_kernel_magsqIiLb1ELi1024ELi32ELb0EDF16_PKPKDF16_DF16_EviT5_lT_liPT6_PT4_
                                        ; -- End function
	.set _ZL24rocblas_dot_kernel_magsqIiLb1ELi1024ELi32ELb0EDF16_PKPKDF16_DF16_EviT5_lT_liPT6_PT4_.num_vgpr, 13
	.set _ZL24rocblas_dot_kernel_magsqIiLb1ELi1024ELi32ELb0EDF16_PKPKDF16_DF16_EviT5_lT_liPT6_PT4_.num_agpr, 0
	.set _ZL24rocblas_dot_kernel_magsqIiLb1ELi1024ELi32ELb0EDF16_PKPKDF16_DF16_EviT5_lT_liPT6_PT4_.numbered_sgpr, 22
	.set _ZL24rocblas_dot_kernel_magsqIiLb1ELi1024ELi32ELb0EDF16_PKPKDF16_DF16_EviT5_lT_liPT6_PT4_.num_named_barrier, 0
	.set _ZL24rocblas_dot_kernel_magsqIiLb1ELi1024ELi32ELb0EDF16_PKPKDF16_DF16_EviT5_lT_liPT6_PT4_.private_seg_size, 0
	.set _ZL24rocblas_dot_kernel_magsqIiLb1ELi1024ELi32ELb0EDF16_PKPKDF16_DF16_EviT5_lT_liPT6_PT4_.uses_vcc, 1
	.set _ZL24rocblas_dot_kernel_magsqIiLb1ELi1024ELi32ELb0EDF16_PKPKDF16_DF16_EviT5_lT_liPT6_PT4_.uses_flat_scratch, 0
	.set _ZL24rocblas_dot_kernel_magsqIiLb1ELi1024ELi32ELb0EDF16_PKPKDF16_DF16_EviT5_lT_liPT6_PT4_.has_dyn_sized_stack, 0
	.set _ZL24rocblas_dot_kernel_magsqIiLb1ELi1024ELi32ELb0EDF16_PKPKDF16_DF16_EviT5_lT_liPT6_PT4_.has_recursion, 0
	.set _ZL24rocblas_dot_kernel_magsqIiLb1ELi1024ELi32ELb0EDF16_PKPKDF16_DF16_EviT5_lT_liPT6_PT4_.has_indirect_call, 0
	.section	.AMDGPU.csdata,"",@progbits
; Kernel info:
; codeLenInByte = 1068
; TotalNumSgprs: 24
; NumVgprs: 13
; ScratchSize: 0
; MemoryBound: 0
; FloatMode: 240
; IeeeMode: 1
; LDSByteSize: 64 bytes/workgroup (compile time only)
; SGPRBlocks: 0
; VGPRBlocks: 0
; NumSGPRsForWavesPerEU: 24
; NumVGPRsForWavesPerEU: 13
; NamedBarCnt: 0
; Occupancy: 16
; WaveLimiterHint : 0
; COMPUTE_PGM_RSRC2:SCRATCH_EN: 0
; COMPUTE_PGM_RSRC2:USER_SGPR: 2
; COMPUTE_PGM_RSRC2:TRAP_HANDLER: 0
; COMPUTE_PGM_RSRC2:TGID_X_EN: 1
; COMPUTE_PGM_RSRC2:TGID_Y_EN: 0
; COMPUTE_PGM_RSRC2:TGID_Z_EN: 1
; COMPUTE_PGM_RSRC2:TIDIG_COMP_CNT: 0
	.section	.text._ZL23rocblas_dot_kernel_inc1ILb0ELi512ELi8ELb0EDF16_PKPKDF16_DF16_EviT4_llS4_lliPT5_PT3_,"axG",@progbits,_ZL23rocblas_dot_kernel_inc1ILb0ELi512ELi8ELb0EDF16_PKPKDF16_DF16_EviT4_llS4_lliPT5_PT3_,comdat
	.globl	_ZL23rocblas_dot_kernel_inc1ILb0ELi512ELi8ELb0EDF16_PKPKDF16_DF16_EviT4_llS4_lliPT5_PT3_ ; -- Begin function _ZL23rocblas_dot_kernel_inc1ILb0ELi512ELi8ELb0EDF16_PKPKDF16_DF16_EviT4_llS4_lliPT5_PT3_
	.p2align	8
	.type	_ZL23rocblas_dot_kernel_inc1ILb0ELi512ELi8ELb0EDF16_PKPKDF16_DF16_EviT4_llS4_lliPT5_PT3_,@function
_ZL23rocblas_dot_kernel_inc1ILb0ELi512ELi8ELb0EDF16_PKPKDF16_DF16_EviT4_llS4_lliPT5_PT3_: ; @_ZL23rocblas_dot_kernel_inc1ILb0ELi512ELi8ELb0EDF16_PKPKDF16_DF16_EviT4_llS4_lliPT5_PT3_
; %bb.0:
	s_load_b32 s28, s[0:1], 0x38
	s_bfe_u32 s2, ttmp6, 0x40014
	s_lshr_b32 s3, ttmp7, 16
	s_add_co_i32 s2, s2, 1
	s_bfe_u32 s5, ttmp6, 0x40008
	s_mul_i32 s4, s3, s2
	s_getreg_b32 s2, hwreg(HW_REG_IB_STS2, 6, 4)
	s_add_co_i32 s5, s5, s4
	s_cmp_eq_u32 s2, 0
	s_mov_b32 s17, 0
	s_cselect_b32 s16, s3, s5
	s_wait_kmcnt 0x0
	s_cmp_ge_u32 s16, s28
	s_cbranch_scc1 .LBB75_20
; %bb.1:
	v_mbcnt_lo_u32_b32 v3, -1, 0
	s_clause 0x4
	s_load_b32 s18, s[0:1], 0x50
	s_load_b128 s[4:7], s[0:1], 0x40
	s_load_b128 s[8:11], s[0:1], 0x20
	;; [unrolled: 1-line block ×3, first 2 shown]
	s_load_b32 s29, s[0:1], 0x0
	s_bfe_u32 s3, ttmp6, 0x4000c
	s_wait_xcnt 0x0
	s_and_b32 s1, ttmp6, 15
	s_add_co_i32 s3, s3, 1
	v_cmp_gt_u32_e32 vcc_lo, 24, v3
	s_mul_i32 s3, ttmp9, s3
	v_dual_lshrrev_b32 v10, 4, v0 :: v_dual_bitop2_b32 v1, 31, v0 bitop3:0x40
	s_add_co_i32 s1, s1, s3
	v_cndmask_b32_e64 v6, 0, 8, vcc_lo
	v_cmp_gt_u32_e32 vcc_lo, 28, v3
	s_cmp_eq_u32 s2, 0
	s_mov_b32 s23, s17
	s_cselect_b32 s22, ttmp9, s1
	v_cmp_gt_u32_e64 s0, 32, v0
	v_cndmask_b32_e64 v7, 0, 4, vcc_lo
	v_cmp_gt_u32_e32 vcc_lo, 30, v3
	s_wait_kmcnt 0x0
	s_cmp_lg_u32 s18, 1
	v_dual_lshlrev_b32 v4, 1, v1 :: v_dual_bitop2_b32 v10, 30, v10 bitop3:0x40
	s_cselect_b32 s30, -1, 0
	v_cndmask_b32_e64 v8, 0, 2, vcc_lo
	v_cmp_ne_u32_e32 vcc_lo, 31, v3
	s_lshl_b32 s20, s18, 9
	v_lshl_or_b32 v5, v3, 2, 64
	v_lshl_or_b32 v2, s22, 9, v0
	v_add_lshl_u32 v6, v6, v3, 2
	v_add_co_ci_u32_e64 v9, null, 0, v3, vcc_lo
	v_add_lshl_u32 v7, v7, v3, 2
	v_add_lshl_u32 v8, v8, v3, 2
	v_cmp_eq_u32_e64 s1, 0, v1
	s_delay_alu instid0(VALU_DEP_4)
	v_dual_lshlrev_b32 v9, 2, v9 :: v_dual_mov_b32 v11, 0
	v_cmp_gt_u32_e64 s2, 16, v0
	v_cmp_eq_u32_e64 s3, 0, v0
	s_lshl_b64 s[22:23], s[22:23], 1
	s_ashr_i32 s21, s20, 31
	s_mov_b32 s19, s17
	s_add_nc_u64 s[4:5], s[4:5], s[22:23]
	s_lshl_b64 s[22:23], s[20:21], 1
	s_lshl_b64 s[14:15], s[14:15], 1
	;; [unrolled: 1-line block ×3, first 2 shown]
	s_branch .LBB75_3
.LBB75_2:                               ;   in Loop: Header=BB75_3 Depth=1
	s_wait_xcnt 0x0
	s_or_b32 exec_lo, exec_lo, s21
	s_add_co_i32 s16, s16, 0x10000
	s_delay_alu instid0(SALU_CYCLE_1)
	s_cmp_lt_u32 s16, s28
	s_cbranch_scc0 .LBB75_20
.LBB75_3:                               ; =>This Loop Header: Depth=1
                                        ;     Child Loop BB75_5 Depth 2
	v_mov_b32_e32 v3, 0
	s_mov_b32 s21, exec_lo
	v_cmpx_gt_i32_e64 s29, v2
	s_cbranch_execz .LBB75_7
; %bb.4:                                ;   in Loop: Header=BB75_3 Depth=1
	s_lshl_b64 s[24:25], s[16:17], 3
	v_ashrrev_i32_e32 v3, 31, v2
	s_add_nc_u64 s[26:27], s[12:13], s[24:25]
	s_add_nc_u64 s[24:25], s[8:9], s[24:25]
	s_load_b64 s[34:35], s[26:27], 0x0
	s_load_b64 s[36:37], s[24:25], 0x0
	s_mov_b32 s31, 0
	s_wait_dscnt 0x0
	v_lshlrev_b64_e32 v[0:1], 1, v[2:3]
	v_mov_b32_e32 v3, 0
	s_mov_b32 s33, 0
	s_wait_kmcnt 0x0
	s_wait_xcnt 0x0
	s_add_nc_u64 s[24:25], s[34:35], s[14:15]
	s_add_nc_u64 s[26:27], s[36:37], s[10:11]
.LBB75_5:                               ;   Parent Loop BB75_3 Depth=1
                                        ; =>  This Inner Loop Header: Depth=2
	s_delay_alu instid0(SALU_CYCLE_1)
	v_add_nc_u64_e32 v[12:13], s[26:27], v[0:1]
	v_add_nc_u64_e32 v[14:15], s[24:25], v[0:1]
	v_add_nc_u32_e32 v2, s20, v2
	s_add_co_i32 s34, s33, 1
	s_cmp_gt_u32 s33, 6
	v_add_nc_u64_e32 v[0:1], s[22:23], v[0:1]
	s_cselect_b32 s33, -1, 0
	flat_load_u16 v16, v[12:13]
	flat_load_u16 v17, v[14:15]
	v_cmp_le_i32_e32 vcc_lo, s29, v2
	s_or_b32 s33, s33, vcc_lo
	s_delay_alu instid0(SALU_CYCLE_1) | instskip(NEXT) | instid1(SALU_CYCLE_1)
	s_and_b32 s33, exec_lo, s33
	s_or_b32 s31, s33, s31
	s_mov_b32 s33, s34
	s_wait_loadcnt_dscnt 0x0
	v_fmac_f16_e32 v3, v16, v17
	s_wait_xcnt 0x0
	s_and_not1_b32 exec_lo, exec_lo, s31
	s_cbranch_execnz .LBB75_5
; %bb.6:                                ;   in Loop: Header=BB75_3 Depth=1
	s_or_b32 exec_lo, exec_lo, s31
.LBB75_7:                               ;   in Loop: Header=BB75_3 Depth=1
	s_delay_alu instid0(SALU_CYCLE_1)
	s_or_b32 exec_lo, exec_lo, s21
	s_and_saveexec_b32 s21, s0
; %bb.8:                                ;   in Loop: Header=BB75_3 Depth=1
	ds_store_b16 v4, v11
; %bb.9:                                ;   in Loop: Header=BB75_3 Depth=1
	s_or_b32 exec_lo, exec_lo, s21
	s_wait_dscnt 0x0
	v_and_b32_e32 v0, 0xffff, v3
	s_wait_dscnt 0x0
	s_barrier_signal -1
	s_barrier_wait -1
	ds_bpermute_b32 v0, v5, v0
	s_wait_dscnt 0x0
	v_add_f16_e32 v1, v3, v0
	s_delay_alu instid0(VALU_DEP_1) | instskip(NEXT) | instid1(VALU_DEP_1)
	v_and_b32_e32 v3, 0xffff, v1
	v_and_or_b32 v0, 0xffff0000, v0, v3
	ds_bpermute_b32 v0, v6, v0
	s_wait_dscnt 0x0
	v_add_f16_e32 v1, v1, v0
	s_delay_alu instid0(VALU_DEP_1) | instskip(NEXT) | instid1(VALU_DEP_1)
	v_and_b32_e32 v3, 0xffff, v1
	v_and_or_b32 v0, 0xffff0000, v0, v3
	;; [unrolled: 6-line block ×4, first 2 shown]
	ds_bpermute_b32 v1, v9, v1
	s_and_saveexec_b32 s21, s1
	s_cbranch_execz .LBB75_11
; %bb.10:                               ;   in Loop: Header=BB75_3 Depth=1
	s_wait_dscnt 0x0
	v_add_f16_e32 v0, v0, v1
	ds_store_b16 v10, v0
.LBB75_11:                              ;   in Loop: Header=BB75_3 Depth=1
	s_or_b32 exec_lo, exec_lo, s21
	v_mov_b32_e32 v0, 0
	s_wait_dscnt 0x0
	s_barrier_signal -1
	s_barrier_wait -1
	s_and_saveexec_b32 s21, s2
	s_cbranch_execnz .LBB75_14
; %bb.12:                               ;   in Loop: Header=BB75_3 Depth=1
	s_or_b32 exec_lo, exec_lo, s21
	s_and_saveexec_b32 s21, s0
	s_cbranch_execnz .LBB75_15
.LBB75_13:                              ;   in Loop: Header=BB75_3 Depth=1
	s_or_b32 exec_lo, exec_lo, s21
	s_and_saveexec_b32 s21, s3
	s_cbranch_execz .LBB75_2
	s_branch .LBB75_16
.LBB75_14:                              ;   in Loop: Header=BB75_3 Depth=1
	ds_load_u16 v0, v4
	s_or_b32 exec_lo, exec_lo, s21
	s_and_saveexec_b32 s21, s0
	s_cbranch_execz .LBB75_13
.LBB75_15:                              ;   in Loop: Header=BB75_3 Depth=1
	s_wait_dscnt 0x0
	v_and_b32_e32 v1, 0xffff, v0
	ds_bpermute_b32 v1, v6, v1
	s_wait_dscnt 0x0
	v_add_f16_e32 v0, v0, v1
	s_delay_alu instid0(VALU_DEP_1) | instskip(NEXT) | instid1(VALU_DEP_1)
	v_and_b32_e32 v3, 0xffff, v0
	v_and_or_b32 v1, 0xffff0000, v1, v3
	ds_bpermute_b32 v1, v7, v1
	s_wait_dscnt 0x0
	v_add_f16_e32 v0, v0, v1
	s_delay_alu instid0(VALU_DEP_1) | instskip(NEXT) | instid1(VALU_DEP_1)
	v_and_b32_e32 v3, 0xffff, v0
	v_and_or_b32 v1, 0xffff0000, v1, v3
	;; [unrolled: 6-line block ×3, first 2 shown]
	ds_bpermute_b32 v1, v9, v1
	s_wait_dscnt 0x0
	v_add_f16_e32 v0, v0, v1
	s_or_b32 exec_lo, exec_lo, s21
	s_and_saveexec_b32 s21, s3
	s_cbranch_execz .LBB75_2
.LBB75_16:                              ;   in Loop: Header=BB75_3 Depth=1
	s_and_b32 vcc_lo, exec_lo, s30
	s_mov_b32 s24, -1
	s_cbranch_vccz .LBB75_18
; %bb.17:                               ;   in Loop: Header=BB75_3 Depth=1
	s_mul_u64 s[24:25], s[18:19], s[16:17]
	s_delay_alu instid0(SALU_CYCLE_1) | instskip(NEXT) | instid1(SALU_CYCLE_1)
	s_lshl_b64 s[24:25], s[24:25], 1
	s_add_nc_u64 s[26:27], s[4:5], s[24:25]
	s_mov_b32 s24, 0
	s_wait_dscnt 0x0
	global_store_b16 v11, v0, s[26:27]
.LBB75_18:                              ;   in Loop: Header=BB75_3 Depth=1
	s_and_not1_b32 vcc_lo, exec_lo, s24
	s_cbranch_vccnz .LBB75_2
; %bb.19:                               ;   in Loop: Header=BB75_3 Depth=1
	s_lshl_b64 s[24:25], s[16:17], 1
	s_delay_alu instid0(SALU_CYCLE_1)
	s_add_nc_u64 s[24:25], s[6:7], s[24:25]
	s_wait_dscnt 0x0
	global_store_b16 v11, v0, s[24:25]
	s_branch .LBB75_2
.LBB75_20:
	s_endpgm
	.section	.rodata,"a",@progbits
	.p2align	6, 0x0
	.amdhsa_kernel _ZL23rocblas_dot_kernel_inc1ILb0ELi512ELi8ELb0EDF16_PKPKDF16_DF16_EviT4_llS4_lliPT5_PT3_
		.amdhsa_group_segment_fixed_size 64
		.amdhsa_private_segment_fixed_size 0
		.amdhsa_kernarg_size 336
		.amdhsa_user_sgpr_count 2
		.amdhsa_user_sgpr_dispatch_ptr 0
		.amdhsa_user_sgpr_queue_ptr 0
		.amdhsa_user_sgpr_kernarg_segment_ptr 1
		.amdhsa_user_sgpr_dispatch_id 0
		.amdhsa_user_sgpr_kernarg_preload_length 0
		.amdhsa_user_sgpr_kernarg_preload_offset 0
		.amdhsa_user_sgpr_private_segment_size 0
		.amdhsa_wavefront_size32 1
		.amdhsa_uses_dynamic_stack 0
		.amdhsa_enable_private_segment 0
		.amdhsa_system_sgpr_workgroup_id_x 1
		.amdhsa_system_sgpr_workgroup_id_y 0
		.amdhsa_system_sgpr_workgroup_id_z 1
		.amdhsa_system_sgpr_workgroup_info 0
		.amdhsa_system_vgpr_workitem_id 0
		.amdhsa_next_free_vgpr 18
		.amdhsa_next_free_sgpr 38
		.amdhsa_named_barrier_count 0
		.amdhsa_reserve_vcc 1
		.amdhsa_float_round_mode_32 0
		.amdhsa_float_round_mode_16_64 0
		.amdhsa_float_denorm_mode_32 3
		.amdhsa_float_denorm_mode_16_64 3
		.amdhsa_fp16_overflow 0
		.amdhsa_memory_ordered 1
		.amdhsa_forward_progress 1
		.amdhsa_inst_pref_size 10
		.amdhsa_round_robin_scheduling 0
		.amdhsa_exception_fp_ieee_invalid_op 0
		.amdhsa_exception_fp_denorm_src 0
		.amdhsa_exception_fp_ieee_div_zero 0
		.amdhsa_exception_fp_ieee_overflow 0
		.amdhsa_exception_fp_ieee_underflow 0
		.amdhsa_exception_fp_ieee_inexact 0
		.amdhsa_exception_int_div_zero 0
	.end_amdhsa_kernel
	.section	.text._ZL23rocblas_dot_kernel_inc1ILb0ELi512ELi8ELb0EDF16_PKPKDF16_DF16_EviT4_llS4_lliPT5_PT3_,"axG",@progbits,_ZL23rocblas_dot_kernel_inc1ILb0ELi512ELi8ELb0EDF16_PKPKDF16_DF16_EviT4_llS4_lliPT5_PT3_,comdat
.Lfunc_end75:
	.size	_ZL23rocblas_dot_kernel_inc1ILb0ELi512ELi8ELb0EDF16_PKPKDF16_DF16_EviT4_llS4_lliPT5_PT3_, .Lfunc_end75-_ZL23rocblas_dot_kernel_inc1ILb0ELi512ELi8ELb0EDF16_PKPKDF16_DF16_EviT4_llS4_lliPT5_PT3_
                                        ; -- End function
	.set _ZL23rocblas_dot_kernel_inc1ILb0ELi512ELi8ELb0EDF16_PKPKDF16_DF16_EviT4_llS4_lliPT5_PT3_.num_vgpr, 18
	.set _ZL23rocblas_dot_kernel_inc1ILb0ELi512ELi8ELb0EDF16_PKPKDF16_DF16_EviT4_llS4_lliPT5_PT3_.num_agpr, 0
	.set _ZL23rocblas_dot_kernel_inc1ILb0ELi512ELi8ELb0EDF16_PKPKDF16_DF16_EviT4_llS4_lliPT5_PT3_.numbered_sgpr, 38
	.set _ZL23rocblas_dot_kernel_inc1ILb0ELi512ELi8ELb0EDF16_PKPKDF16_DF16_EviT4_llS4_lliPT5_PT3_.num_named_barrier, 0
	.set _ZL23rocblas_dot_kernel_inc1ILb0ELi512ELi8ELb0EDF16_PKPKDF16_DF16_EviT4_llS4_lliPT5_PT3_.private_seg_size, 0
	.set _ZL23rocblas_dot_kernel_inc1ILb0ELi512ELi8ELb0EDF16_PKPKDF16_DF16_EviT4_llS4_lliPT5_PT3_.uses_vcc, 1
	.set _ZL23rocblas_dot_kernel_inc1ILb0ELi512ELi8ELb0EDF16_PKPKDF16_DF16_EviT4_llS4_lliPT5_PT3_.uses_flat_scratch, 0
	.set _ZL23rocblas_dot_kernel_inc1ILb0ELi512ELi8ELb0EDF16_PKPKDF16_DF16_EviT4_llS4_lliPT5_PT3_.has_dyn_sized_stack, 0
	.set _ZL23rocblas_dot_kernel_inc1ILb0ELi512ELi8ELb0EDF16_PKPKDF16_DF16_EviT4_llS4_lliPT5_PT3_.has_recursion, 0
	.set _ZL23rocblas_dot_kernel_inc1ILb0ELi512ELi8ELb0EDF16_PKPKDF16_DF16_EviT4_llS4_lliPT5_PT3_.has_indirect_call, 0
	.section	.AMDGPU.csdata,"",@progbits
; Kernel info:
; codeLenInByte = 1156
; TotalNumSgprs: 40
; NumVgprs: 18
; ScratchSize: 0
; MemoryBound: 0
; FloatMode: 240
; IeeeMode: 1
; LDSByteSize: 64 bytes/workgroup (compile time only)
; SGPRBlocks: 0
; VGPRBlocks: 1
; NumSGPRsForWavesPerEU: 40
; NumVGPRsForWavesPerEU: 18
; NamedBarCnt: 0
; Occupancy: 16
; WaveLimiterHint : 1
; COMPUTE_PGM_RSRC2:SCRATCH_EN: 0
; COMPUTE_PGM_RSRC2:USER_SGPR: 2
; COMPUTE_PGM_RSRC2:TRAP_HANDLER: 0
; COMPUTE_PGM_RSRC2:TGID_X_EN: 1
; COMPUTE_PGM_RSRC2:TGID_Y_EN: 0
; COMPUTE_PGM_RSRC2:TGID_Z_EN: 1
; COMPUTE_PGM_RSRC2:TIDIG_COMP_CNT: 0
	.section	.text._ZL18rocblas_dot_kernelIiLb0ELi512ELi8ELb0EDF16_PKPKDF16_DF16_EviT5_lT_lS4_lS5_liPT6_PT4_,"axG",@progbits,_ZL18rocblas_dot_kernelIiLb0ELi512ELi8ELb0EDF16_PKPKDF16_DF16_EviT5_lT_lS4_lS5_liPT6_PT4_,comdat
	.globl	_ZL18rocblas_dot_kernelIiLb0ELi512ELi8ELb0EDF16_PKPKDF16_DF16_EviT5_lT_lS4_lS5_liPT6_PT4_ ; -- Begin function _ZL18rocblas_dot_kernelIiLb0ELi512ELi8ELb0EDF16_PKPKDF16_DF16_EviT5_lT_lS4_lS5_liPT6_PT4_
	.p2align	8
	.type	_ZL18rocblas_dot_kernelIiLb0ELi512ELi8ELb0EDF16_PKPKDF16_DF16_EviT5_lT_lS4_lS5_liPT6_PT4_,@function
_ZL18rocblas_dot_kernelIiLb0ELi512ELi8ELb0EDF16_PKPKDF16_DF16_EviT5_lT_lS4_lS5_liPT6_PT4_: ; @_ZL18rocblas_dot_kernelIiLb0ELi512ELi8ELb0EDF16_PKPKDF16_DF16_EviT5_lT_lS4_lS5_liPT6_PT4_
; %bb.0:
	s_load_b32 s30, s[0:1], 0x48
	s_bfe_u32 s2, ttmp6, 0x40014
	s_lshr_b32 s3, ttmp7, 16
	s_add_co_i32 s2, s2, 1
	s_bfe_u32 s5, ttmp6, 0x40008
	s_mul_i32 s4, s3, s2
	s_getreg_b32 s2, hwreg(HW_REG_IB_STS2, 6, 4)
	s_add_co_i32 s5, s5, s4
	s_cmp_eq_u32 s2, 0
	s_mov_b32 s17, 0
	s_cselect_b32 s16, s3, s5
	s_wait_kmcnt 0x0
	s_cmp_ge_u32 s16, s30
	s_cbranch_scc1 .LBB76_20
; %bb.1:
	v_mbcnt_lo_u32_b32 v2, -1, 0
	s_clause 0x6
	s_load_b32 s22, s[0:1], 0x18
	s_load_b32 s26, s[0:1], 0x38
	;; [unrolled: 1-line block ×3, first 2 shown]
	s_load_b128 s[4:7], s[0:1], 0x50
	s_load_b128 s[8:11], s[0:1], 0x28
	;; [unrolled: 1-line block ×3, first 2 shown]
	s_load_b32 s31, s[0:1], 0x0
	s_bfe_u32 s3, ttmp6, 0x4000c
	s_wait_xcnt 0x0
	s_and_b32 s1, ttmp6, 15
	s_add_co_i32 s3, s3, 1
	v_cmp_gt_u32_e32 vcc_lo, 24, v2
	s_mul_i32 s3, ttmp9, s3
	v_and_b32_e32 v1, 31, v0
	s_add_co_i32 s1, s1, s3
	s_mov_b32 s25, s17
	v_cndmask_b32_e64 v3, 0, 8, vcc_lo
	v_cmp_gt_u32_e32 vcc_lo, 28, v2
	v_cmp_gt_u32_e64 s0, 32, v0
	v_lshl_or_b32 v5, v2, 2, 64
	v_cmp_eq_u32_e64 s3, 0, v0
	s_wait_kmcnt 0x0
	s_ashr_i32 s23, s22, 31
	v_cndmask_b32_e64 v8, 0, 4, vcc_lo
	v_cmp_gt_u32_e32 vcc_lo, 30, v2
	s_ashr_i32 s27, s26, 31
	s_cmp_eq_u32 s2, 0
	v_add_lshl_u32 v7, v3, v2, 2
	s_cselect_b32 s24, ttmp9, s1
	v_cndmask_b32_e64 v9, 0, 2, vcc_lo
	v_cmp_ne_u32_e32 vcc_lo, 31, v2
	s_cmp_lg_u32 s18, 1
	v_lshrrev_b32_e32 v3, 4, v0
	s_cselect_b32 s33, -1, 0
	s_lshl_b32 s20, s18, 9
	v_add_co_ci_u32_e64 v10, null, 0, v2, vcc_lo
	v_lshl_or_b32 v6, s24, 9, v0
	s_lshl_b64 s[24:25], s[24:25], 1
	s_ashr_i32 s21, s20, 31
	s_delay_alu instid0(VALU_DEP_2)
	v_dual_lshlrev_b32 v4, 1, v1 :: v_dual_lshlrev_b32 v10, 2, v10
	v_add_lshl_u32 v8, v8, v2, 2
	v_add_lshl_u32 v9, v9, v2, 2
	v_cmp_eq_u32_e64 s1, 0, v1
	v_dual_mov_b32 v12, 0 :: v_dual_bitop2_b32 v11, 30, v3 bitop3:0x40
	v_cmp_gt_u32_e64 s2, 16, v0
	s_add_nc_u64 s[4:5], s[4:5], s[24:25]
	s_mul_u64 s[24:25], s[22:23], s[20:21]
	s_mul_u64 s[28:29], s[26:27], s[20:21]
	s_mov_b32 s19, s17
	s_lshl_b64 s[14:15], s[14:15], 1
	s_lshl_b64 s[22:23], s[22:23], 1
	;; [unrolled: 1-line block ×6, first 2 shown]
	s_branch .LBB76_3
.LBB76_2:                               ;   in Loop: Header=BB76_3 Depth=1
	s_wait_xcnt 0x0
	s_or_b32 exec_lo, exec_lo, s21
	s_add_co_i32 s16, s16, 0x10000
	s_delay_alu instid0(SALU_CYCLE_1)
	s_cmp_lt_u32 s16, s30
	s_cbranch_scc0 .LBB76_20
.LBB76_3:                               ; =>This Loop Header: Depth=1
                                        ;     Child Loop BB76_5 Depth 2
	v_mov_b32_e32 v13, 0
	s_mov_b32 s21, exec_lo
	v_cmpx_gt_i32_e64 s31, v6
	s_cbranch_execz .LBB76_7
; %bb.4:                                ;   in Loop: Header=BB76_3 Depth=1
	s_lshl_b64 s[34:35], s[16:17], 3
	v_ashrrev_i32_e32 v13, 31, v6
	s_add_nc_u64 s[36:37], s[12:13], s[34:35]
	s_add_nc_u64 s[34:35], s[8:9], s[34:35]
	s_load_b64 s[38:39], s[36:37], 0x0
	s_load_b64 s[40:41], s[34:35], 0x0
	s_wait_kmcnt 0x0
	s_wait_xcnt 0x0
	s_add_nc_u64 s[34:35], s[38:39], s[14:15]
	s_add_nc_u64 s[36:37], s[40:41], s[10:11]
	s_wait_dscnt 0x0
	v_mad_nc_u64_u32 v[0:1], s22, v6, s[34:35]
	v_mad_nc_u64_u32 v[2:3], s26, v6, s[36:37]
	s_mov_b32 s34, 0
	s_mov_b32 s35, 0
	s_delay_alu instid0(VALU_DEP_2) | instskip(NEXT) | instid1(VALU_DEP_2)
	v_mad_u32 v1, s23, v6, v1
	v_mad_u32 v3, s27, v6, v3
	s_delay_alu instid0(VALU_DEP_2) | instskip(NEXT) | instid1(VALU_DEP_2)
	v_mad_u32 v1, s22, v13, v1
	v_mad_u32 v3, s26, v13, v3
	v_mov_b32_e32 v13, 0
.LBB76_5:                               ;   Parent Loop BB76_3 Depth=1
                                        ; =>  This Inner Loop Header: Depth=2
	flat_load_u16 v14, v[2:3]
	flat_load_u16 v15, v[0:1]
	v_add_nc_u32_e32 v6, s20, v6
	s_add_co_i32 s36, s35, 1
	s_cmp_gt_u32 s35, 6
	s_wait_xcnt 0x0
	v_add_nc_u64_e32 v[0:1], s[24:25], v[0:1]
	s_cselect_b32 s35, -1, 0
	v_cmp_le_i32_e32 vcc_lo, s31, v6
	v_add_nc_u64_e32 v[2:3], s[28:29], v[2:3]
	s_or_b32 s35, s35, vcc_lo
	s_delay_alu instid0(SALU_CYCLE_1) | instskip(NEXT) | instid1(SALU_CYCLE_1)
	s_and_b32 s35, exec_lo, s35
	s_or_b32 s34, s35, s34
	s_mov_b32 s35, s36
	s_wait_loadcnt_dscnt 0x0
	v_fmac_f16_e32 v13, v14, v15
	s_and_not1_b32 exec_lo, exec_lo, s34
	s_cbranch_execnz .LBB76_5
; %bb.6:                                ;   in Loop: Header=BB76_3 Depth=1
	s_or_b32 exec_lo, exec_lo, s34
.LBB76_7:                               ;   in Loop: Header=BB76_3 Depth=1
	s_delay_alu instid0(SALU_CYCLE_1)
	s_or_b32 exec_lo, exec_lo, s21
	s_and_saveexec_b32 s21, s0
; %bb.8:                                ;   in Loop: Header=BB76_3 Depth=1
	ds_store_b16 v4, v12
; %bb.9:                                ;   in Loop: Header=BB76_3 Depth=1
	s_or_b32 exec_lo, exec_lo, s21
	s_wait_dscnt 0x0
	v_and_b32_e32 v0, 0xffff, v13
	s_wait_dscnt 0x0
	s_barrier_signal -1
	s_barrier_wait -1
	ds_bpermute_b32 v0, v5, v0
	s_wait_dscnt 0x0
	v_add_f16_e32 v1, v13, v0
	s_delay_alu instid0(VALU_DEP_1) | instskip(NEXT) | instid1(VALU_DEP_1)
	v_and_b32_e32 v2, 0xffff, v1
	v_and_or_b32 v0, 0xffff0000, v0, v2
	ds_bpermute_b32 v0, v7, v0
	s_wait_dscnt 0x0
	v_add_f16_e32 v1, v1, v0
	s_delay_alu instid0(VALU_DEP_1) | instskip(NEXT) | instid1(VALU_DEP_1)
	v_and_b32_e32 v2, 0xffff, v1
	v_and_or_b32 v0, 0xffff0000, v0, v2
	;; [unrolled: 6-line block ×4, first 2 shown]
	ds_bpermute_b32 v1, v10, v1
	s_and_saveexec_b32 s21, s1
	s_cbranch_execz .LBB76_11
; %bb.10:                               ;   in Loop: Header=BB76_3 Depth=1
	s_wait_dscnt 0x0
	v_add_f16_e32 v0, v0, v1
	ds_store_b16 v11, v0
.LBB76_11:                              ;   in Loop: Header=BB76_3 Depth=1
	s_or_b32 exec_lo, exec_lo, s21
	v_mov_b32_e32 v0, 0
	s_wait_dscnt 0x0
	s_barrier_signal -1
	s_barrier_wait -1
	s_and_saveexec_b32 s21, s2
	s_cbranch_execnz .LBB76_14
; %bb.12:                               ;   in Loop: Header=BB76_3 Depth=1
	s_or_b32 exec_lo, exec_lo, s21
	s_and_saveexec_b32 s21, s0
	s_cbranch_execnz .LBB76_15
.LBB76_13:                              ;   in Loop: Header=BB76_3 Depth=1
	s_or_b32 exec_lo, exec_lo, s21
	s_and_saveexec_b32 s21, s3
	s_cbranch_execz .LBB76_2
	s_branch .LBB76_16
.LBB76_14:                              ;   in Loop: Header=BB76_3 Depth=1
	ds_load_u16 v0, v4
	s_or_b32 exec_lo, exec_lo, s21
	s_and_saveexec_b32 s21, s0
	s_cbranch_execz .LBB76_13
.LBB76_15:                              ;   in Loop: Header=BB76_3 Depth=1
	s_wait_dscnt 0x0
	v_and_b32_e32 v1, 0xffff, v0
	ds_bpermute_b32 v1, v7, v1
	s_wait_dscnt 0x0
	v_add_f16_e32 v0, v0, v1
	s_delay_alu instid0(VALU_DEP_1) | instskip(NEXT) | instid1(VALU_DEP_1)
	v_and_b32_e32 v2, 0xffff, v0
	v_and_or_b32 v1, 0xffff0000, v1, v2
	ds_bpermute_b32 v1, v8, v1
	s_wait_dscnt 0x0
	v_add_f16_e32 v0, v0, v1
	s_delay_alu instid0(VALU_DEP_1) | instskip(NEXT) | instid1(VALU_DEP_1)
	v_and_b32_e32 v2, 0xffff, v0
	v_and_or_b32 v1, 0xffff0000, v1, v2
	ds_bpermute_b32 v1, v9, v1
	s_wait_dscnt 0x0
	v_add_f16_e32 v0, v0, v1
	s_delay_alu instid0(VALU_DEP_1) | instskip(NEXT) | instid1(VALU_DEP_1)
	v_and_b32_e32 v2, 0xffff, v0
	v_and_or_b32 v1, 0xffff0000, v1, v2
	ds_bpermute_b32 v1, v10, v1
	s_wait_dscnt 0x0
	v_add_f16_e32 v0, v0, v1
	s_or_b32 exec_lo, exec_lo, s21
	s_and_saveexec_b32 s21, s3
	s_cbranch_execz .LBB76_2
.LBB76_16:                              ;   in Loop: Header=BB76_3 Depth=1
	s_and_b32 vcc_lo, exec_lo, s33
	s_mov_b32 s34, -1
	s_cbranch_vccz .LBB76_18
; %bb.17:                               ;   in Loop: Header=BB76_3 Depth=1
	s_mul_u64 s[34:35], s[18:19], s[16:17]
	s_delay_alu instid0(SALU_CYCLE_1) | instskip(NEXT) | instid1(SALU_CYCLE_1)
	s_lshl_b64 s[34:35], s[34:35], 1
	s_add_nc_u64 s[36:37], s[4:5], s[34:35]
	s_mov_b32 s34, 0
	s_wait_dscnt 0x0
	global_store_b16 v12, v0, s[36:37]
.LBB76_18:                              ;   in Loop: Header=BB76_3 Depth=1
	s_and_not1_b32 vcc_lo, exec_lo, s34
	s_cbranch_vccnz .LBB76_2
; %bb.19:                               ;   in Loop: Header=BB76_3 Depth=1
	s_lshl_b64 s[34:35], s[16:17], 1
	s_delay_alu instid0(SALU_CYCLE_1)
	s_add_nc_u64 s[34:35], s[6:7], s[34:35]
	s_wait_dscnt 0x0
	global_store_b16 v12, v0, s[34:35]
	s_branch .LBB76_2
.LBB76_20:
	s_endpgm
	.section	.rodata,"a",@progbits
	.p2align	6, 0x0
	.amdhsa_kernel _ZL18rocblas_dot_kernelIiLb0ELi512ELi8ELb0EDF16_PKPKDF16_DF16_EviT5_lT_lS4_lS5_liPT6_PT4_
		.amdhsa_group_segment_fixed_size 64
		.amdhsa_private_segment_fixed_size 0
		.amdhsa_kernarg_size 352
		.amdhsa_user_sgpr_count 2
		.amdhsa_user_sgpr_dispatch_ptr 0
		.amdhsa_user_sgpr_queue_ptr 0
		.amdhsa_user_sgpr_kernarg_segment_ptr 1
		.amdhsa_user_sgpr_dispatch_id 0
		.amdhsa_user_sgpr_kernarg_preload_length 0
		.amdhsa_user_sgpr_kernarg_preload_offset 0
		.amdhsa_user_sgpr_private_segment_size 0
		.amdhsa_wavefront_size32 1
		.amdhsa_uses_dynamic_stack 0
		.amdhsa_enable_private_segment 0
		.amdhsa_system_sgpr_workgroup_id_x 1
		.amdhsa_system_sgpr_workgroup_id_y 0
		.amdhsa_system_sgpr_workgroup_id_z 1
		.amdhsa_system_sgpr_workgroup_info 0
		.amdhsa_system_vgpr_workitem_id 0
		.amdhsa_next_free_vgpr 16
		.amdhsa_next_free_sgpr 42
		.amdhsa_named_barrier_count 0
		.amdhsa_reserve_vcc 1
		.amdhsa_float_round_mode_32 0
		.amdhsa_float_round_mode_16_64 0
		.amdhsa_float_denorm_mode_32 3
		.amdhsa_float_denorm_mode_16_64 3
		.amdhsa_fp16_overflow 0
		.amdhsa_memory_ordered 1
		.amdhsa_forward_progress 1
		.amdhsa_inst_pref_size 10
		.amdhsa_round_robin_scheduling 0
		.amdhsa_exception_fp_ieee_invalid_op 0
		.amdhsa_exception_fp_denorm_src 0
		.amdhsa_exception_fp_ieee_div_zero 0
		.amdhsa_exception_fp_ieee_overflow 0
		.amdhsa_exception_fp_ieee_underflow 0
		.amdhsa_exception_fp_ieee_inexact 0
		.amdhsa_exception_int_div_zero 0
	.end_amdhsa_kernel
	.section	.text._ZL18rocblas_dot_kernelIiLb0ELi512ELi8ELb0EDF16_PKPKDF16_DF16_EviT5_lT_lS4_lS5_liPT6_PT4_,"axG",@progbits,_ZL18rocblas_dot_kernelIiLb0ELi512ELi8ELb0EDF16_PKPKDF16_DF16_EviT5_lT_lS4_lS5_liPT6_PT4_,comdat
.Lfunc_end76:
	.size	_ZL18rocblas_dot_kernelIiLb0ELi512ELi8ELb0EDF16_PKPKDF16_DF16_EviT5_lT_lS4_lS5_liPT6_PT4_, .Lfunc_end76-_ZL18rocblas_dot_kernelIiLb0ELi512ELi8ELb0EDF16_PKPKDF16_DF16_EviT5_lT_lS4_lS5_liPT6_PT4_
                                        ; -- End function
	.set _ZL18rocblas_dot_kernelIiLb0ELi512ELi8ELb0EDF16_PKPKDF16_DF16_EviT5_lT_lS4_lS5_liPT6_PT4_.num_vgpr, 16
	.set _ZL18rocblas_dot_kernelIiLb0ELi512ELi8ELb0EDF16_PKPKDF16_DF16_EviT5_lT_lS4_lS5_liPT6_PT4_.num_agpr, 0
	.set _ZL18rocblas_dot_kernelIiLb0ELi512ELi8ELb0EDF16_PKPKDF16_DF16_EviT5_lT_lS4_lS5_liPT6_PT4_.numbered_sgpr, 42
	.set _ZL18rocblas_dot_kernelIiLb0ELi512ELi8ELb0EDF16_PKPKDF16_DF16_EviT5_lT_lS4_lS5_liPT6_PT4_.num_named_barrier, 0
	.set _ZL18rocblas_dot_kernelIiLb0ELi512ELi8ELb0EDF16_PKPKDF16_DF16_EviT5_lT_lS4_lS5_liPT6_PT4_.private_seg_size, 0
	.set _ZL18rocblas_dot_kernelIiLb0ELi512ELi8ELb0EDF16_PKPKDF16_DF16_EviT5_lT_lS4_lS5_liPT6_PT4_.uses_vcc, 1
	.set _ZL18rocblas_dot_kernelIiLb0ELi512ELi8ELb0EDF16_PKPKDF16_DF16_EviT5_lT_lS4_lS5_liPT6_PT4_.uses_flat_scratch, 0
	.set _ZL18rocblas_dot_kernelIiLb0ELi512ELi8ELb0EDF16_PKPKDF16_DF16_EviT5_lT_lS4_lS5_liPT6_PT4_.has_dyn_sized_stack, 0
	.set _ZL18rocblas_dot_kernelIiLb0ELi512ELi8ELb0EDF16_PKPKDF16_DF16_EviT5_lT_lS4_lS5_liPT6_PT4_.has_recursion, 0
	.set _ZL18rocblas_dot_kernelIiLb0ELi512ELi8ELb0EDF16_PKPKDF16_DF16_EviT5_lT_lS4_lS5_liPT6_PT4_.has_indirect_call, 0
	.section	.AMDGPU.csdata,"",@progbits
; Kernel info:
; codeLenInByte = 1240
; TotalNumSgprs: 44
; NumVgprs: 16
; ScratchSize: 0
; MemoryBound: 0
; FloatMode: 240
; IeeeMode: 1
; LDSByteSize: 64 bytes/workgroup (compile time only)
; SGPRBlocks: 0
; VGPRBlocks: 0
; NumSGPRsForWavesPerEU: 44
; NumVGPRsForWavesPerEU: 16
; NamedBarCnt: 0
; Occupancy: 16
; WaveLimiterHint : 0
; COMPUTE_PGM_RSRC2:SCRATCH_EN: 0
; COMPUTE_PGM_RSRC2:USER_SGPR: 2
; COMPUTE_PGM_RSRC2:TRAP_HANDLER: 0
; COMPUTE_PGM_RSRC2:TGID_X_EN: 1
; COMPUTE_PGM_RSRC2:TGID_Y_EN: 0
; COMPUTE_PGM_RSRC2:TGID_Z_EN: 1
; COMPUTE_PGM_RSRC2:TIDIG_COMP_CNT: 0
	.section	.text._ZL24rocblas_dot_kernel_magsqIiLb0ELi512ELi8ELb0EDF16_PKPKDF16_DF16_EviT5_lT_liPT6_PT4_,"axG",@progbits,_ZL24rocblas_dot_kernel_magsqIiLb0ELi512ELi8ELb0EDF16_PKPKDF16_DF16_EviT5_lT_liPT6_PT4_,comdat
	.globl	_ZL24rocblas_dot_kernel_magsqIiLb0ELi512ELi8ELb0EDF16_PKPKDF16_DF16_EviT5_lT_liPT6_PT4_ ; -- Begin function _ZL24rocblas_dot_kernel_magsqIiLb0ELi512ELi8ELb0EDF16_PKPKDF16_DF16_EviT5_lT_liPT6_PT4_
	.p2align	8
	.type	_ZL24rocblas_dot_kernel_magsqIiLb0ELi512ELi8ELb0EDF16_PKPKDF16_DF16_EviT5_lT_liPT6_PT4_,@function
_ZL24rocblas_dot_kernel_magsqIiLb0ELi512ELi8ELb0EDF16_PKPKDF16_DF16_EviT5_lT_liPT6_PT4_: ; @_ZL24rocblas_dot_kernel_magsqIiLb0ELi512ELi8ELb0EDF16_PKPKDF16_DF16_EviT5_lT_liPT6_PT4_
; %bb.0:
	s_load_b32 s22, s[0:1], 0x28
	s_bfe_u32 s2, ttmp6, 0x40014
	s_lshr_b32 s3, ttmp7, 16
	s_add_co_i32 s2, s2, 1
	s_bfe_u32 s5, ttmp6, 0x40008
	s_mul_i32 s4, s3, s2
	s_getreg_b32 s2, hwreg(HW_REG_IB_STS2, 6, 4)
	s_add_co_i32 s5, s5, s4
	s_cmp_eq_u32 s2, 0
	s_mov_b32 s13, 0
	s_cselect_b32 s12, s3, s5
	s_wait_kmcnt 0x0
	s_cmp_ge_u32 s12, s22
	s_cbranch_scc1 .LBB77_20
; %bb.1:
	v_mbcnt_lo_u32_b32 v7, -1, 0
	s_clause 0x4
	s_load_b32 s18, s[0:1], 0x18
	s_load_b32 s14, s[0:1], 0x40
	s_load_b128 s[4:7], s[0:1], 0x30
	s_load_b128 s[8:11], s[0:1], 0x8
	s_load_b32 s23, s[0:1], 0x0
	s_wait_xcnt 0x0
	s_bfe_u32 s0, ttmp6, 0x4000c
	s_and_b32 s1, ttmp6, 15
	s_add_co_i32 s3, s0, 1
	v_cmp_gt_u32_e32 vcc_lo, 24, v7
	s_mul_i32 s3, ttmp9, s3
	v_dual_lshrrev_b32 v10, 4, v0 :: v_dual_bitop2_b32 v1, 31, v0 bitop3:0x40
	s_add_co_i32 s1, s1, s3
	v_cndmask_b32_e64 v5, 0, 8, vcc_lo
	v_cmp_gt_u32_e32 vcc_lo, 28, v7
	s_mov_b32 s21, s13
	v_cmp_gt_u32_e64 s0, 32, v0
	v_lshlrev_b32_e32 v2, 1, v1
	v_lshl_or_b32 v3, v7, 2, 64
	v_cndmask_b32_e64 v6, 0, 4, vcc_lo
	v_cmp_gt_u32_e32 vcc_lo, 30, v7
	s_wait_kmcnt 0x0
	s_ashr_i32 s19, s18, 31
	s_cmp_eq_u32 s2, 0
	v_add_lshl_u32 v5, v5, v7, 2
	s_cselect_b32 s20, ttmp9, s1
	v_cndmask_b32_e64 v8, 0, 2, vcc_lo
	v_cmp_ne_u32_e32 vcc_lo, 31, v7
	s_cmp_lg_u32 s14, 1
	v_lshl_or_b32 v4, s20, 9, v0
	s_cselect_b32 s24, -1, 0
	s_lshl_b32 s16, s14, 9
	v_add_co_ci_u32_e64 v9, null, 0, v7, vcc_lo
	s_lshl_b64 s[20:21], s[20:21], 1
	s_ashr_i32 s17, s16, 31
	v_add_lshl_u32 v6, v6, v7, 2
	v_add_lshl_u32 v7, v8, v7, 2
	v_lshlrev_b32_e32 v8, 2, v9
	v_cmp_eq_u32_e64 s1, 0, v1
	v_and_b32_e32 v9, 30, v10
	v_cmp_gt_u32_e64 s2, 16, v0
	v_cmp_eq_u32_e64 s3, 0, v0
	v_mov_b32_e32 v10, 0
	s_add_nc_u64 s[4:5], s[4:5], s[20:21]
	s_mul_u64 s[20:21], s[18:19], s[16:17]
	s_mov_b32 s15, s13
	s_lshl_b64 s[10:11], s[10:11], 1
	s_lshl_b64 s[18:19], s[18:19], 1
	;; [unrolled: 1-line block ×3, first 2 shown]
	s_branch .LBB77_3
.LBB77_2:                               ;   in Loop: Header=BB77_3 Depth=1
	s_wait_xcnt 0x0
	s_or_b32 exec_lo, exec_lo, s17
	s_add_co_i32 s12, s12, 0x10000
	s_delay_alu instid0(SALU_CYCLE_1)
	s_cmp_lt_u32 s12, s22
	s_cbranch_scc0 .LBB77_20
.LBB77_3:                               ; =>This Loop Header: Depth=1
                                        ;     Child Loop BB77_5 Depth 2
	v_mov_b32_e32 v11, 0
	s_mov_b32 s17, exec_lo
	v_cmpx_gt_i32_e64 s23, v4
	s_cbranch_execz .LBB77_7
; %bb.4:                                ;   in Loop: Header=BB77_3 Depth=1
	s_lshl_b64 s[26:27], s[12:13], 3
	v_ashrrev_i32_e32 v11, 31, v4
	s_add_nc_u64 s[26:27], s[8:9], s[26:27]
	s_mov_b32 s25, 0
	s_load_b64 s[26:27], s[26:27], 0x0
	s_wait_kmcnt 0x0
	s_wait_xcnt 0x0
	s_add_nc_u64 s[26:27], s[26:27], s[10:11]
	s_wait_dscnt 0x0
	v_mad_nc_u64_u32 v[0:1], s18, v4, s[26:27]
	s_mov_b32 s26, 0
	s_delay_alu instid0(VALU_DEP_1) | instskip(NEXT) | instid1(VALU_DEP_1)
	v_mad_u32 v1, s19, v4, v1
	v_mad_u32 v1, s18, v11, v1
	v_mov_b32_e32 v11, 0
.LBB77_5:                               ;   Parent Loop BB77_3 Depth=1
                                        ; =>  This Inner Loop Header: Depth=2
	flat_load_u16 v12, v[0:1]
	v_add_nc_u32_e32 v4, s16, v4
	s_add_co_i32 s27, s26, 1
	s_cmp_gt_u32 s26, 6
	s_wait_xcnt 0x0
	v_add_nc_u64_e32 v[0:1], s[20:21], v[0:1]
	s_cselect_b32 s26, -1, 0
	v_cmp_le_i32_e32 vcc_lo, s23, v4
	s_or_b32 s26, s26, vcc_lo
	s_delay_alu instid0(SALU_CYCLE_1) | instskip(NEXT) | instid1(SALU_CYCLE_1)
	s_and_b32 s26, exec_lo, s26
	s_or_b32 s25, s26, s25
	s_mov_b32 s26, s27
	s_wait_loadcnt_dscnt 0x0
	v_fmac_f16_e32 v11, v12, v12
	s_and_not1_b32 exec_lo, exec_lo, s25
	s_cbranch_execnz .LBB77_5
; %bb.6:                                ;   in Loop: Header=BB77_3 Depth=1
	s_or_b32 exec_lo, exec_lo, s25
.LBB77_7:                               ;   in Loop: Header=BB77_3 Depth=1
	s_delay_alu instid0(SALU_CYCLE_1)
	s_or_b32 exec_lo, exec_lo, s17
	s_and_saveexec_b32 s17, s0
; %bb.8:                                ;   in Loop: Header=BB77_3 Depth=1
	ds_store_b16 v2, v10
; %bb.9:                                ;   in Loop: Header=BB77_3 Depth=1
	s_or_b32 exec_lo, exec_lo, s17
	s_wait_dscnt 0x0
	v_and_b32_e32 v0, 0xffff, v11
	s_wait_dscnt 0x0
	s_barrier_signal -1
	s_barrier_wait -1
	ds_bpermute_b32 v0, v3, v0
	s_wait_dscnt 0x0
	v_add_f16_e32 v1, v11, v0
	s_delay_alu instid0(VALU_DEP_1) | instskip(NEXT) | instid1(VALU_DEP_1)
	v_and_b32_e32 v11, 0xffff, v1
	v_and_or_b32 v0, 0xffff0000, v0, v11
	ds_bpermute_b32 v0, v5, v0
	s_wait_dscnt 0x0
	v_add_f16_e32 v1, v1, v0
	s_delay_alu instid0(VALU_DEP_1) | instskip(NEXT) | instid1(VALU_DEP_1)
	v_and_b32_e32 v11, 0xffff, v1
	v_and_or_b32 v0, 0xffff0000, v0, v11
	;; [unrolled: 6-line block ×4, first 2 shown]
	ds_bpermute_b32 v1, v8, v1
	s_and_saveexec_b32 s17, s1
	s_cbranch_execz .LBB77_11
; %bb.10:                               ;   in Loop: Header=BB77_3 Depth=1
	s_wait_dscnt 0x0
	v_add_f16_e32 v0, v0, v1
	ds_store_b16 v9, v0
.LBB77_11:                              ;   in Loop: Header=BB77_3 Depth=1
	s_or_b32 exec_lo, exec_lo, s17
	v_mov_b32_e32 v0, 0
	s_wait_dscnt 0x0
	s_barrier_signal -1
	s_barrier_wait -1
	s_and_saveexec_b32 s17, s2
	s_cbranch_execnz .LBB77_14
; %bb.12:                               ;   in Loop: Header=BB77_3 Depth=1
	s_or_b32 exec_lo, exec_lo, s17
	s_and_saveexec_b32 s17, s0
	s_cbranch_execnz .LBB77_15
.LBB77_13:                              ;   in Loop: Header=BB77_3 Depth=1
	s_or_b32 exec_lo, exec_lo, s17
	s_and_saveexec_b32 s17, s3
	s_cbranch_execz .LBB77_2
	s_branch .LBB77_16
.LBB77_14:                              ;   in Loop: Header=BB77_3 Depth=1
	ds_load_u16 v0, v2
	s_or_b32 exec_lo, exec_lo, s17
	s_and_saveexec_b32 s17, s0
	s_cbranch_execz .LBB77_13
.LBB77_15:                              ;   in Loop: Header=BB77_3 Depth=1
	s_wait_dscnt 0x0
	v_and_b32_e32 v1, 0xffff, v0
	ds_bpermute_b32 v1, v5, v1
	s_wait_dscnt 0x0
	v_add_f16_e32 v0, v0, v1
	s_delay_alu instid0(VALU_DEP_1) | instskip(NEXT) | instid1(VALU_DEP_1)
	v_and_b32_e32 v11, 0xffff, v0
	v_and_or_b32 v1, 0xffff0000, v1, v11
	ds_bpermute_b32 v1, v6, v1
	s_wait_dscnt 0x0
	v_add_f16_e32 v0, v0, v1
	s_delay_alu instid0(VALU_DEP_1) | instskip(NEXT) | instid1(VALU_DEP_1)
	v_and_b32_e32 v11, 0xffff, v0
	v_and_or_b32 v1, 0xffff0000, v1, v11
	;; [unrolled: 6-line block ×3, first 2 shown]
	ds_bpermute_b32 v1, v8, v1
	s_wait_dscnt 0x0
	v_add_f16_e32 v0, v0, v1
	s_or_b32 exec_lo, exec_lo, s17
	s_and_saveexec_b32 s17, s3
	s_cbranch_execz .LBB77_2
.LBB77_16:                              ;   in Loop: Header=BB77_3 Depth=1
	s_and_b32 vcc_lo, exec_lo, s24
	s_mov_b32 s25, -1
	s_cbranch_vccz .LBB77_18
; %bb.17:                               ;   in Loop: Header=BB77_3 Depth=1
	s_mul_u64 s[26:27], s[14:15], s[12:13]
	s_mov_b32 s25, 0
	s_lshl_b64 s[26:27], s[26:27], 1
	s_delay_alu instid0(SALU_CYCLE_1)
	s_add_nc_u64 s[26:27], s[4:5], s[26:27]
	s_wait_dscnt 0x0
	global_store_b16 v10, v0, s[26:27]
.LBB77_18:                              ;   in Loop: Header=BB77_3 Depth=1
	s_and_not1_b32 vcc_lo, exec_lo, s25
	s_cbranch_vccnz .LBB77_2
; %bb.19:                               ;   in Loop: Header=BB77_3 Depth=1
	s_wait_xcnt 0x0
	s_lshl_b64 s[26:27], s[12:13], 1
	s_delay_alu instid0(SALU_CYCLE_1)
	s_add_nc_u64 s[26:27], s[6:7], s[26:27]
	s_wait_dscnt 0x0
	global_store_b16 v10, v0, s[26:27]
	s_branch .LBB77_2
.LBB77_20:
	s_endpgm
	.section	.rodata,"a",@progbits
	.p2align	6, 0x0
	.amdhsa_kernel _ZL24rocblas_dot_kernel_magsqIiLb0ELi512ELi8ELb0EDF16_PKPKDF16_DF16_EviT5_lT_liPT6_PT4_
		.amdhsa_group_segment_fixed_size 64
		.amdhsa_private_segment_fixed_size 0
		.amdhsa_kernarg_size 320
		.amdhsa_user_sgpr_count 2
		.amdhsa_user_sgpr_dispatch_ptr 0
		.amdhsa_user_sgpr_queue_ptr 0
		.amdhsa_user_sgpr_kernarg_segment_ptr 1
		.amdhsa_user_sgpr_dispatch_id 0
		.amdhsa_user_sgpr_kernarg_preload_length 0
		.amdhsa_user_sgpr_kernarg_preload_offset 0
		.amdhsa_user_sgpr_private_segment_size 0
		.amdhsa_wavefront_size32 1
		.amdhsa_uses_dynamic_stack 0
		.amdhsa_enable_private_segment 0
		.amdhsa_system_sgpr_workgroup_id_x 1
		.amdhsa_system_sgpr_workgroup_id_y 0
		.amdhsa_system_sgpr_workgroup_id_z 1
		.amdhsa_system_sgpr_workgroup_info 0
		.amdhsa_system_vgpr_workitem_id 0
		.amdhsa_next_free_vgpr 13
		.amdhsa_next_free_sgpr 28
		.amdhsa_named_barrier_count 0
		.amdhsa_reserve_vcc 1
		.amdhsa_float_round_mode_32 0
		.amdhsa_float_round_mode_16_64 0
		.amdhsa_float_denorm_mode_32 3
		.amdhsa_float_denorm_mode_16_64 3
		.amdhsa_fp16_overflow 0
		.amdhsa_memory_ordered 1
		.amdhsa_forward_progress 1
		.amdhsa_inst_pref_size 9
		.amdhsa_round_robin_scheduling 0
		.amdhsa_exception_fp_ieee_invalid_op 0
		.amdhsa_exception_fp_denorm_src 0
		.amdhsa_exception_fp_ieee_div_zero 0
		.amdhsa_exception_fp_ieee_overflow 0
		.amdhsa_exception_fp_ieee_underflow 0
		.amdhsa_exception_fp_ieee_inexact 0
		.amdhsa_exception_int_div_zero 0
	.end_amdhsa_kernel
	.section	.text._ZL24rocblas_dot_kernel_magsqIiLb0ELi512ELi8ELb0EDF16_PKPKDF16_DF16_EviT5_lT_liPT6_PT4_,"axG",@progbits,_ZL24rocblas_dot_kernel_magsqIiLb0ELi512ELi8ELb0EDF16_PKPKDF16_DF16_EviT5_lT_liPT6_PT4_,comdat
.Lfunc_end77:
	.size	_ZL24rocblas_dot_kernel_magsqIiLb0ELi512ELi8ELb0EDF16_PKPKDF16_DF16_EviT5_lT_liPT6_PT4_, .Lfunc_end77-_ZL24rocblas_dot_kernel_magsqIiLb0ELi512ELi8ELb0EDF16_PKPKDF16_DF16_EviT5_lT_liPT6_PT4_
                                        ; -- End function
	.set _ZL24rocblas_dot_kernel_magsqIiLb0ELi512ELi8ELb0EDF16_PKPKDF16_DF16_EviT5_lT_liPT6_PT4_.num_vgpr, 13
	.set _ZL24rocblas_dot_kernel_magsqIiLb0ELi512ELi8ELb0EDF16_PKPKDF16_DF16_EviT5_lT_liPT6_PT4_.num_agpr, 0
	.set _ZL24rocblas_dot_kernel_magsqIiLb0ELi512ELi8ELb0EDF16_PKPKDF16_DF16_EviT5_lT_liPT6_PT4_.numbered_sgpr, 28
	.set _ZL24rocblas_dot_kernel_magsqIiLb0ELi512ELi8ELb0EDF16_PKPKDF16_DF16_EviT5_lT_liPT6_PT4_.num_named_barrier, 0
	.set _ZL24rocblas_dot_kernel_magsqIiLb0ELi512ELi8ELb0EDF16_PKPKDF16_DF16_EviT5_lT_liPT6_PT4_.private_seg_size, 0
	.set _ZL24rocblas_dot_kernel_magsqIiLb0ELi512ELi8ELb0EDF16_PKPKDF16_DF16_EviT5_lT_liPT6_PT4_.uses_vcc, 1
	.set _ZL24rocblas_dot_kernel_magsqIiLb0ELi512ELi8ELb0EDF16_PKPKDF16_DF16_EviT5_lT_liPT6_PT4_.uses_flat_scratch, 0
	.set _ZL24rocblas_dot_kernel_magsqIiLb0ELi512ELi8ELb0EDF16_PKPKDF16_DF16_EviT5_lT_liPT6_PT4_.has_dyn_sized_stack, 0
	.set _ZL24rocblas_dot_kernel_magsqIiLb0ELi512ELi8ELb0EDF16_PKPKDF16_DF16_EviT5_lT_liPT6_PT4_.has_recursion, 0
	.set _ZL24rocblas_dot_kernel_magsqIiLb0ELi512ELi8ELb0EDF16_PKPKDF16_DF16_EviT5_lT_liPT6_PT4_.has_indirect_call, 0
	.section	.AMDGPU.csdata,"",@progbits
; Kernel info:
; codeLenInByte = 1140
; TotalNumSgprs: 30
; NumVgprs: 13
; ScratchSize: 0
; MemoryBound: 0
; FloatMode: 240
; IeeeMode: 1
; LDSByteSize: 64 bytes/workgroup (compile time only)
; SGPRBlocks: 0
; VGPRBlocks: 0
; NumSGPRsForWavesPerEU: 30
; NumVGPRsForWavesPerEU: 13
; NamedBarCnt: 0
; Occupancy: 16
; WaveLimiterHint : 0
; COMPUTE_PGM_RSRC2:SCRATCH_EN: 0
; COMPUTE_PGM_RSRC2:USER_SGPR: 2
; COMPUTE_PGM_RSRC2:TRAP_HANDLER: 0
; COMPUTE_PGM_RSRC2:TGID_X_EN: 1
; COMPUTE_PGM_RSRC2:TGID_Y_EN: 0
; COMPUTE_PGM_RSRC2:TGID_Z_EN: 1
; COMPUTE_PGM_RSRC2:TIDIG_COMP_CNT: 0
	.section	.text._ZL28rocblas_dot_batched_4_kernelIiLi32ELi4ELb0Ef16rocblas_bfloat16PKPKS0_EviT5_lT_lS5_lS6_liPT4_,"axG",@progbits,_ZL28rocblas_dot_batched_4_kernelIiLi32ELi4ELb0Ef16rocblas_bfloat16PKPKS0_EviT5_lT_lS5_lS6_liPT4_,comdat
	.globl	_ZL28rocblas_dot_batched_4_kernelIiLi32ELi4ELb0Ef16rocblas_bfloat16PKPKS0_EviT5_lT_lS5_lS6_liPT4_ ; -- Begin function _ZL28rocblas_dot_batched_4_kernelIiLi32ELi4ELb0Ef16rocblas_bfloat16PKPKS0_EviT5_lT_lS5_lS6_liPT4_
	.p2align	8
	.type	_ZL28rocblas_dot_batched_4_kernelIiLi32ELi4ELb0Ef16rocblas_bfloat16PKPKS0_EviT5_lT_lS5_lS6_liPT4_,@function
_ZL28rocblas_dot_batched_4_kernelIiLi32ELi4ELb0Ef16rocblas_bfloat16PKPKS0_EviT5_lT_lS5_lS6_liPT4_: ; @_ZL28rocblas_dot_batched_4_kernelIiLi32ELi4ELb0Ef16rocblas_bfloat16PKPKS0_EviT5_lT_lS5_lS6_liPT4_
; %bb.0:
	s_load_b32 s2, s[0:1], 0x48
	s_bfe_u32 s3, ttmp6, 0x4000c
	s_and_b32 s4, ttmp6, 15
	s_add_co_i32 s3, s3, 1
	v_bfe_u32 v1, v0, 10, 10
	s_mul_i32 s3, ttmp9, s3
	s_delay_alu instid0(SALU_CYCLE_1) | instskip(SKIP_1) | instid1(SALU_CYCLE_1)
	s_add_co_i32 s4, s4, s3
	s_getreg_b32 s3, hwreg(HW_REG_IB_STS2, 6, 4)
	s_cmp_eq_u32 s3, 0
	s_cselect_b32 s3, ttmp9, s4
	s_delay_alu instid0(SALU_CYCLE_1) | instskip(SKIP_1) | instid1(VALU_DEP_1)
	v_lshl_add_u32 v2, s3, 2, v1
	s_wait_kmcnt 0x0
	v_cmp_gt_u32_e32 vcc_lo, s2, v2
	s_and_saveexec_b32 s2, vcc_lo
	s_cbranch_execz .LBB78_11
; %bb.1:
	s_load_b32 s6, s[0:1], 0x0
	v_mov_b32_e32 v3, 0
	v_and_b32_e32 v0, 0x3ff, v0
	s_mov_b32 s7, exec_lo
	s_delay_alu instid0(VALU_DEP_2) | instskip(SKIP_1) | instid1(VALU_DEP_2)
	v_mov_b32_e32 v1, v3
	s_wait_kmcnt 0x0
	v_cmpx_gt_i32_e64 s6, v0
	s_cbranch_execz .LBB78_5
; %bb.2:
	s_clause 0x1
	s_load_b128 s[8:11], s[0:1], 0x8
	s_load_b128 s[12:15], s[0:1], 0x28
	v_lshlrev_b64_e32 v[4:5], 3, v[2:3]
	s_clause 0x1
	s_load_b32 s2, s[0:1], 0x18
	s_load_b32 s4, s[0:1], 0x38
	v_mov_b32_e32 v1, 0
	s_wait_kmcnt 0x0
	s_delay_alu instid0(VALU_DEP_2)
	v_add_nc_u64_e32 v[6:7], s[8:9], v[4:5]
	v_add_nc_u64_e32 v[4:5], s[12:13], v[4:5]
	s_ashr_i32 s3, s2, 31
	s_lshl_b64 s[8:9], s[10:11], 1
	s_ashr_i32 s5, s4, 31
	s_lshl_b64 s[10:11], s[14:15], 1
	global_load_b64 v[8:9], v[6:7], off
	global_load_b64 v[10:11], v[4:5], off
	s_wait_xcnt 0x0
	v_mul_u64_e32 v[4:5], s[2:3], v[0:1]
	s_lshl_b64 s[2:3], s[2:3], 6
	s_delay_alu instid0(VALU_DEP_1) | instskip(SKIP_2) | instid1(VALU_DEP_1)
	v_lshl_add_u64 v[4:5], v[4:5], 1, s[8:9]
	s_mov_b32 s8, 0
	s_wait_loadcnt 0x1
	v_add_nc_u64_e32 v[4:5], v[8:9], v[4:5]
	v_mov_b32_e32 v8, v0
	v_mul_u64_e32 v[6:7], s[4:5], v[0:1]
	s_lshl_b64 s[4:5], s[4:5], 6
	s_delay_alu instid0(VALU_DEP_1) | instskip(SKIP_1) | instid1(VALU_DEP_1)
	v_lshl_add_u64 v[6:7], v[6:7], 1, s[10:11]
	s_wait_loadcnt 0x0
	v_add_nc_u64_e32 v[6:7], v[10:11], v[6:7]
.LBB78_3:                               ; =>This Inner Loop Header: Depth=1
	flat_load_u16 v9, v[4:5]
	flat_load_u16 v10, v[6:7]
	v_add_nc_u32_e32 v8, 32, v8
	s_wait_xcnt 0x1
	v_add_nc_u64_e32 v[4:5], s[2:3], v[4:5]
	s_wait_xcnt 0x0
	v_add_nc_u64_e32 v[6:7], s[4:5], v[6:7]
	v_cmp_le_i32_e32 vcc_lo, s6, v8
	s_or_b32 s8, vcc_lo, s8
	s_wait_loadcnt_dscnt 0x0
	v_fma_mix_f32_bf16 v1, v10, v9, v1 op_sel_hi:[1,1,0]
	s_and_not1_b32 exec_lo, exec_lo, s8
	s_cbranch_execnz .LBB78_3
; %bb.4:
	s_or_b32 exec_lo, exec_lo, s8
.LBB78_5:
	s_delay_alu instid0(SALU_CYCLE_1) | instskip(SKIP_4) | instid1(VALU_DEP_1)
	s_or_b32 exec_lo, exec_lo, s7
	v_mbcnt_lo_u32_b32 v4, -1, 0
	s_load_b64 s[0:1], s[0:1], 0x50
	s_barrier_signal -1
	s_barrier_wait -1
	v_lshl_or_b32 v5, v4, 2, 64
	v_cmp_gt_u32_e32 vcc_lo, 24, v4
	ds_bpermute_b32 v5, v5, v1
	v_cndmask_b32_e64 v6, 0, 8, vcc_lo
	v_cmp_gt_u32_e32 vcc_lo, 28, v4
	s_delay_alu instid0(VALU_DEP_2)
	v_add_lshl_u32 v6, v6, v4, 2
	s_wait_dscnt 0x0
	v_add_f32_e32 v1, v1, v5
	ds_bpermute_b32 v5, v6, v1
	v_cndmask_b32_e64 v6, 0, 4, vcc_lo
	v_cmp_gt_u32_e32 vcc_lo, 30, v4
	s_delay_alu instid0(VALU_DEP_2)
	v_add_lshl_u32 v6, v6, v4, 2
	s_wait_dscnt 0x0
	v_add_f32_e32 v1, v1, v5
	ds_bpermute_b32 v5, v6, v1
	v_cndmask_b32_e64 v6, 0, 2, vcc_lo
	v_cmp_ne_u32_e32 vcc_lo, 31, v4
	s_delay_alu instid0(VALU_DEP_2) | instskip(SKIP_3) | instid1(VALU_DEP_2)
	v_add_lshl_u32 v6, v6, v4, 2
	v_add_co_ci_u32_e64 v4, null, 0, v4, vcc_lo
	v_cmp_eq_u32_e32 vcc_lo, 0, v0
	s_wait_dscnt 0x0
	v_dual_add_f32 v1, v1, v5 :: v_dual_lshlrev_b32 v4, 2, v4
	ds_bpermute_b32 v5, v6, v1
	s_wait_dscnt 0x0
	v_add_f32_e32 v1, v1, v5
	ds_bpermute_b32 v4, v4, v1
	s_and_b32 exec_lo, exec_lo, vcc_lo
	s_cbranch_execz .LBB78_11
; %bb.6:
	s_wait_dscnt 0x0
	v_add_f32_e32 v0, v1, v4
	s_delay_alu instid0(VALU_DEP_1) | instskip(NEXT) | instid1(VALU_DEP_1)
	v_and_b32_e32 v1, 0x7f800000, v0
	v_cmp_ne_u32_e32 vcc_lo, 0x7f800000, v1
                                        ; implicit-def: $vgpr1
	s_and_saveexec_b32 s2, vcc_lo
	s_delay_alu instid0(SALU_CYCLE_1)
	s_xor_b32 s2, exec_lo, s2
; %bb.7:
	v_bfe_u32 v1, v0, 16, 1
	s_delay_alu instid0(VALU_DEP_1)
	v_add3_u32 v1, v0, v1, 0x7fff
                                        ; implicit-def: $vgpr0
; %bb.8:
	s_and_not1_saveexec_b32 s2, s2
; %bb.9:
	v_and_b32_e32 v1, 0xffff, v0
	v_or_b32_e32 v4, 0x10000, v0
	s_delay_alu instid0(VALU_DEP_2) | instskip(NEXT) | instid1(VALU_DEP_2)
	v_cmp_eq_u32_e32 vcc_lo, 0, v1
	v_cndmask_b32_e32 v1, v4, v0, vcc_lo
; %bb.10:
	s_or_b32 exec_lo, exec_lo, s2
	s_wait_kmcnt 0x0
	v_lshl_add_u64 v[2:3], v[2:3], 1, s[0:1]
	global_store_d16_hi_b16 v[2:3], v1, off
.LBB78_11:
	s_endpgm
	.section	.rodata,"a",@progbits
	.p2align	6, 0x0
	.amdhsa_kernel _ZL28rocblas_dot_batched_4_kernelIiLi32ELi4ELb0Ef16rocblas_bfloat16PKPKS0_EviT5_lT_lS5_lS6_liPT4_
		.amdhsa_group_segment_fixed_size 0
		.amdhsa_private_segment_fixed_size 0
		.amdhsa_kernarg_size 88
		.amdhsa_user_sgpr_count 2
		.amdhsa_user_sgpr_dispatch_ptr 0
		.amdhsa_user_sgpr_queue_ptr 0
		.amdhsa_user_sgpr_kernarg_segment_ptr 1
		.amdhsa_user_sgpr_dispatch_id 0
		.amdhsa_user_sgpr_kernarg_preload_length 0
		.amdhsa_user_sgpr_kernarg_preload_offset 0
		.amdhsa_user_sgpr_private_segment_size 0
		.amdhsa_wavefront_size32 1
		.amdhsa_uses_dynamic_stack 0
		.amdhsa_enable_private_segment 0
		.amdhsa_system_sgpr_workgroup_id_x 1
		.amdhsa_system_sgpr_workgroup_id_y 0
		.amdhsa_system_sgpr_workgroup_id_z 0
		.amdhsa_system_sgpr_workgroup_info 0
		.amdhsa_system_vgpr_workitem_id 1
		.amdhsa_next_free_vgpr 12
		.amdhsa_next_free_sgpr 16
		.amdhsa_named_barrier_count 0
		.amdhsa_reserve_vcc 1
		.amdhsa_float_round_mode_32 0
		.amdhsa_float_round_mode_16_64 0
		.amdhsa_float_denorm_mode_32 3
		.amdhsa_float_denorm_mode_16_64 3
		.amdhsa_fp16_overflow 0
		.amdhsa_memory_ordered 1
		.amdhsa_forward_progress 1
		.amdhsa_inst_pref_size 6
		.amdhsa_round_robin_scheduling 0
		.amdhsa_exception_fp_ieee_invalid_op 0
		.amdhsa_exception_fp_denorm_src 0
		.amdhsa_exception_fp_ieee_div_zero 0
		.amdhsa_exception_fp_ieee_overflow 0
		.amdhsa_exception_fp_ieee_underflow 0
		.amdhsa_exception_fp_ieee_inexact 0
		.amdhsa_exception_int_div_zero 0
	.end_amdhsa_kernel
	.section	.text._ZL28rocblas_dot_batched_4_kernelIiLi32ELi4ELb0Ef16rocblas_bfloat16PKPKS0_EviT5_lT_lS5_lS6_liPT4_,"axG",@progbits,_ZL28rocblas_dot_batched_4_kernelIiLi32ELi4ELb0Ef16rocblas_bfloat16PKPKS0_EviT5_lT_lS5_lS6_liPT4_,comdat
.Lfunc_end78:
	.size	_ZL28rocblas_dot_batched_4_kernelIiLi32ELi4ELb0Ef16rocblas_bfloat16PKPKS0_EviT5_lT_lS5_lS6_liPT4_, .Lfunc_end78-_ZL28rocblas_dot_batched_4_kernelIiLi32ELi4ELb0Ef16rocblas_bfloat16PKPKS0_EviT5_lT_lS5_lS6_liPT4_
                                        ; -- End function
	.set _ZL28rocblas_dot_batched_4_kernelIiLi32ELi4ELb0Ef16rocblas_bfloat16PKPKS0_EviT5_lT_lS5_lS6_liPT4_.num_vgpr, 12
	.set _ZL28rocblas_dot_batched_4_kernelIiLi32ELi4ELb0Ef16rocblas_bfloat16PKPKS0_EviT5_lT_lS5_lS6_liPT4_.num_agpr, 0
	.set _ZL28rocblas_dot_batched_4_kernelIiLi32ELi4ELb0Ef16rocblas_bfloat16PKPKS0_EviT5_lT_lS5_lS6_liPT4_.numbered_sgpr, 16
	.set _ZL28rocblas_dot_batched_4_kernelIiLi32ELi4ELb0Ef16rocblas_bfloat16PKPKS0_EviT5_lT_lS5_lS6_liPT4_.num_named_barrier, 0
	.set _ZL28rocblas_dot_batched_4_kernelIiLi32ELi4ELb0Ef16rocblas_bfloat16PKPKS0_EviT5_lT_lS5_lS6_liPT4_.private_seg_size, 0
	.set _ZL28rocblas_dot_batched_4_kernelIiLi32ELi4ELb0Ef16rocblas_bfloat16PKPKS0_EviT5_lT_lS5_lS6_liPT4_.uses_vcc, 1
	.set _ZL28rocblas_dot_batched_4_kernelIiLi32ELi4ELb0Ef16rocblas_bfloat16PKPKS0_EviT5_lT_lS5_lS6_liPT4_.uses_flat_scratch, 0
	.set _ZL28rocblas_dot_batched_4_kernelIiLi32ELi4ELb0Ef16rocblas_bfloat16PKPKS0_EviT5_lT_lS5_lS6_liPT4_.has_dyn_sized_stack, 0
	.set _ZL28rocblas_dot_batched_4_kernelIiLi32ELi4ELb0Ef16rocblas_bfloat16PKPKS0_EviT5_lT_lS5_lS6_liPT4_.has_recursion, 0
	.set _ZL28rocblas_dot_batched_4_kernelIiLi32ELi4ELb0Ef16rocblas_bfloat16PKPKS0_EviT5_lT_lS5_lS6_liPT4_.has_indirect_call, 0
	.section	.AMDGPU.csdata,"",@progbits
; Kernel info:
; codeLenInByte = 720
; TotalNumSgprs: 18
; NumVgprs: 12
; ScratchSize: 0
; MemoryBound: 0
; FloatMode: 240
; IeeeMode: 1
; LDSByteSize: 0 bytes/workgroup (compile time only)
; SGPRBlocks: 0
; VGPRBlocks: 0
; NumSGPRsForWavesPerEU: 18
; NumVGPRsForWavesPerEU: 12
; NamedBarCnt: 0
; Occupancy: 16
; WaveLimiterHint : 0
; COMPUTE_PGM_RSRC2:SCRATCH_EN: 0
; COMPUTE_PGM_RSRC2:USER_SGPR: 2
; COMPUTE_PGM_RSRC2:TRAP_HANDLER: 0
; COMPUTE_PGM_RSRC2:TGID_X_EN: 1
; COMPUTE_PGM_RSRC2:TGID_Y_EN: 0
; COMPUTE_PGM_RSRC2:TGID_Z_EN: 0
; COMPUTE_PGM_RSRC2:TIDIG_COMP_CNT: 1
	.section	.text._ZL28rocblas_dot_batched_4_kernelIiLi64ELi4ELb0Ef16rocblas_bfloat16PKPKS0_EviT5_lT_lS5_lS6_liPT4_,"axG",@progbits,_ZL28rocblas_dot_batched_4_kernelIiLi64ELi4ELb0Ef16rocblas_bfloat16PKPKS0_EviT5_lT_lS5_lS6_liPT4_,comdat
	.globl	_ZL28rocblas_dot_batched_4_kernelIiLi64ELi4ELb0Ef16rocblas_bfloat16PKPKS0_EviT5_lT_lS5_lS6_liPT4_ ; -- Begin function _ZL28rocblas_dot_batched_4_kernelIiLi64ELi4ELb0Ef16rocblas_bfloat16PKPKS0_EviT5_lT_lS5_lS6_liPT4_
	.p2align	8
	.type	_ZL28rocblas_dot_batched_4_kernelIiLi64ELi4ELb0Ef16rocblas_bfloat16PKPKS0_EviT5_lT_lS5_lS6_liPT4_,@function
_ZL28rocblas_dot_batched_4_kernelIiLi64ELi4ELb0Ef16rocblas_bfloat16PKPKS0_EviT5_lT_lS5_lS6_liPT4_: ; @_ZL28rocblas_dot_batched_4_kernelIiLi64ELi4ELb0Ef16rocblas_bfloat16PKPKS0_EviT5_lT_lS5_lS6_liPT4_
; %bb.0:
	s_load_b32 s2, s[0:1], 0x48
	s_bfe_u32 s3, ttmp6, 0x4000c
	s_and_b32 s4, ttmp6, 15
	s_add_co_i32 s3, s3, 1
	v_bfe_u32 v1, v0, 10, 10
	s_mul_i32 s3, ttmp9, s3
	s_delay_alu instid0(SALU_CYCLE_1) | instskip(SKIP_1) | instid1(SALU_CYCLE_1)
	s_add_co_i32 s4, s4, s3
	s_getreg_b32 s3, hwreg(HW_REG_IB_STS2, 6, 4)
	s_cmp_eq_u32 s3, 0
	s_cselect_b32 s3, ttmp9, s4
	s_delay_alu instid0(SALU_CYCLE_1) | instskip(SKIP_1) | instid1(VALU_DEP_1)
	v_lshl_add_u32 v2, s3, 2, v1
	s_wait_kmcnt 0x0
	v_cmp_gt_u32_e32 vcc_lo, s2, v2
	s_and_saveexec_b32 s2, vcc_lo
	s_cbranch_execz .LBB79_11
; %bb.1:
	s_load_b32 s6, s[0:1], 0x0
	v_mov_b32_e32 v3, 0
	v_and_b32_e32 v0, 0x3ff, v0
	s_mov_b32 s7, exec_lo
	s_delay_alu instid0(VALU_DEP_2) | instskip(SKIP_1) | instid1(VALU_DEP_2)
	v_mov_b32_e32 v1, v3
	s_wait_kmcnt 0x0
	v_cmpx_gt_i32_e64 s6, v0
	s_cbranch_execz .LBB79_5
; %bb.2:
	s_clause 0x1
	s_load_b128 s[8:11], s[0:1], 0x8
	s_load_b128 s[12:15], s[0:1], 0x28
	v_lshlrev_b64_e32 v[4:5], 3, v[2:3]
	s_clause 0x1
	s_load_b32 s2, s[0:1], 0x18
	s_load_b32 s4, s[0:1], 0x38
	v_mov_b32_e32 v1, 0
	s_wait_kmcnt 0x0
	s_delay_alu instid0(VALU_DEP_2)
	v_add_nc_u64_e32 v[6:7], s[8:9], v[4:5]
	v_add_nc_u64_e32 v[4:5], s[12:13], v[4:5]
	s_ashr_i32 s3, s2, 31
	s_lshl_b64 s[8:9], s[10:11], 1
	s_ashr_i32 s5, s4, 31
	s_lshl_b64 s[10:11], s[14:15], 1
	global_load_b64 v[8:9], v[6:7], off
	global_load_b64 v[10:11], v[4:5], off
	s_wait_xcnt 0x0
	v_mul_u64_e32 v[4:5], s[2:3], v[0:1]
	s_lshl_b64 s[2:3], s[2:3], 7
	s_delay_alu instid0(VALU_DEP_1) | instskip(SKIP_2) | instid1(VALU_DEP_1)
	v_lshl_add_u64 v[4:5], v[4:5], 1, s[8:9]
	s_mov_b32 s8, 0
	s_wait_loadcnt 0x1
	v_add_nc_u64_e32 v[4:5], v[8:9], v[4:5]
	v_mov_b32_e32 v8, v0
	v_mul_u64_e32 v[6:7], s[4:5], v[0:1]
	s_lshl_b64 s[4:5], s[4:5], 7
	s_delay_alu instid0(VALU_DEP_1) | instskip(SKIP_1) | instid1(VALU_DEP_1)
	v_lshl_add_u64 v[6:7], v[6:7], 1, s[10:11]
	s_wait_loadcnt 0x0
	v_add_nc_u64_e32 v[6:7], v[10:11], v[6:7]
.LBB79_3:                               ; =>This Inner Loop Header: Depth=1
	flat_load_u16 v9, v[4:5]
	flat_load_u16 v10, v[6:7]
	v_add_nc_u32_e32 v8, 64, v8
	s_wait_xcnt 0x1
	v_add_nc_u64_e32 v[4:5], s[2:3], v[4:5]
	s_wait_xcnt 0x0
	v_add_nc_u64_e32 v[6:7], s[4:5], v[6:7]
	v_cmp_le_i32_e32 vcc_lo, s6, v8
	s_or_b32 s8, vcc_lo, s8
	s_wait_loadcnt_dscnt 0x0
	v_fma_mix_f32_bf16 v1, v10, v9, v1 op_sel_hi:[1,1,0]
	s_and_not1_b32 exec_lo, exec_lo, s8
	s_cbranch_execnz .LBB79_3
; %bb.4:
	s_or_b32 exec_lo, exec_lo, s8
.LBB79_5:
	s_delay_alu instid0(SALU_CYCLE_1) | instskip(SKIP_4) | instid1(VALU_DEP_1)
	s_or_b32 exec_lo, exec_lo, s7
	v_mbcnt_lo_u32_b32 v4, -1, 0
	s_load_b64 s[0:1], s[0:1], 0x50
	s_barrier_signal -1
	s_barrier_wait -1
	v_lshlrev_b32_e32 v5, 2, v4
	v_cmp_gt_u32_e32 vcc_lo, 24, v4
	ds_bpermute_b32 v6, v5, v1
	s_wait_dscnt 0x0
	v_dual_add_f32 v1, v1, v6 :: v_dual_bitop2_b32 v5, 64, v5 bitop3:0x54
	v_cndmask_b32_e64 v6, 0, 8, vcc_lo
	v_cmp_gt_u32_e32 vcc_lo, 28, v4
	ds_bpermute_b32 v5, v5, v1
	v_add_lshl_u32 v6, v6, v4, 2
	s_wait_dscnt 0x0
	v_add_f32_e32 v1, v1, v5
	ds_bpermute_b32 v5, v6, v1
	v_cndmask_b32_e64 v6, 0, 4, vcc_lo
	v_cmp_gt_u32_e32 vcc_lo, 30, v4
	s_delay_alu instid0(VALU_DEP_2)
	v_add_lshl_u32 v6, v6, v4, 2
	s_wait_dscnt 0x0
	v_add_f32_e32 v1, v1, v5
	ds_bpermute_b32 v5, v6, v1
	v_cndmask_b32_e64 v6, 0, 2, vcc_lo
	v_cmp_ne_u32_e32 vcc_lo, 31, v4
	s_delay_alu instid0(VALU_DEP_2) | instskip(SKIP_3) | instid1(VALU_DEP_2)
	v_add_lshl_u32 v6, v6, v4, 2
	v_add_co_ci_u32_e64 v4, null, 0, v4, vcc_lo
	v_cmp_eq_u32_e32 vcc_lo, 0, v0
	s_wait_dscnt 0x0
	v_dual_add_f32 v1, v1, v5 :: v_dual_lshlrev_b32 v4, 2, v4
	ds_bpermute_b32 v5, v6, v1
	s_wait_dscnt 0x0
	v_add_f32_e32 v1, v1, v5
	ds_bpermute_b32 v4, v4, v1
	s_and_b32 exec_lo, exec_lo, vcc_lo
	s_cbranch_execz .LBB79_11
; %bb.6:
	s_wait_dscnt 0x0
	v_add_f32_e32 v0, v1, v4
	s_delay_alu instid0(VALU_DEP_1) | instskip(NEXT) | instid1(VALU_DEP_1)
	v_and_b32_e32 v1, 0x7f800000, v0
	v_cmp_ne_u32_e32 vcc_lo, 0x7f800000, v1
                                        ; implicit-def: $vgpr1
	s_and_saveexec_b32 s2, vcc_lo
	s_delay_alu instid0(SALU_CYCLE_1)
	s_xor_b32 s2, exec_lo, s2
; %bb.7:
	v_bfe_u32 v1, v0, 16, 1
	s_delay_alu instid0(VALU_DEP_1)
	v_add3_u32 v1, v0, v1, 0x7fff
                                        ; implicit-def: $vgpr0
; %bb.8:
	s_and_not1_saveexec_b32 s2, s2
; %bb.9:
	v_and_b32_e32 v1, 0xffff, v0
	v_or_b32_e32 v4, 0x10000, v0
	s_delay_alu instid0(VALU_DEP_2) | instskip(NEXT) | instid1(VALU_DEP_2)
	v_cmp_eq_u32_e32 vcc_lo, 0, v1
	v_cndmask_b32_e32 v1, v4, v0, vcc_lo
; %bb.10:
	s_or_b32 exec_lo, exec_lo, s2
	s_wait_kmcnt 0x0
	v_lshl_add_u64 v[2:3], v[2:3], 1, s[0:1]
	global_store_d16_hi_b16 v[2:3], v1, off
.LBB79_11:
	s_endpgm
	.section	.rodata,"a",@progbits
	.p2align	6, 0x0
	.amdhsa_kernel _ZL28rocblas_dot_batched_4_kernelIiLi64ELi4ELb0Ef16rocblas_bfloat16PKPKS0_EviT5_lT_lS5_lS6_liPT4_
		.amdhsa_group_segment_fixed_size 0
		.amdhsa_private_segment_fixed_size 0
		.amdhsa_kernarg_size 88
		.amdhsa_user_sgpr_count 2
		.amdhsa_user_sgpr_dispatch_ptr 0
		.amdhsa_user_sgpr_queue_ptr 0
		.amdhsa_user_sgpr_kernarg_segment_ptr 1
		.amdhsa_user_sgpr_dispatch_id 0
		.amdhsa_user_sgpr_kernarg_preload_length 0
		.amdhsa_user_sgpr_kernarg_preload_offset 0
		.amdhsa_user_sgpr_private_segment_size 0
		.amdhsa_wavefront_size32 1
		.amdhsa_uses_dynamic_stack 0
		.amdhsa_enable_private_segment 0
		.amdhsa_system_sgpr_workgroup_id_x 1
		.amdhsa_system_sgpr_workgroup_id_y 0
		.amdhsa_system_sgpr_workgroup_id_z 0
		.amdhsa_system_sgpr_workgroup_info 0
		.amdhsa_system_vgpr_workitem_id 1
		.amdhsa_next_free_vgpr 12
		.amdhsa_next_free_sgpr 16
		.amdhsa_named_barrier_count 0
		.amdhsa_reserve_vcc 1
		.amdhsa_float_round_mode_32 0
		.amdhsa_float_round_mode_16_64 0
		.amdhsa_float_denorm_mode_32 3
		.amdhsa_float_denorm_mode_16_64 3
		.amdhsa_fp16_overflow 0
		.amdhsa_memory_ordered 1
		.amdhsa_forward_progress 1
		.amdhsa_inst_pref_size 6
		.amdhsa_round_robin_scheduling 0
		.amdhsa_exception_fp_ieee_invalid_op 0
		.amdhsa_exception_fp_denorm_src 0
		.amdhsa_exception_fp_ieee_div_zero 0
		.amdhsa_exception_fp_ieee_overflow 0
		.amdhsa_exception_fp_ieee_underflow 0
		.amdhsa_exception_fp_ieee_inexact 0
		.amdhsa_exception_int_div_zero 0
	.end_amdhsa_kernel
	.section	.text._ZL28rocblas_dot_batched_4_kernelIiLi64ELi4ELb0Ef16rocblas_bfloat16PKPKS0_EviT5_lT_lS5_lS6_liPT4_,"axG",@progbits,_ZL28rocblas_dot_batched_4_kernelIiLi64ELi4ELb0Ef16rocblas_bfloat16PKPKS0_EviT5_lT_lS5_lS6_liPT4_,comdat
.Lfunc_end79:
	.size	_ZL28rocblas_dot_batched_4_kernelIiLi64ELi4ELb0Ef16rocblas_bfloat16PKPKS0_EviT5_lT_lS5_lS6_liPT4_, .Lfunc_end79-_ZL28rocblas_dot_batched_4_kernelIiLi64ELi4ELb0Ef16rocblas_bfloat16PKPKS0_EviT5_lT_lS5_lS6_liPT4_
                                        ; -- End function
	.set _ZL28rocblas_dot_batched_4_kernelIiLi64ELi4ELb0Ef16rocblas_bfloat16PKPKS0_EviT5_lT_lS5_lS6_liPT4_.num_vgpr, 12
	.set _ZL28rocblas_dot_batched_4_kernelIiLi64ELi4ELb0Ef16rocblas_bfloat16PKPKS0_EviT5_lT_lS5_lS6_liPT4_.num_agpr, 0
	.set _ZL28rocblas_dot_batched_4_kernelIiLi64ELi4ELb0Ef16rocblas_bfloat16PKPKS0_EviT5_lT_lS5_lS6_liPT4_.numbered_sgpr, 16
	.set _ZL28rocblas_dot_batched_4_kernelIiLi64ELi4ELb0Ef16rocblas_bfloat16PKPKS0_EviT5_lT_lS5_lS6_liPT4_.num_named_barrier, 0
	.set _ZL28rocblas_dot_batched_4_kernelIiLi64ELi4ELb0Ef16rocblas_bfloat16PKPKS0_EviT5_lT_lS5_lS6_liPT4_.private_seg_size, 0
	.set _ZL28rocblas_dot_batched_4_kernelIiLi64ELi4ELb0Ef16rocblas_bfloat16PKPKS0_EviT5_lT_lS5_lS6_liPT4_.uses_vcc, 1
	.set _ZL28rocblas_dot_batched_4_kernelIiLi64ELi4ELb0Ef16rocblas_bfloat16PKPKS0_EviT5_lT_lS5_lS6_liPT4_.uses_flat_scratch, 0
	.set _ZL28rocblas_dot_batched_4_kernelIiLi64ELi4ELb0Ef16rocblas_bfloat16PKPKS0_EviT5_lT_lS5_lS6_liPT4_.has_dyn_sized_stack, 0
	.set _ZL28rocblas_dot_batched_4_kernelIiLi64ELi4ELb0Ef16rocblas_bfloat16PKPKS0_EviT5_lT_lS5_lS6_liPT4_.has_recursion, 0
	.set _ZL28rocblas_dot_batched_4_kernelIiLi64ELi4ELb0Ef16rocblas_bfloat16PKPKS0_EviT5_lT_lS5_lS6_liPT4_.has_indirect_call, 0
	.section	.AMDGPU.csdata,"",@progbits
; Kernel info:
; codeLenInByte = 736
; TotalNumSgprs: 18
; NumVgprs: 12
; ScratchSize: 0
; MemoryBound: 0
; FloatMode: 240
; IeeeMode: 1
; LDSByteSize: 0 bytes/workgroup (compile time only)
; SGPRBlocks: 0
; VGPRBlocks: 0
; NumSGPRsForWavesPerEU: 18
; NumVGPRsForWavesPerEU: 12
; NamedBarCnt: 0
; Occupancy: 16
; WaveLimiterHint : 0
; COMPUTE_PGM_RSRC2:SCRATCH_EN: 0
; COMPUTE_PGM_RSRC2:USER_SGPR: 2
; COMPUTE_PGM_RSRC2:TRAP_HANDLER: 0
; COMPUTE_PGM_RSRC2:TGID_X_EN: 1
; COMPUTE_PGM_RSRC2:TGID_Y_EN: 0
; COMPUTE_PGM_RSRC2:TGID_Z_EN: 0
; COMPUTE_PGM_RSRC2:TIDIG_COMP_CNT: 1
	.section	.text._ZL26rocblas_dot_kernel_inc1by2ILb1ELi1024ELi32ELb0E16rocblas_bfloat16PKPKS0_fEviT4_llS5_lliPT5_PT3_,"axG",@progbits,_ZL26rocblas_dot_kernel_inc1by2ILb1ELi1024ELi32ELb0E16rocblas_bfloat16PKPKS0_fEviT4_llS5_lliPT5_PT3_,comdat
	.globl	_ZL26rocblas_dot_kernel_inc1by2ILb1ELi1024ELi32ELb0E16rocblas_bfloat16PKPKS0_fEviT4_llS5_lliPT5_PT3_ ; -- Begin function _ZL26rocblas_dot_kernel_inc1by2ILb1ELi1024ELi32ELb0E16rocblas_bfloat16PKPKS0_fEviT4_llS5_lliPT5_PT3_
	.p2align	8
	.type	_ZL26rocblas_dot_kernel_inc1by2ILb1ELi1024ELi32ELb0E16rocblas_bfloat16PKPKS0_fEviT4_llS5_lliPT5_PT3_,@function
_ZL26rocblas_dot_kernel_inc1by2ILb1ELi1024ELi32ELb0E16rocblas_bfloat16PKPKS0_fEviT4_llS5_lliPT5_PT3_: ; @_ZL26rocblas_dot_kernel_inc1by2ILb1ELi1024ELi32ELb0E16rocblas_bfloat16PKPKS0_fEviT4_llS5_lliPT5_PT3_
; %bb.0:
	s_load_b32 s3, s[0:1], 0x38
	s_bfe_u32 s2, ttmp6, 0x40014
	s_lshr_b32 s4, ttmp7, 16
	s_add_co_i32 s2, s2, 1
	s_bfe_u32 s5, ttmp6, 0x40008
	s_mul_i32 s2, s4, s2
	s_getreg_b32 s6, hwreg(HW_REG_IB_STS2, 6, 4)
	s_add_co_i32 s5, s5, s2
	s_cmp_eq_u32 s6, 0
	s_mov_b32 s13, 0
	s_cselect_b32 s12, s4, s5
	s_wait_kmcnt 0x0
	s_cmp_ge_u32 s12, s3
	s_cbranch_scc1 .LBB80_23
; %bb.1:
	v_mbcnt_lo_u32_b32 v2, -1, 0
	s_clause 0x3
	s_load_b32 s16, s[0:1], 0x0
	s_load_b128 s[4:7], s[0:1], 0x8
	s_load_b64 s[14:15], s[0:1], 0x48
	s_load_b128 s[8:11], s[0:1], 0x20
	v_dual_lshrrev_b32 v3, 3, v0 :: v_dual_bitop2_b32 v1, 31, v0 bitop3:0x40
	s_wait_xcnt 0x0
	v_cmp_gt_u32_e64 s0, 24, v2
	v_lshl_or_b32 v7, v2, 2, 64
	v_cmp_eq_u32_e64 s1, 0, v0
	v_mov_b32_e32 v13, 0
	v_and_b32_e32 v12, 0x7c, v3
	v_cndmask_b32_e64 v4, 0, 8, s0
	v_cmp_gt_u32_e64 s0, 28, v2
	v_cmp_gt_u32_e32 vcc_lo, 32, v0
	s_delay_alu instid0(VALU_DEP_3) | instskip(NEXT) | instid1(VALU_DEP_3)
	v_add_lshl_u32 v8, v4, v2, 2
	v_cndmask_b32_e64 v5, 0, 4, s0
	v_cmp_gt_u32_e64 s0, 30, v2
	s_wait_kmcnt 0x0
	s_ashr_i32 s17, s16, 31
	s_add_co_i32 s22, s16, -1
	v_cndmask_b32_e64 v10, 0, 2, s0
	v_cmp_ne_u32_e64 s0, 31, v2
	v_add_lshl_u32 v9, v5, v2, 2
	s_bitcmp1_b32 s16, 0
	v_add_lshl_u32 v10, v10, v2, 2
	v_add_co_ci_u32_e64 v11, null, 0, v2, s0
	v_lshlrev_b32_e32 v6, 2, v1
	v_cmp_eq_u32_e64 s0, 0, v1
	s_cselect_b32 s23, -1, 0
	v_lshlrev_b32_e32 v11, 2, v11
	s_lshl_b64 s[6:7], s[6:7], 1
	s_lshl_b64 s[10:11], s[10:11], 1
	;; [unrolled: 1-line block ×3, first 2 shown]
	s_branch .LBB80_4
.LBB80_2:                               ;   in Loop: Header=BB80_4 Depth=1
	s_or_b32 exec_lo, exec_lo, s19
	s_lshl_b64 s[20:21], s[12:13], 1
	s_delay_alu instid0(SALU_CYCLE_1)
	s_add_nc_u64 s[20:21], s[14:15], s[20:21]
	global_store_d16_hi_b16 v13, v2, s[20:21]
.LBB80_3:                               ;   in Loop: Header=BB80_4 Depth=1
	s_wait_xcnt 0x0
	s_or_b32 exec_lo, exec_lo, s18
	s_add_co_i32 s12, s12, 0x10000
	s_delay_alu instid0(SALU_CYCLE_1)
	s_cmp_lt_u32 s12, s3
	s_cbranch_scc0 .LBB80_23
.LBB80_4:                               ; =>This Loop Header: Depth=1
                                        ;     Child Loop BB80_6 Depth 2
	s_load_b64 s[18:19], s[4:5], s12 offset:0x0 scale_offset
	s_load_b64 s[20:21], s[8:9], s12 offset:0x0 scale_offset
	s_wait_dscnt 0x0
	v_dual_mov_b32 v1, 0 :: v_dual_lshlrev_b32 v0, 1, v0
	s_mov_b32 s24, exec_lo
	s_wait_kmcnt 0x0
	s_add_nc_u64 s[18:19], s[18:19], s[6:7]
	s_add_nc_u64 s[20:21], s[20:21], s[10:11]
	v_cmpx_gt_i32_e64 s22, v0
	s_cbranch_execz .LBB80_8
; %bb.5:                                ;   in Loop: Header=BB80_4 Depth=1
	v_ashrrev_i32_e32 v1, 31, v0
	s_mov_b32 s25, 0
	s_mov_b32 s2, 0
	s_delay_alu instid0(VALU_DEP_1) | instskip(SKIP_1) | instid1(VALU_DEP_2)
	v_lshlrev_b64_e32 v[4:5], 1, v[0:1]
	v_mov_b32_e32 v1, 0
	v_add_nc_u64_e32 v[2:3], s[18:19], v[4:5]
	v_add_nc_u64_e32 v[4:5], s[20:21], v[4:5]
.LBB80_6:                               ;   Parent Loop BB80_4 Depth=1
                                        ; =>  This Inner Loop Header: Depth=2
	flat_load_b32 v14, v[4:5]
	flat_load_b32 v16, v[2:3]
	s_add_co_i32 s26, s2, 1
	s_cmp_gt_u32 s2, 30
	s_wait_xcnt 0x0
	v_add_nc_u64_e32 v[2:3], 0x1000, v[2:3]
	s_cselect_b32 s27, -1, 0
	v_add_nc_u64_e32 v[4:5], 0x1000, v[4:5]
	s_wait_loadcnt_dscnt 0x101
	v_and_b32_e32 v15, 0xffff0000, v14
	v_lshlrev_b32_e32 v14, 16, v14
	s_wait_loadcnt_dscnt 0x0
	v_and_b32_e32 v17, 0xffff0000, v16
	v_lshlrev_b32_e32 v16, 16, v16
	s_delay_alu instid0(VALU_DEP_1) | instskip(NEXT) | instid1(VALU_DEP_1)
	v_pk_mul_f32 v[14:15], v[14:15], v[16:17]
	v_dual_add_f32 v1, v1, v14 :: v_dual_add_nc_u32 v0, 0x800, v0
	s_delay_alu instid0(VALU_DEP_1) | instskip(NEXT) | instid1(VALU_DEP_2)
	v_cmp_le_i32_e64 s2, s22, v0
	v_add_f32_e32 v1, v1, v15
	s_or_b32 s2, s27, s2
	s_delay_alu instid0(SALU_CYCLE_1) | instskip(NEXT) | instid1(SALU_CYCLE_1)
	s_and_b32 s2, exec_lo, s2
	s_or_b32 s25, s2, s25
	s_mov_b32 s2, s26
	s_and_not1_b32 exec_lo, exec_lo, s25
	s_cbranch_execnz .LBB80_6
; %bb.7:                                ;   in Loop: Header=BB80_4 Depth=1
	s_or_b32 exec_lo, exec_lo, s25
.LBB80_8:                               ;   in Loop: Header=BB80_4 Depth=1
	s_delay_alu instid0(SALU_CYCLE_1) | instskip(SKIP_2) | instid1(SALU_CYCLE_1)
	s_or_b32 exec_lo, exec_lo, s24
	v_cmp_eq_u32_e64 s2, s22, v0
	s_and_b32 s24, s23, s2
	s_and_saveexec_b32 s2, s24
	s_cbranch_execz .LBB80_10
; %bb.9:                                ;   in Loop: Header=BB80_4 Depth=1
	s_add_nc_u64 s[20:21], s[20:21], s[16:17]
	s_add_nc_u64 s[18:19], s[18:19], s[16:17]
	s_clause 0x1
	flat_load_u16 v2, v13, s[20:21] offset:-2
	flat_load_u16 v3, v13, s[18:19] offset:-2
	s_wait_loadcnt_dscnt 0x0
	v_fma_mix_f32_bf16 v1, v3, v2, v1 op_sel_hi:[1,1,0]
.LBB80_10:                              ;   in Loop: Header=BB80_4 Depth=1
	s_wait_xcnt 0x0
	s_or_b32 exec_lo, exec_lo, s2
	s_and_saveexec_b32 s2, vcc_lo
; %bb.11:                               ;   in Loop: Header=BB80_4 Depth=1
	ds_store_b32 v6, v13
; %bb.12:                               ;   in Loop: Header=BB80_4 Depth=1
	s_or_b32 exec_lo, exec_lo, s2
	ds_bpermute_b32 v2, v7, v1
	s_wait_dscnt 0x0
	s_barrier_signal -1
	s_barrier_wait -1
	v_add_f32_e32 v1, v1, v2
	ds_bpermute_b32 v2, v8, v1
	s_wait_dscnt 0x0
	v_add_f32_e32 v1, v1, v2
	ds_bpermute_b32 v2, v9, v1
	s_wait_dscnt 0x0
	;; [unrolled: 3-line block ×3, first 2 shown]
	v_add_f32_e32 v1, v1, v2
	ds_bpermute_b32 v2, v11, v1
	s_and_saveexec_b32 s2, s0
	s_cbranch_execz .LBB80_14
; %bb.13:                               ;   in Loop: Header=BB80_4 Depth=1
	s_wait_dscnt 0x0
	v_add_f32_e32 v1, v1, v2
	ds_store_b32 v12, v1
.LBB80_14:                              ;   in Loop: Header=BB80_4 Depth=1
	s_or_b32 exec_lo, exec_lo, s2
	v_mov_b32_e32 v1, 0
	s_wait_dscnt 0x0
	s_barrier_signal -1
	s_barrier_wait -1
	s_and_saveexec_b32 s2, vcc_lo
	s_cbranch_execnz .LBB80_17
; %bb.15:                               ;   in Loop: Header=BB80_4 Depth=1
	s_or_b32 exec_lo, exec_lo, s2
	s_and_saveexec_b32 s2, vcc_lo
	s_cbranch_execnz .LBB80_18
.LBB80_16:                              ;   in Loop: Header=BB80_4 Depth=1
	s_or_b32 exec_lo, exec_lo, s2
	s_and_saveexec_b32 s18, s1
	s_cbranch_execz .LBB80_3
	s_branch .LBB80_19
.LBB80_17:                              ;   in Loop: Header=BB80_4 Depth=1
	ds_load_b32 v1, v6
	s_or_b32 exec_lo, exec_lo, s2
	s_and_saveexec_b32 s2, vcc_lo
	s_cbranch_execz .LBB80_16
.LBB80_18:                              ;   in Loop: Header=BB80_4 Depth=1
	s_wait_dscnt 0x0
	ds_bpermute_b32 v2, v7, v1
	s_wait_dscnt 0x0
	v_add_f32_e32 v1, v1, v2
	ds_bpermute_b32 v2, v8, v1
	s_wait_dscnt 0x0
	v_add_f32_e32 v1, v1, v2
	;; [unrolled: 3-line block ×5, first 2 shown]
	s_or_b32 exec_lo, exec_lo, s2
	s_and_saveexec_b32 s18, s1
	s_cbranch_execz .LBB80_3
.LBB80_19:                              ;   in Loop: Header=BB80_4 Depth=1
	s_wait_dscnt 0x0
	v_and_b32_e32 v2, 0x7f800000, v1
	s_delay_alu instid0(VALU_DEP_1) | instskip(SKIP_1) | instid1(SALU_CYCLE_1)
	v_cmp_ne_u32_e64 s2, 0x7f800000, v2
                                        ; implicit-def: $vgpr2
	s_and_saveexec_b32 s19, s2
	s_xor_b32 s2, exec_lo, s19
; %bb.20:                               ;   in Loop: Header=BB80_4 Depth=1
	v_bfe_u32 v2, v1, 16, 1
	s_delay_alu instid0(VALU_DEP_1)
	v_add3_u32 v2, v1, v2, 0x7fff
                                        ; implicit-def: $vgpr1
; %bb.21:                               ;   in Loop: Header=BB80_4 Depth=1
	s_and_not1_saveexec_b32 s19, s2
	s_cbranch_execz .LBB80_2
; %bb.22:                               ;   in Loop: Header=BB80_4 Depth=1
	v_and_b32_e32 v2, 0xffff, v1
	v_or_b32_e32 v3, 0x10000, v1
	s_delay_alu instid0(VALU_DEP_2) | instskip(NEXT) | instid1(VALU_DEP_1)
	v_cmp_eq_u32_e64 s2, 0, v2
	v_cndmask_b32_e64 v2, v3, v1, s2
	s_branch .LBB80_2
.LBB80_23:
	s_endpgm
	.section	.rodata,"a",@progbits
	.p2align	6, 0x0
	.amdhsa_kernel _ZL26rocblas_dot_kernel_inc1by2ILb1ELi1024ELi32ELb0E16rocblas_bfloat16PKPKS0_fEviT4_llS5_lliPT5_PT3_
		.amdhsa_group_segment_fixed_size 128
		.amdhsa_private_segment_fixed_size 0
		.amdhsa_kernarg_size 80
		.amdhsa_user_sgpr_count 2
		.amdhsa_user_sgpr_dispatch_ptr 0
		.amdhsa_user_sgpr_queue_ptr 0
		.amdhsa_user_sgpr_kernarg_segment_ptr 1
		.amdhsa_user_sgpr_dispatch_id 0
		.amdhsa_user_sgpr_kernarg_preload_length 0
		.amdhsa_user_sgpr_kernarg_preload_offset 0
		.amdhsa_user_sgpr_private_segment_size 0
		.amdhsa_wavefront_size32 1
		.amdhsa_uses_dynamic_stack 0
		.amdhsa_enable_private_segment 0
		.amdhsa_system_sgpr_workgroup_id_x 1
		.amdhsa_system_sgpr_workgroup_id_y 0
		.amdhsa_system_sgpr_workgroup_id_z 1
		.amdhsa_system_sgpr_workgroup_info 0
		.amdhsa_system_vgpr_workitem_id 0
		.amdhsa_next_free_vgpr 18
		.amdhsa_next_free_sgpr 28
		.amdhsa_named_barrier_count 0
		.amdhsa_reserve_vcc 1
		.amdhsa_float_round_mode_32 0
		.amdhsa_float_round_mode_16_64 0
		.amdhsa_float_denorm_mode_32 3
		.amdhsa_float_denorm_mode_16_64 3
		.amdhsa_fp16_overflow 0
		.amdhsa_memory_ordered 1
		.amdhsa_forward_progress 1
		.amdhsa_inst_pref_size 9
		.amdhsa_round_robin_scheduling 0
		.amdhsa_exception_fp_ieee_invalid_op 0
		.amdhsa_exception_fp_denorm_src 0
		.amdhsa_exception_fp_ieee_div_zero 0
		.amdhsa_exception_fp_ieee_overflow 0
		.amdhsa_exception_fp_ieee_underflow 0
		.amdhsa_exception_fp_ieee_inexact 0
		.amdhsa_exception_int_div_zero 0
	.end_amdhsa_kernel
	.section	.text._ZL26rocblas_dot_kernel_inc1by2ILb1ELi1024ELi32ELb0E16rocblas_bfloat16PKPKS0_fEviT4_llS5_lliPT5_PT3_,"axG",@progbits,_ZL26rocblas_dot_kernel_inc1by2ILb1ELi1024ELi32ELb0E16rocblas_bfloat16PKPKS0_fEviT4_llS5_lliPT5_PT3_,comdat
.Lfunc_end80:
	.size	_ZL26rocblas_dot_kernel_inc1by2ILb1ELi1024ELi32ELb0E16rocblas_bfloat16PKPKS0_fEviT4_llS5_lliPT5_PT3_, .Lfunc_end80-_ZL26rocblas_dot_kernel_inc1by2ILb1ELi1024ELi32ELb0E16rocblas_bfloat16PKPKS0_fEviT4_llS5_lliPT5_PT3_
                                        ; -- End function
	.set _ZL26rocblas_dot_kernel_inc1by2ILb1ELi1024ELi32ELb0E16rocblas_bfloat16PKPKS0_fEviT4_llS5_lliPT5_PT3_.num_vgpr, 18
	.set _ZL26rocblas_dot_kernel_inc1by2ILb1ELi1024ELi32ELb0E16rocblas_bfloat16PKPKS0_fEviT4_llS5_lliPT5_PT3_.num_agpr, 0
	.set _ZL26rocblas_dot_kernel_inc1by2ILb1ELi1024ELi32ELb0E16rocblas_bfloat16PKPKS0_fEviT4_llS5_lliPT5_PT3_.numbered_sgpr, 28
	.set _ZL26rocblas_dot_kernel_inc1by2ILb1ELi1024ELi32ELb0E16rocblas_bfloat16PKPKS0_fEviT4_llS5_lliPT5_PT3_.num_named_barrier, 0
	.set _ZL26rocblas_dot_kernel_inc1by2ILb1ELi1024ELi32ELb0E16rocblas_bfloat16PKPKS0_fEviT4_llS5_lliPT5_PT3_.private_seg_size, 0
	.set _ZL26rocblas_dot_kernel_inc1by2ILb1ELi1024ELi32ELb0E16rocblas_bfloat16PKPKS0_fEviT4_llS5_lliPT5_PT3_.uses_vcc, 1
	.set _ZL26rocblas_dot_kernel_inc1by2ILb1ELi1024ELi32ELb0E16rocblas_bfloat16PKPKS0_fEviT4_llS5_lliPT5_PT3_.uses_flat_scratch, 1
	.set _ZL26rocblas_dot_kernel_inc1by2ILb1ELi1024ELi32ELb0E16rocblas_bfloat16PKPKS0_fEviT4_llS5_lliPT5_PT3_.has_dyn_sized_stack, 0
	.set _ZL26rocblas_dot_kernel_inc1by2ILb1ELi1024ELi32ELb0E16rocblas_bfloat16PKPKS0_fEviT4_llS5_lliPT5_PT3_.has_recursion, 0
	.set _ZL26rocblas_dot_kernel_inc1by2ILb1ELi1024ELi32ELb0E16rocblas_bfloat16PKPKS0_fEviT4_llS5_lliPT5_PT3_.has_indirect_call, 0
	.section	.AMDGPU.csdata,"",@progbits
; Kernel info:
; codeLenInByte = 1096
; TotalNumSgprs: 30
; NumVgprs: 18
; ScratchSize: 0
; MemoryBound: 0
; FloatMode: 240
; IeeeMode: 1
; LDSByteSize: 128 bytes/workgroup (compile time only)
; SGPRBlocks: 0
; VGPRBlocks: 1
; NumSGPRsForWavesPerEU: 30
; NumVGPRsForWavesPerEU: 18
; NamedBarCnt: 0
; Occupancy: 16
; WaveLimiterHint : 1
; COMPUTE_PGM_RSRC2:SCRATCH_EN: 0
; COMPUTE_PGM_RSRC2:USER_SGPR: 2
; COMPUTE_PGM_RSRC2:TRAP_HANDLER: 0
; COMPUTE_PGM_RSRC2:TGID_X_EN: 1
; COMPUTE_PGM_RSRC2:TGID_Y_EN: 0
; COMPUTE_PGM_RSRC2:TGID_Z_EN: 1
; COMPUTE_PGM_RSRC2:TIDIG_COMP_CNT: 0
	.section	.text._ZL18rocblas_dot_kernelIiLb1ELi1024ELi32ELb0E16rocblas_bfloat16PKPKS0_fEviT5_lT_lS5_lS6_liPT6_PT4_,"axG",@progbits,_ZL18rocblas_dot_kernelIiLb1ELi1024ELi32ELb0E16rocblas_bfloat16PKPKS0_fEviT5_lT_lS5_lS6_liPT6_PT4_,comdat
	.globl	_ZL18rocblas_dot_kernelIiLb1ELi1024ELi32ELb0E16rocblas_bfloat16PKPKS0_fEviT5_lT_lS5_lS6_liPT6_PT4_ ; -- Begin function _ZL18rocblas_dot_kernelIiLb1ELi1024ELi32ELb0E16rocblas_bfloat16PKPKS0_fEviT5_lT_lS5_lS6_liPT6_PT4_
	.p2align	8
	.type	_ZL18rocblas_dot_kernelIiLb1ELi1024ELi32ELb0E16rocblas_bfloat16PKPKS0_fEviT5_lT_lS5_lS6_liPT6_PT4_,@function
_ZL18rocblas_dot_kernelIiLb1ELi1024ELi32ELb0E16rocblas_bfloat16PKPKS0_fEviT5_lT_lS5_lS6_liPT6_PT4_: ; @_ZL18rocblas_dot_kernelIiLb1ELi1024ELi32ELb0E16rocblas_bfloat16PKPKS0_fEviT5_lT_lS5_lS6_liPT6_PT4_
; %bb.0:
	s_load_b32 s3, s[0:1], 0x48
	s_bfe_u32 s2, ttmp6, 0x40014
	s_lshr_b32 s4, ttmp7, 16
	s_add_co_i32 s2, s2, 1
	s_bfe_u32 s5, ttmp6, 0x40008
	s_mul_i32 s2, s4, s2
	s_getreg_b32 s6, hwreg(HW_REG_IB_STS2, 6, 4)
	s_add_co_i32 s5, s5, s2
	s_cmp_eq_u32 s6, 0
	s_mov_b32 s17, 0
	s_cselect_b32 s16, s4, s5
	s_wait_kmcnt 0x0
	s_cmp_ge_u32 s16, s3
	s_cbranch_scc1 .LBB81_21
; %bb.1:
	v_mbcnt_lo_u32_b32 v3, -1, 0
	s_clause 0x5
	s_load_b32 s18, s[0:1], 0x18
	s_load_b32 s22, s[0:1], 0x38
	s_load_b96 s[12:14], s[0:1], 0x58
	s_load_b128 s[4:7], s[0:1], 0x28
	s_load_b128 s[8:11], s[0:1], 0x8
	s_load_b32 s26, s[0:1], 0x0
	v_and_b32_e32 v2, 31, v0
	s_wait_xcnt 0x0
	v_cmp_eq_u32_e64 s1, 0, v0
	v_cmp_gt_u32_e64 s0, 24, v3
	v_lshl_or_b32 v6, v3, 2, 64
	v_cmp_gt_u32_e32 vcc_lo, 32, v0
	v_mov_b32_e32 v12, 0
	s_delay_alu instid0(VALU_DEP_4) | instskip(SKIP_1) | instid1(VALU_DEP_2)
	v_cndmask_b32_e64 v4, 0, 8, s0
	v_cmp_gt_u32_e64 s0, 28, v3
	v_add_lshl_u32 v7, v4, v3, 2
	s_delay_alu instid0(VALU_DEP_2)
	v_cndmask_b32_e64 v5, 0, 4, s0
	v_cmp_gt_u32_e64 s0, 30, v3
	v_lshrrev_b32_e32 v4, 3, v0
	s_wait_kmcnt 0x0
	s_ashr_i32 s19, s18, 31
	s_lshl_b32 s14, s14, 10
	s_ashr_i32 s23, s22, 31
	v_cndmask_b32_e64 v9, 0, 2, s0
	v_cmp_ne_u32_e64 s0, 31, v3
	s_ashr_i32 s15, s14, 31
	v_lshlrev_b32_e32 v1, 2, v2
	v_add_lshl_u32 v8, v5, v3, 2
	v_add_lshl_u32 v9, v9, v3, 2
	v_add_co_ci_u32_e64 v10, null, 0, v3, s0
	v_cmp_eq_u32_e64 s0, 0, v2
	v_and_b32_e32 v11, 0x7c, v4
	s_mul_u64 s[20:21], s[18:19], s[14:15]
	v_lshlrev_b32_e32 v10, 2, v10
	s_mul_u64 s[24:25], s[22:23], s[14:15]
	s_lshl_b64 s[10:11], s[10:11], 1
	s_lshl_b64 s[18:19], s[18:19], 1
	s_lshl_b64 s[20:21], s[20:21], 1
	s_lshl_b64 s[6:7], s[6:7], 1
	s_lshl_b64 s[22:23], s[22:23], 1
	s_lshl_b64 s[24:25], s[24:25], 1
	s_branch .LBB81_4
.LBB81_2:                               ;   in Loop: Header=BB81_4 Depth=1
	s_or_b32 exec_lo, exec_lo, s27
	s_lshl_b64 s[28:29], s[16:17], 1
	s_delay_alu instid0(SALU_CYCLE_1)
	s_add_nc_u64 s[28:29], s[12:13], s[28:29]
	global_store_d16_hi_b16 v12, v3, s[28:29]
.LBB81_3:                               ;   in Loop: Header=BB81_4 Depth=1
	s_wait_xcnt 0x0
	s_or_b32 exec_lo, exec_lo, s15
	s_add_co_i32 s16, s16, 0x10000
	s_delay_alu instid0(SALU_CYCLE_1)
	s_cmp_lt_u32 s16, s3
	s_cbranch_scc0 .LBB81_21
.LBB81_4:                               ; =>This Loop Header: Depth=1
                                        ;     Child Loop BB81_6 Depth 2
	v_mov_b32_e32 v13, 0
	s_mov_b32 s15, exec_lo
	v_cmpx_gt_i32_e64 s26, v0
	s_cbranch_execz .LBB81_8
; %bb.5:                                ;   in Loop: Header=BB81_4 Depth=1
	s_lshl_b64 s[28:29], s[16:17], 3
	v_ashrrev_i32_e32 v13, 31, v0
	s_add_nc_u64 s[30:31], s[8:9], s[28:29]
	s_add_nc_u64 s[28:29], s[4:5], s[28:29]
	s_load_b64 s[34:35], s[30:31], 0x0
	s_load_b64 s[36:37], s[28:29], 0x0
	s_mov_b32 s27, 0
	s_wait_kmcnt 0x0
	s_wait_xcnt 0x0
	s_add_nc_u64 s[28:29], s[34:35], s[10:11]
	s_add_nc_u64 s[30:31], s[36:37], s[6:7]
	s_wait_dscnt 0x0
	v_mad_nc_u64_u32 v[2:3], s18, v0, s[28:29]
	v_mad_nc_u64_u32 v[4:5], s22, v0, s[30:31]
	s_mov_b32 s28, 0
	s_delay_alu instid0(VALU_DEP_2) | instskip(NEXT) | instid1(VALU_DEP_2)
	v_mad_u32 v3, s19, v0, v3
	v_mad_u32 v5, s23, v0, v5
	s_delay_alu instid0(VALU_DEP_2) | instskip(NEXT) | instid1(VALU_DEP_2)
	v_mad_u32 v3, s18, v13, v3
	v_mad_u32 v5, s22, v13, v5
	v_mov_b32_e32 v13, 0
.LBB81_6:                               ;   Parent Loop BB81_4 Depth=1
                                        ; =>  This Inner Loop Header: Depth=2
	flat_load_u16 v14, v[4:5]
	flat_load_u16 v15, v[2:3]
	v_add_nc_u32_e32 v0, s14, v0
	s_add_co_i32 s29, s28, 1
	s_cmp_gt_u32 s28, 30
	s_wait_xcnt 0x0
	v_add_nc_u64_e32 v[2:3], s[20:21], v[2:3]
	s_cselect_b32 s28, -1, 0
	v_cmp_le_i32_e64 s2, s26, v0
	v_add_nc_u64_e32 v[4:5], s[24:25], v[4:5]
	s_or_b32 s2, s28, s2
	s_mov_b32 s28, s29
	s_and_b32 s2, exec_lo, s2
	s_delay_alu instid0(SALU_CYCLE_1)
	s_or_b32 s27, s2, s27
	s_wait_loadcnt_dscnt 0x0
	v_fma_mix_f32_bf16 v13, v15, v14, v13 op_sel_hi:[1,1,0]
	s_and_not1_b32 exec_lo, exec_lo, s27
	s_cbranch_execnz .LBB81_6
; %bb.7:                                ;   in Loop: Header=BB81_4 Depth=1
	s_or_b32 exec_lo, exec_lo, s27
.LBB81_8:                               ;   in Loop: Header=BB81_4 Depth=1
	s_delay_alu instid0(SALU_CYCLE_1)
	s_or_b32 exec_lo, exec_lo, s15
	s_and_saveexec_b32 s2, vcc_lo
; %bb.9:                                ;   in Loop: Header=BB81_4 Depth=1
	ds_store_b32 v1, v12
; %bb.10:                               ;   in Loop: Header=BB81_4 Depth=1
	s_or_b32 exec_lo, exec_lo, s2
	s_wait_dscnt 0x0
	ds_bpermute_b32 v2, v6, v13
	s_wait_dscnt 0x0
	s_barrier_signal -1
	s_barrier_wait -1
	v_add_f32_e32 v2, v13, v2
	ds_bpermute_b32 v3, v7, v2
	s_wait_dscnt 0x0
	v_add_f32_e32 v2, v2, v3
	ds_bpermute_b32 v3, v8, v2
	s_wait_dscnt 0x0
	;; [unrolled: 3-line block ×3, first 2 shown]
	v_add_f32_e32 v2, v2, v3
	ds_bpermute_b32 v3, v10, v2
	s_and_saveexec_b32 s2, s0
	s_cbranch_execz .LBB81_12
; %bb.11:                               ;   in Loop: Header=BB81_4 Depth=1
	s_wait_dscnt 0x0
	v_add_f32_e32 v2, v2, v3
	ds_store_b32 v11, v2
.LBB81_12:                              ;   in Loop: Header=BB81_4 Depth=1
	s_or_b32 exec_lo, exec_lo, s2
	v_mov_b32_e32 v2, 0
	s_wait_dscnt 0x0
	s_barrier_signal -1
	s_barrier_wait -1
	s_and_saveexec_b32 s2, vcc_lo
	s_cbranch_execnz .LBB81_15
; %bb.13:                               ;   in Loop: Header=BB81_4 Depth=1
	s_or_b32 exec_lo, exec_lo, s2
	s_and_saveexec_b32 s2, vcc_lo
	s_cbranch_execnz .LBB81_16
.LBB81_14:                              ;   in Loop: Header=BB81_4 Depth=1
	s_or_b32 exec_lo, exec_lo, s2
	s_and_saveexec_b32 s15, s1
	s_cbranch_execz .LBB81_3
	s_branch .LBB81_17
.LBB81_15:                              ;   in Loop: Header=BB81_4 Depth=1
	ds_load_b32 v2, v1
	s_or_b32 exec_lo, exec_lo, s2
	s_and_saveexec_b32 s2, vcc_lo
	s_cbranch_execz .LBB81_14
.LBB81_16:                              ;   in Loop: Header=BB81_4 Depth=1
	s_wait_dscnt 0x0
	ds_bpermute_b32 v3, v6, v2
	s_wait_dscnt 0x0
	v_add_f32_e32 v2, v2, v3
	ds_bpermute_b32 v3, v7, v2
	s_wait_dscnt 0x0
	v_add_f32_e32 v2, v2, v3
	;; [unrolled: 3-line block ×5, first 2 shown]
	s_or_b32 exec_lo, exec_lo, s2
	s_and_saveexec_b32 s15, s1
	s_cbranch_execz .LBB81_3
.LBB81_17:                              ;   in Loop: Header=BB81_4 Depth=1
	s_wait_dscnt 0x0
	v_and_b32_e32 v3, 0x7f800000, v2
	s_delay_alu instid0(VALU_DEP_1) | instskip(SKIP_1) | instid1(SALU_CYCLE_1)
	v_cmp_ne_u32_e64 s2, 0x7f800000, v3
                                        ; implicit-def: $vgpr3
	s_and_saveexec_b32 s27, s2
	s_xor_b32 s2, exec_lo, s27
; %bb.18:                               ;   in Loop: Header=BB81_4 Depth=1
	v_bfe_u32 v3, v2, 16, 1
	s_delay_alu instid0(VALU_DEP_1)
	v_add3_u32 v3, v2, v3, 0x7fff
                                        ; implicit-def: $vgpr2
; %bb.19:                               ;   in Loop: Header=BB81_4 Depth=1
	s_and_not1_saveexec_b32 s27, s2
	s_cbranch_execz .LBB81_2
; %bb.20:                               ;   in Loop: Header=BB81_4 Depth=1
	v_and_b32_e32 v3, 0xffff, v2
	v_or_b32_e32 v4, 0x10000, v2
	s_delay_alu instid0(VALU_DEP_2) | instskip(NEXT) | instid1(VALU_DEP_1)
	v_cmp_eq_u32_e64 s2, 0, v3
	v_cndmask_b32_e64 v3, v4, v2, s2
	s_branch .LBB81_2
.LBB81_21:
	s_endpgm
	.section	.rodata,"a",@progbits
	.p2align	6, 0x0
	.amdhsa_kernel _ZL18rocblas_dot_kernelIiLb1ELi1024ELi32ELb0E16rocblas_bfloat16PKPKS0_fEviT5_lT_lS5_lS6_liPT6_PT4_
		.amdhsa_group_segment_fixed_size 128
		.amdhsa_private_segment_fixed_size 0
		.amdhsa_kernarg_size 352
		.amdhsa_user_sgpr_count 2
		.amdhsa_user_sgpr_dispatch_ptr 0
		.amdhsa_user_sgpr_queue_ptr 0
		.amdhsa_user_sgpr_kernarg_segment_ptr 1
		.amdhsa_user_sgpr_dispatch_id 0
		.amdhsa_user_sgpr_kernarg_preload_length 0
		.amdhsa_user_sgpr_kernarg_preload_offset 0
		.amdhsa_user_sgpr_private_segment_size 0
		.amdhsa_wavefront_size32 1
		.amdhsa_uses_dynamic_stack 0
		.amdhsa_enable_private_segment 0
		.amdhsa_system_sgpr_workgroup_id_x 1
		.amdhsa_system_sgpr_workgroup_id_y 0
		.amdhsa_system_sgpr_workgroup_id_z 1
		.amdhsa_system_sgpr_workgroup_info 0
		.amdhsa_system_vgpr_workitem_id 0
		.amdhsa_next_free_vgpr 16
		.amdhsa_next_free_sgpr 38
		.amdhsa_named_barrier_count 0
		.amdhsa_reserve_vcc 1
		.amdhsa_float_round_mode_32 0
		.amdhsa_float_round_mode_16_64 0
		.amdhsa_float_denorm_mode_32 3
		.amdhsa_float_denorm_mode_16_64 3
		.amdhsa_fp16_overflow 0
		.amdhsa_memory_ordered 1
		.amdhsa_forward_progress 1
		.amdhsa_inst_pref_size 9
		.amdhsa_round_robin_scheduling 0
		.amdhsa_exception_fp_ieee_invalid_op 0
		.amdhsa_exception_fp_denorm_src 0
		.amdhsa_exception_fp_ieee_div_zero 0
		.amdhsa_exception_fp_ieee_overflow 0
		.amdhsa_exception_fp_ieee_underflow 0
		.amdhsa_exception_fp_ieee_inexact 0
		.amdhsa_exception_int_div_zero 0
	.end_amdhsa_kernel
	.section	.text._ZL18rocblas_dot_kernelIiLb1ELi1024ELi32ELb0E16rocblas_bfloat16PKPKS0_fEviT5_lT_lS5_lS6_liPT6_PT4_,"axG",@progbits,_ZL18rocblas_dot_kernelIiLb1ELi1024ELi32ELb0E16rocblas_bfloat16PKPKS0_fEviT5_lT_lS5_lS6_liPT6_PT4_,comdat
.Lfunc_end81:
	.size	_ZL18rocblas_dot_kernelIiLb1ELi1024ELi32ELb0E16rocblas_bfloat16PKPKS0_fEviT5_lT_lS5_lS6_liPT6_PT4_, .Lfunc_end81-_ZL18rocblas_dot_kernelIiLb1ELi1024ELi32ELb0E16rocblas_bfloat16PKPKS0_fEviT5_lT_lS5_lS6_liPT6_PT4_
                                        ; -- End function
	.set _ZL18rocblas_dot_kernelIiLb1ELi1024ELi32ELb0E16rocblas_bfloat16PKPKS0_fEviT5_lT_lS5_lS6_liPT6_PT4_.num_vgpr, 16
	.set _ZL18rocblas_dot_kernelIiLb1ELi1024ELi32ELb0E16rocblas_bfloat16PKPKS0_fEviT5_lT_lS5_lS6_liPT6_PT4_.num_agpr, 0
	.set _ZL18rocblas_dot_kernelIiLb1ELi1024ELi32ELb0E16rocblas_bfloat16PKPKS0_fEviT5_lT_lS5_lS6_liPT6_PT4_.numbered_sgpr, 38
	.set _ZL18rocblas_dot_kernelIiLb1ELi1024ELi32ELb0E16rocblas_bfloat16PKPKS0_fEviT5_lT_lS5_lS6_liPT6_PT4_.num_named_barrier, 0
	.set _ZL18rocblas_dot_kernelIiLb1ELi1024ELi32ELb0E16rocblas_bfloat16PKPKS0_fEviT5_lT_lS5_lS6_liPT6_PT4_.private_seg_size, 0
	.set _ZL18rocblas_dot_kernelIiLb1ELi1024ELi32ELb0E16rocblas_bfloat16PKPKS0_fEviT5_lT_lS5_lS6_liPT6_PT4_.uses_vcc, 1
	.set _ZL18rocblas_dot_kernelIiLb1ELi1024ELi32ELb0E16rocblas_bfloat16PKPKS0_fEviT5_lT_lS5_lS6_liPT6_PT4_.uses_flat_scratch, 0
	.set _ZL18rocblas_dot_kernelIiLb1ELi1024ELi32ELb0E16rocblas_bfloat16PKPKS0_fEviT5_lT_lS5_lS6_liPT6_PT4_.has_dyn_sized_stack, 0
	.set _ZL18rocblas_dot_kernelIiLb1ELi1024ELi32ELb0E16rocblas_bfloat16PKPKS0_fEviT5_lT_lS5_lS6_liPT6_PT4_.has_recursion, 0
	.set _ZL18rocblas_dot_kernelIiLb1ELi1024ELi32ELb0E16rocblas_bfloat16PKPKS0_fEviT5_lT_lS5_lS6_liPT6_PT4_.has_indirect_call, 0
	.section	.AMDGPU.csdata,"",@progbits
; Kernel info:
; codeLenInByte = 1056
; TotalNumSgprs: 40
; NumVgprs: 16
; ScratchSize: 0
; MemoryBound: 0
; FloatMode: 240
; IeeeMode: 1
; LDSByteSize: 128 bytes/workgroup (compile time only)
; SGPRBlocks: 0
; VGPRBlocks: 0
; NumSGPRsForWavesPerEU: 40
; NumVGPRsForWavesPerEU: 16
; NamedBarCnt: 0
; Occupancy: 16
; WaveLimiterHint : 0
; COMPUTE_PGM_RSRC2:SCRATCH_EN: 0
; COMPUTE_PGM_RSRC2:USER_SGPR: 2
; COMPUTE_PGM_RSRC2:TRAP_HANDLER: 0
; COMPUTE_PGM_RSRC2:TGID_X_EN: 1
; COMPUTE_PGM_RSRC2:TGID_Y_EN: 0
; COMPUTE_PGM_RSRC2:TGID_Z_EN: 1
; COMPUTE_PGM_RSRC2:TIDIG_COMP_CNT: 0
	.section	.text._ZL24rocblas_dot_kernel_magsqIiLb1ELi1024ELi32ELb0E16rocblas_bfloat16PKPKS0_fEviT5_lT_liPT6_PT4_,"axG",@progbits,_ZL24rocblas_dot_kernel_magsqIiLb1ELi1024ELi32ELb0E16rocblas_bfloat16PKPKS0_fEviT5_lT_liPT6_PT4_,comdat
	.globl	_ZL24rocblas_dot_kernel_magsqIiLb1ELi1024ELi32ELb0E16rocblas_bfloat16PKPKS0_fEviT5_lT_liPT6_PT4_ ; -- Begin function _ZL24rocblas_dot_kernel_magsqIiLb1ELi1024ELi32ELb0E16rocblas_bfloat16PKPKS0_fEviT5_lT_liPT6_PT4_
	.p2align	8
	.type	_ZL24rocblas_dot_kernel_magsqIiLb1ELi1024ELi32ELb0E16rocblas_bfloat16PKPKS0_fEviT5_lT_liPT6_PT4_,@function
_ZL24rocblas_dot_kernel_magsqIiLb1ELi1024ELi32ELb0E16rocblas_bfloat16PKPKS0_fEviT5_lT_liPT6_PT4_: ; @_ZL24rocblas_dot_kernel_magsqIiLb1ELi1024ELi32ELb0E16rocblas_bfloat16PKPKS0_fEviT5_lT_liPT6_PT4_
; %bb.0:
	s_load_b32 s3, s[0:1], 0x28
	s_bfe_u32 s2, ttmp6, 0x40014
	s_lshr_b32 s4, ttmp7, 16
	s_add_co_i32 s2, s2, 1
	s_bfe_u32 s5, ttmp6, 0x40008
	s_mul_i32 s2, s4, s2
	s_getreg_b32 s6, hwreg(HW_REG_IB_STS2, 6, 4)
	s_add_co_i32 s5, s5, s2
	s_cmp_eq_u32 s6, 0
	s_mov_b32 s13, 0
	s_cselect_b32 s12, s4, s5
	s_wait_kmcnt 0x0
	s_cmp_ge_u32 s12, s3
	s_cbranch_scc1 .LBB82_21
; %bb.1:
	v_mbcnt_lo_u32_b32 v3, -1, 0
	s_clause 0x3
	s_load_b32 s14, s[0:1], 0x18
	s_load_b96 s[8:10], s[0:1], 0x38
	s_load_b128 s[4:7], s[0:1], 0x8
	s_load_b32 s18, s[0:1], 0x0
	v_dual_lshrrev_b32 v9, 3, v0 :: v_dual_bitop2_b32 v2, 31, v0 bitop3:0x40
	s_wait_xcnt 0x0
	v_cmp_gt_u32_e64 s0, 24, v3
	v_lshl_or_b32 v4, v3, 2, 64
	v_cmp_eq_u32_e64 s1, 0, v0
	v_mov_b32_e32 v10, 0
	v_and_b32_e32 v9, 0x7c, v9
	v_cndmask_b32_e64 v5, 0, 8, s0
	v_cmp_gt_u32_e64 s0, 28, v3
	v_cmp_gt_u32_e32 vcc_lo, 32, v0
	s_delay_alu instid0(VALU_DEP_3) | instskip(NEXT) | instid1(VALU_DEP_3)
	v_add_lshl_u32 v5, v5, v3, 2
	v_cndmask_b32_e64 v6, 0, 4, s0
	v_cmp_gt_u32_e64 s0, 30, v3
	s_wait_kmcnt 0x0
	s_ashr_i32 s15, s14, 31
	s_lshl_b32 s10, s10, 10
	v_cndmask_b32_e64 v7, 0, 2, s0
	v_cmp_ne_u32_e64 s0, 31, v3
	s_ashr_i32 s11, s10, 31
	v_add_lshl_u32 v6, v6, v3, 2
	s_mul_u64 s[16:17], s[14:15], s[10:11]
	v_add_lshl_u32 v7, v7, v3, 2
	v_add_co_ci_u32_e64 v8, null, 0, v3, s0
	v_lshlrev_b32_e32 v1, 2, v2
	v_cmp_eq_u32_e64 s0, 0, v2
	s_lshl_b64 s[6:7], s[6:7], 1
	v_lshlrev_b32_e32 v8, 2, v8
	s_lshl_b64 s[14:15], s[14:15], 1
	s_lshl_b64 s[16:17], s[16:17], 1
	s_branch .LBB82_4
.LBB82_2:                               ;   in Loop: Header=BB82_4 Depth=1
	s_or_b32 exec_lo, exec_lo, s19
	s_lshl_b64 s[20:21], s[12:13], 1
	s_delay_alu instid0(SALU_CYCLE_1)
	s_add_nc_u64 s[20:21], s[8:9], s[20:21]
	global_store_d16_hi_b16 v10, v3, s[20:21]
.LBB82_3:                               ;   in Loop: Header=BB82_4 Depth=1
	s_wait_xcnt 0x0
	s_or_b32 exec_lo, exec_lo, s11
	s_add_co_i32 s12, s12, 0x10000
	s_delay_alu instid0(SALU_CYCLE_1)
	s_cmp_lt_u32 s12, s3
	s_cbranch_scc0 .LBB82_21
.LBB82_4:                               ; =>This Loop Header: Depth=1
                                        ;     Child Loop BB82_6 Depth 2
	v_mov_b32_e32 v11, 0
	s_mov_b32 s11, exec_lo
	v_cmpx_gt_i32_e64 s18, v0
	s_cbranch_execz .LBB82_8
; %bb.5:                                ;   in Loop: Header=BB82_4 Depth=1
	s_lshl_b64 s[20:21], s[12:13], 3
	v_ashrrev_i32_e32 v11, 31, v0
	s_add_nc_u64 s[20:21], s[4:5], s[20:21]
	s_mov_b32 s19, 0
	s_load_b64 s[20:21], s[20:21], 0x0
	s_wait_kmcnt 0x0
	s_wait_xcnt 0x0
	s_add_nc_u64 s[20:21], s[20:21], s[6:7]
	s_wait_dscnt 0x0
	v_mad_nc_u64_u32 v[2:3], s14, v0, s[20:21]
	s_mov_b32 s20, 0
	s_delay_alu instid0(VALU_DEP_1) | instskip(NEXT) | instid1(VALU_DEP_1)
	v_mad_u32 v3, s15, v0, v3
	v_mad_u32 v3, s14, v11, v3
	v_mov_b32_e32 v11, 0
.LBB82_6:                               ;   Parent Loop BB82_4 Depth=1
                                        ; =>  This Inner Loop Header: Depth=2
	flat_load_u16 v12, v[2:3]
	v_add_nc_u32_e32 v0, s10, v0
	s_add_co_i32 s21, s20, 1
	s_cmp_gt_u32 s20, 30
	s_wait_xcnt 0x0
	v_add_nc_u64_e32 v[2:3], s[16:17], v[2:3]
	s_cselect_b32 s20, -1, 0
	v_cmp_le_i32_e64 s2, s18, v0
	s_or_b32 s2, s20, s2
	s_mov_b32 s20, s21
	s_and_b32 s2, exec_lo, s2
	s_delay_alu instid0(SALU_CYCLE_1)
	s_or_b32 s19, s2, s19
	s_wait_loadcnt_dscnt 0x0
	v_fma_mix_f32_bf16 v11, v12, v12, v11 op_sel_hi:[1,1,0]
	s_and_not1_b32 exec_lo, exec_lo, s19
	s_cbranch_execnz .LBB82_6
; %bb.7:                                ;   in Loop: Header=BB82_4 Depth=1
	s_or_b32 exec_lo, exec_lo, s19
.LBB82_8:                               ;   in Loop: Header=BB82_4 Depth=1
	s_delay_alu instid0(SALU_CYCLE_1)
	s_or_b32 exec_lo, exec_lo, s11
	s_and_saveexec_b32 s2, vcc_lo
; %bb.9:                                ;   in Loop: Header=BB82_4 Depth=1
	ds_store_b32 v1, v10
; %bb.10:                               ;   in Loop: Header=BB82_4 Depth=1
	s_or_b32 exec_lo, exec_lo, s2
	s_wait_dscnt 0x0
	ds_bpermute_b32 v2, v4, v11
	s_wait_dscnt 0x0
	s_barrier_signal -1
	s_barrier_wait -1
	v_add_f32_e32 v2, v11, v2
	ds_bpermute_b32 v3, v5, v2
	s_wait_dscnt 0x0
	v_add_f32_e32 v2, v2, v3
	ds_bpermute_b32 v3, v6, v2
	s_wait_dscnt 0x0
	v_add_f32_e32 v2, v2, v3
	ds_bpermute_b32 v3, v7, v2
	s_wait_dscnt 0x0
	v_add_f32_e32 v2, v2, v3
	ds_bpermute_b32 v3, v8, v2
	s_and_saveexec_b32 s2, s0
	s_cbranch_execz .LBB82_12
; %bb.11:                               ;   in Loop: Header=BB82_4 Depth=1
	s_wait_dscnt 0x0
	v_add_f32_e32 v2, v2, v3
	ds_store_b32 v9, v2
.LBB82_12:                              ;   in Loop: Header=BB82_4 Depth=1
	s_or_b32 exec_lo, exec_lo, s2
	v_mov_b32_e32 v2, 0
	s_wait_dscnt 0x0
	s_barrier_signal -1
	s_barrier_wait -1
	s_and_saveexec_b32 s2, vcc_lo
	s_cbranch_execnz .LBB82_15
; %bb.13:                               ;   in Loop: Header=BB82_4 Depth=1
	s_or_b32 exec_lo, exec_lo, s2
	s_and_saveexec_b32 s2, vcc_lo
	s_cbranch_execnz .LBB82_16
.LBB82_14:                              ;   in Loop: Header=BB82_4 Depth=1
	s_or_b32 exec_lo, exec_lo, s2
	s_and_saveexec_b32 s11, s1
	s_cbranch_execz .LBB82_3
	s_branch .LBB82_17
.LBB82_15:                              ;   in Loop: Header=BB82_4 Depth=1
	ds_load_b32 v2, v1
	s_or_b32 exec_lo, exec_lo, s2
	s_and_saveexec_b32 s2, vcc_lo
	s_cbranch_execz .LBB82_14
.LBB82_16:                              ;   in Loop: Header=BB82_4 Depth=1
	s_wait_dscnt 0x0
	ds_bpermute_b32 v3, v4, v2
	s_wait_dscnt 0x0
	v_add_f32_e32 v2, v2, v3
	ds_bpermute_b32 v3, v5, v2
	s_wait_dscnt 0x0
	v_add_f32_e32 v2, v2, v3
	;; [unrolled: 3-line block ×5, first 2 shown]
	s_or_b32 exec_lo, exec_lo, s2
	s_and_saveexec_b32 s11, s1
	s_cbranch_execz .LBB82_3
.LBB82_17:                              ;   in Loop: Header=BB82_4 Depth=1
	s_wait_dscnt 0x0
	v_and_b32_e32 v3, 0x7f800000, v2
	s_delay_alu instid0(VALU_DEP_1) | instskip(SKIP_1) | instid1(SALU_CYCLE_1)
	v_cmp_ne_u32_e64 s2, 0x7f800000, v3
                                        ; implicit-def: $vgpr3
	s_and_saveexec_b32 s19, s2
	s_xor_b32 s2, exec_lo, s19
; %bb.18:                               ;   in Loop: Header=BB82_4 Depth=1
	v_bfe_u32 v3, v2, 16, 1
	s_delay_alu instid0(VALU_DEP_1)
	v_add3_u32 v3, v2, v3, 0x7fff
                                        ; implicit-def: $vgpr2
; %bb.19:                               ;   in Loop: Header=BB82_4 Depth=1
	s_and_not1_saveexec_b32 s19, s2
	s_cbranch_execz .LBB82_2
; %bb.20:                               ;   in Loop: Header=BB82_4 Depth=1
	v_and_b32_e32 v3, 0xffff, v2
	v_or_b32_e32 v11, 0x10000, v2
	s_delay_alu instid0(VALU_DEP_2) | instskip(NEXT) | instid1(VALU_DEP_1)
	v_cmp_eq_u32_e64 s2, 0, v3
	v_cndmask_b32_e64 v3, v11, v2, s2
	s_branch .LBB82_2
.LBB82_21:
	s_endpgm
	.section	.rodata,"a",@progbits
	.p2align	6, 0x0
	.amdhsa_kernel _ZL24rocblas_dot_kernel_magsqIiLb1ELi1024ELi32ELb0E16rocblas_bfloat16PKPKS0_fEviT5_lT_liPT6_PT4_
		.amdhsa_group_segment_fixed_size 128
		.amdhsa_private_segment_fixed_size 0
		.amdhsa_kernarg_size 320
		.amdhsa_user_sgpr_count 2
		.amdhsa_user_sgpr_dispatch_ptr 0
		.amdhsa_user_sgpr_queue_ptr 0
		.amdhsa_user_sgpr_kernarg_segment_ptr 1
		.amdhsa_user_sgpr_dispatch_id 0
		.amdhsa_user_sgpr_kernarg_preload_length 0
		.amdhsa_user_sgpr_kernarg_preload_offset 0
		.amdhsa_user_sgpr_private_segment_size 0
		.amdhsa_wavefront_size32 1
		.amdhsa_uses_dynamic_stack 0
		.amdhsa_enable_private_segment 0
		.amdhsa_system_sgpr_workgroup_id_x 1
		.amdhsa_system_sgpr_workgroup_id_y 0
		.amdhsa_system_sgpr_workgroup_id_z 1
		.amdhsa_system_sgpr_workgroup_info 0
		.amdhsa_system_vgpr_workitem_id 0
		.amdhsa_next_free_vgpr 13
		.amdhsa_next_free_sgpr 22
		.amdhsa_named_barrier_count 0
		.amdhsa_reserve_vcc 1
		.amdhsa_float_round_mode_32 0
		.amdhsa_float_round_mode_16_64 0
		.amdhsa_float_denorm_mode_32 3
		.amdhsa_float_denorm_mode_16_64 3
		.amdhsa_fp16_overflow 0
		.amdhsa_memory_ordered 1
		.amdhsa_forward_progress 1
		.amdhsa_inst_pref_size 8
		.amdhsa_round_robin_scheduling 0
		.amdhsa_exception_fp_ieee_invalid_op 0
		.amdhsa_exception_fp_denorm_src 0
		.amdhsa_exception_fp_ieee_div_zero 0
		.amdhsa_exception_fp_ieee_overflow 0
		.amdhsa_exception_fp_ieee_underflow 0
		.amdhsa_exception_fp_ieee_inexact 0
		.amdhsa_exception_int_div_zero 0
	.end_amdhsa_kernel
	.section	.text._ZL24rocblas_dot_kernel_magsqIiLb1ELi1024ELi32ELb0E16rocblas_bfloat16PKPKS0_fEviT5_lT_liPT6_PT4_,"axG",@progbits,_ZL24rocblas_dot_kernel_magsqIiLb1ELi1024ELi32ELb0E16rocblas_bfloat16PKPKS0_fEviT5_lT_liPT6_PT4_,comdat
.Lfunc_end82:
	.size	_ZL24rocblas_dot_kernel_magsqIiLb1ELi1024ELi32ELb0E16rocblas_bfloat16PKPKS0_fEviT5_lT_liPT6_PT4_, .Lfunc_end82-_ZL24rocblas_dot_kernel_magsqIiLb1ELi1024ELi32ELb0E16rocblas_bfloat16PKPKS0_fEviT5_lT_liPT6_PT4_
                                        ; -- End function
	.set _ZL24rocblas_dot_kernel_magsqIiLb1ELi1024ELi32ELb0E16rocblas_bfloat16PKPKS0_fEviT5_lT_liPT6_PT4_.num_vgpr, 13
	.set _ZL24rocblas_dot_kernel_magsqIiLb1ELi1024ELi32ELb0E16rocblas_bfloat16PKPKS0_fEviT5_lT_liPT6_PT4_.num_agpr, 0
	.set _ZL24rocblas_dot_kernel_magsqIiLb1ELi1024ELi32ELb0E16rocblas_bfloat16PKPKS0_fEviT5_lT_liPT6_PT4_.numbered_sgpr, 22
	.set _ZL24rocblas_dot_kernel_magsqIiLb1ELi1024ELi32ELb0E16rocblas_bfloat16PKPKS0_fEviT5_lT_liPT6_PT4_.num_named_barrier, 0
	.set _ZL24rocblas_dot_kernel_magsqIiLb1ELi1024ELi32ELb0E16rocblas_bfloat16PKPKS0_fEviT5_lT_liPT6_PT4_.private_seg_size, 0
	.set _ZL24rocblas_dot_kernel_magsqIiLb1ELi1024ELi32ELb0E16rocblas_bfloat16PKPKS0_fEviT5_lT_liPT6_PT4_.uses_vcc, 1
	.set _ZL24rocblas_dot_kernel_magsqIiLb1ELi1024ELi32ELb0E16rocblas_bfloat16PKPKS0_fEviT5_lT_liPT6_PT4_.uses_flat_scratch, 0
	.set _ZL24rocblas_dot_kernel_magsqIiLb1ELi1024ELi32ELb0E16rocblas_bfloat16PKPKS0_fEviT5_lT_liPT6_PT4_.has_dyn_sized_stack, 0
	.set _ZL24rocblas_dot_kernel_magsqIiLb1ELi1024ELi32ELb0E16rocblas_bfloat16PKPKS0_fEviT5_lT_liPT6_PT4_.has_recursion, 0
	.set _ZL24rocblas_dot_kernel_magsqIiLb1ELi1024ELi32ELb0E16rocblas_bfloat16PKPKS0_fEviT5_lT_liPT6_PT4_.has_indirect_call, 0
	.section	.AMDGPU.csdata,"",@progbits
; Kernel info:
; codeLenInByte = 960
; TotalNumSgprs: 24
; NumVgprs: 13
; ScratchSize: 0
; MemoryBound: 0
; FloatMode: 240
; IeeeMode: 1
; LDSByteSize: 128 bytes/workgroup (compile time only)
; SGPRBlocks: 0
; VGPRBlocks: 0
; NumSGPRsForWavesPerEU: 24
; NumVGPRsForWavesPerEU: 13
; NamedBarCnt: 0
; Occupancy: 16
; WaveLimiterHint : 0
; COMPUTE_PGM_RSRC2:SCRATCH_EN: 0
; COMPUTE_PGM_RSRC2:USER_SGPR: 2
; COMPUTE_PGM_RSRC2:TRAP_HANDLER: 0
; COMPUTE_PGM_RSRC2:TGID_X_EN: 1
; COMPUTE_PGM_RSRC2:TGID_Y_EN: 0
; COMPUTE_PGM_RSRC2:TGID_Z_EN: 1
; COMPUTE_PGM_RSRC2:TIDIG_COMP_CNT: 0
	.section	.text._ZL23rocblas_dot_kernel_inc1ILb0ELi512ELi8ELb0E16rocblas_bfloat16PKPKS0_fEviT4_llS5_lliPT5_PT3_,"axG",@progbits,_ZL23rocblas_dot_kernel_inc1ILb0ELi512ELi8ELb0E16rocblas_bfloat16PKPKS0_fEviT4_llS5_lliPT5_PT3_,comdat
	.globl	_ZL23rocblas_dot_kernel_inc1ILb0ELi512ELi8ELb0E16rocblas_bfloat16PKPKS0_fEviT4_llS5_lliPT5_PT3_ ; -- Begin function _ZL23rocblas_dot_kernel_inc1ILb0ELi512ELi8ELb0E16rocblas_bfloat16PKPKS0_fEviT4_llS5_lliPT5_PT3_
	.p2align	8
	.type	_ZL23rocblas_dot_kernel_inc1ILb0ELi512ELi8ELb0E16rocblas_bfloat16PKPKS0_fEviT4_llS5_lliPT5_PT3_,@function
_ZL23rocblas_dot_kernel_inc1ILb0ELi512ELi8ELb0E16rocblas_bfloat16PKPKS0_fEviT4_llS5_lliPT5_PT3_: ; @_ZL23rocblas_dot_kernel_inc1ILb0ELi512ELi8ELb0E16rocblas_bfloat16PKPKS0_fEviT4_llS5_lliPT5_PT3_
; %bb.0:
	s_load_b32 s28, s[0:1], 0x38
	s_bfe_u32 s2, ttmp6, 0x40014
	s_lshr_b32 s3, ttmp7, 16
	s_add_co_i32 s2, s2, 1
	s_bfe_u32 s5, ttmp6, 0x40008
	s_mul_i32 s4, s3, s2
	s_getreg_b32 s2, hwreg(HW_REG_IB_STS2, 6, 4)
	s_add_co_i32 s5, s5, s4
	s_cmp_eq_u32 s2, 0
	s_mov_b32 s17, 0
	s_cselect_b32 s16, s3, s5
	s_wait_kmcnt 0x0
	s_cmp_ge_u32 s16, s28
	s_cbranch_scc1 .LBB83_24
; %bb.1:
	v_mbcnt_lo_u32_b32 v3, -1, 0
	s_clause 0x4
	s_load_b32 s18, s[0:1], 0x50
	s_load_b128 s[4:7], s[0:1], 0x40
	s_load_b128 s[8:11], s[0:1], 0x20
	;; [unrolled: 1-line block ×3, first 2 shown]
	s_load_b32 s29, s[0:1], 0x0
	s_bfe_u32 s3, ttmp6, 0x4000c
	s_wait_xcnt 0x0
	s_and_b32 s1, ttmp6, 15
	s_add_co_i32 s3, s3, 1
	v_cmp_gt_u32_e32 vcc_lo, 24, v3
	s_mul_i32 s3, ttmp9, s3
	v_dual_lshrrev_b32 v10, 3, v0 :: v_dual_bitop2_b32 v1, 31, v0 bitop3:0x40
	s_add_co_i32 s1, s1, s3
	v_cndmask_b32_e64 v6, 0, 8, vcc_lo
	v_cmp_gt_u32_e32 vcc_lo, 28, v3
	s_cmp_eq_u32 s2, 0
	s_mov_b32 s23, s17
	s_cselect_b32 s22, ttmp9, s1
	v_cmp_gt_u32_e64 s0, 32, v0
	v_cndmask_b32_e64 v7, 0, 4, vcc_lo
	v_cmp_gt_u32_e32 vcc_lo, 30, v3
	s_wait_kmcnt 0x0
	s_cmp_lg_u32 s18, 1
	v_dual_lshlrev_b32 v4, 2, v1 :: v_dual_bitop2_b32 v10, 60, v10 bitop3:0x40
	s_cselect_b32 s30, -1, 0
	v_cndmask_b32_e64 v8, 0, 2, vcc_lo
	v_cmp_ne_u32_e32 vcc_lo, 31, v3
	s_lshl_b32 s20, s18, 9
	v_lshl_or_b32 v5, v3, 2, 64
	v_lshl_or_b32 v2, s22, 9, v0
	v_add_lshl_u32 v6, v6, v3, 2
	v_add_co_ci_u32_e64 v9, null, 0, v3, vcc_lo
	v_add_lshl_u32 v7, v7, v3, 2
	v_add_lshl_u32 v8, v8, v3, 2
	v_cmp_eq_u32_e64 s1, 0, v1
	s_delay_alu instid0(VALU_DEP_4)
	v_dual_lshlrev_b32 v9, 2, v9 :: v_dual_mov_b32 v11, 0
	v_cmp_gt_u32_e64 s2, 16, v0
	v_cmp_eq_u32_e64 s3, 0, v0
	s_lshl_b64 s[22:23], s[22:23], 2
	s_ashr_i32 s21, s20, 31
	s_mov_b32 s19, s17
	s_add_nc_u64 s[4:5], s[4:5], s[22:23]
	s_lshl_b64 s[22:23], s[20:21], 1
	s_lshl_b64 s[14:15], s[14:15], 1
	;; [unrolled: 1-line block ×3, first 2 shown]
	s_branch .LBB83_4
.LBB83_2:                               ;   in Loop: Header=BB83_4 Depth=1
	s_or_b32 exec_lo, exec_lo, s24
	s_lshl_b64 s[24:25], s[16:17], 1
	s_delay_alu instid0(SALU_CYCLE_1)
	s_add_nc_u64 s[24:25], s[6:7], s[24:25]
	global_store_d16_hi_b16 v11, v1, s[24:25]
.LBB83_3:                               ;   in Loop: Header=BB83_4 Depth=1
	s_wait_xcnt 0x0
	s_or_b32 exec_lo, exec_lo, s21
	s_add_co_i32 s16, s16, 0x10000
	s_delay_alu instid0(SALU_CYCLE_1)
	s_cmp_lt_u32 s16, s28
	s_cbranch_scc0 .LBB83_24
.LBB83_4:                               ; =>This Loop Header: Depth=1
                                        ;     Child Loop BB83_6 Depth 2
	v_mov_b32_e32 v3, 0
	s_mov_b32 s21, exec_lo
	v_cmpx_gt_i32_e64 s29, v2
	s_cbranch_execz .LBB83_8
; %bb.5:                                ;   in Loop: Header=BB83_4 Depth=1
	s_lshl_b64 s[24:25], s[16:17], 3
	v_ashrrev_i32_e32 v3, 31, v2
	s_add_nc_u64 s[26:27], s[12:13], s[24:25]
	s_add_nc_u64 s[24:25], s[8:9], s[24:25]
	s_load_b64 s[34:35], s[26:27], 0x0
	s_load_b64 s[36:37], s[24:25], 0x0
	s_mov_b32 s31, 0
	s_wait_dscnt 0x0
	v_lshlrev_b64_e32 v[0:1], 1, v[2:3]
	v_mov_b32_e32 v3, 0
	s_mov_b32 s33, 0
	s_wait_kmcnt 0x0
	s_wait_xcnt 0x0
	s_add_nc_u64 s[24:25], s[34:35], s[14:15]
	s_add_nc_u64 s[26:27], s[36:37], s[10:11]
.LBB83_6:                               ;   Parent Loop BB83_4 Depth=1
                                        ; =>  This Inner Loop Header: Depth=2
	s_delay_alu instid0(SALU_CYCLE_1)
	v_add_nc_u64_e32 v[12:13], s[26:27], v[0:1]
	v_add_nc_u64_e32 v[14:15], s[24:25], v[0:1]
	v_add_nc_u32_e32 v2, s20, v2
	s_add_co_i32 s34, s33, 1
	s_cmp_gt_u32 s33, 6
	v_add_nc_u64_e32 v[0:1], s[22:23], v[0:1]
	s_cselect_b32 s33, -1, 0
	flat_load_u16 v16, v[12:13]
	flat_load_u16 v17, v[14:15]
	v_cmp_le_i32_e32 vcc_lo, s29, v2
	s_or_b32 s33, s33, vcc_lo
	s_delay_alu instid0(SALU_CYCLE_1) | instskip(NEXT) | instid1(SALU_CYCLE_1)
	s_and_b32 s33, exec_lo, s33
	s_or_b32 s31, s33, s31
	s_mov_b32 s33, s34
	s_wait_loadcnt_dscnt 0x0
	v_fma_mix_f32_bf16 v3, v17, v16, v3 op_sel_hi:[1,1,0]
	s_wait_xcnt 0x0
	s_and_not1_b32 exec_lo, exec_lo, s31
	s_cbranch_execnz .LBB83_6
; %bb.7:                                ;   in Loop: Header=BB83_4 Depth=1
	s_or_b32 exec_lo, exec_lo, s31
.LBB83_8:                               ;   in Loop: Header=BB83_4 Depth=1
	s_delay_alu instid0(SALU_CYCLE_1)
	s_or_b32 exec_lo, exec_lo, s21
	s_and_saveexec_b32 s21, s0
; %bb.9:                                ;   in Loop: Header=BB83_4 Depth=1
	ds_store_b32 v4, v11
; %bb.10:                               ;   in Loop: Header=BB83_4 Depth=1
	s_or_b32 exec_lo, exec_lo, s21
	s_wait_dscnt 0x0
	ds_bpermute_b32 v0, v5, v3
	s_wait_dscnt 0x0
	s_barrier_signal -1
	s_barrier_wait -1
	v_add_f32_e32 v0, v3, v0
	ds_bpermute_b32 v1, v6, v0
	s_wait_dscnt 0x0
	v_add_f32_e32 v0, v0, v1
	ds_bpermute_b32 v1, v7, v0
	s_wait_dscnt 0x0
	;; [unrolled: 3-line block ×3, first 2 shown]
	v_add_f32_e32 v0, v0, v1
	ds_bpermute_b32 v1, v9, v0
	s_and_saveexec_b32 s21, s1
	s_cbranch_execz .LBB83_12
; %bb.11:                               ;   in Loop: Header=BB83_4 Depth=1
	s_wait_dscnt 0x0
	v_add_f32_e32 v0, v0, v1
	ds_store_b32 v10, v0
.LBB83_12:                              ;   in Loop: Header=BB83_4 Depth=1
	s_or_b32 exec_lo, exec_lo, s21
	v_mov_b32_e32 v0, 0
	s_wait_dscnt 0x0
	s_barrier_signal -1
	s_barrier_wait -1
	s_and_saveexec_b32 s21, s2
	s_cbranch_execnz .LBB83_15
; %bb.13:                               ;   in Loop: Header=BB83_4 Depth=1
	s_or_b32 exec_lo, exec_lo, s21
	s_and_saveexec_b32 s21, s0
	s_cbranch_execnz .LBB83_16
.LBB83_14:                              ;   in Loop: Header=BB83_4 Depth=1
	s_or_b32 exec_lo, exec_lo, s21
	s_and_saveexec_b32 s21, s3
	s_cbranch_execz .LBB83_3
	s_branch .LBB83_17
.LBB83_15:                              ;   in Loop: Header=BB83_4 Depth=1
	ds_load_b32 v0, v4
	s_or_b32 exec_lo, exec_lo, s21
	s_and_saveexec_b32 s21, s0
	s_cbranch_execz .LBB83_14
.LBB83_16:                              ;   in Loop: Header=BB83_4 Depth=1
	s_wait_dscnt 0x0
	ds_bpermute_b32 v1, v6, v0
	s_wait_dscnt 0x0
	v_add_f32_e32 v0, v0, v1
	ds_bpermute_b32 v1, v7, v0
	s_wait_dscnt 0x0
	v_add_f32_e32 v0, v0, v1
	;; [unrolled: 3-line block ×4, first 2 shown]
	s_or_b32 exec_lo, exec_lo, s21
	s_and_saveexec_b32 s21, s3
	s_cbranch_execz .LBB83_3
.LBB83_17:                              ;   in Loop: Header=BB83_4 Depth=1
	s_and_b32 vcc_lo, exec_lo, s30
	s_mov_b32 s24, -1
	s_cbranch_vccz .LBB83_19
; %bb.18:                               ;   in Loop: Header=BB83_4 Depth=1
	s_mul_u64 s[24:25], s[18:19], s[16:17]
	s_delay_alu instid0(SALU_CYCLE_1) | instskip(NEXT) | instid1(SALU_CYCLE_1)
	s_lshl_b64 s[24:25], s[24:25], 2
	s_add_nc_u64 s[26:27], s[4:5], s[24:25]
	s_mov_b32 s24, 0
	s_wait_dscnt 0x0
	global_store_b32 v11, v0, s[26:27]
.LBB83_19:                              ;   in Loop: Header=BB83_4 Depth=1
	s_and_not1_b32 vcc_lo, exec_lo, s24
	s_cbranch_vccnz .LBB83_3
; %bb.20:                               ;   in Loop: Header=BB83_4 Depth=1
	s_wait_dscnt 0x0
	v_and_b32_e32 v1, 0x7f800000, v0
	s_delay_alu instid0(VALU_DEP_1) | instskip(SKIP_2) | instid1(SALU_CYCLE_1)
	v_cmp_ne_u32_e32 vcc_lo, 0x7f800000, v1
                                        ; implicit-def: $vgpr1
	s_wait_xcnt 0x0
	s_and_saveexec_b32 s24, vcc_lo
	s_xor_b32 s24, exec_lo, s24
; %bb.21:                               ;   in Loop: Header=BB83_4 Depth=1
	v_bfe_u32 v1, v0, 16, 1
	s_delay_alu instid0(VALU_DEP_1)
	v_add3_u32 v1, v0, v1, 0x7fff
                                        ; implicit-def: $vgpr0
; %bb.22:                               ;   in Loop: Header=BB83_4 Depth=1
	s_and_not1_saveexec_b32 s24, s24
	s_cbranch_execz .LBB83_2
; %bb.23:                               ;   in Loop: Header=BB83_4 Depth=1
	v_and_b32_e32 v1, 0xffff, v0
	v_or_b32_e32 v3, 0x10000, v0
	s_delay_alu instid0(VALU_DEP_2) | instskip(NEXT) | instid1(VALU_DEP_2)
	v_cmp_eq_u32_e32 vcc_lo, 0, v1
	v_cndmask_b32_e32 v1, v3, v0, vcc_lo
	s_branch .LBB83_2
.LBB83_24:
	s_endpgm
	.section	.rodata,"a",@progbits
	.p2align	6, 0x0
	.amdhsa_kernel _ZL23rocblas_dot_kernel_inc1ILb0ELi512ELi8ELb0E16rocblas_bfloat16PKPKS0_fEviT4_llS5_lliPT5_PT3_
		.amdhsa_group_segment_fixed_size 128
		.amdhsa_private_segment_fixed_size 0
		.amdhsa_kernarg_size 336
		.amdhsa_user_sgpr_count 2
		.amdhsa_user_sgpr_dispatch_ptr 0
		.amdhsa_user_sgpr_queue_ptr 0
		.amdhsa_user_sgpr_kernarg_segment_ptr 1
		.amdhsa_user_sgpr_dispatch_id 0
		.amdhsa_user_sgpr_kernarg_preload_length 0
		.amdhsa_user_sgpr_kernarg_preload_offset 0
		.amdhsa_user_sgpr_private_segment_size 0
		.amdhsa_wavefront_size32 1
		.amdhsa_uses_dynamic_stack 0
		.amdhsa_enable_private_segment 0
		.amdhsa_system_sgpr_workgroup_id_x 1
		.amdhsa_system_sgpr_workgroup_id_y 0
		.amdhsa_system_sgpr_workgroup_id_z 1
		.amdhsa_system_sgpr_workgroup_info 0
		.amdhsa_system_vgpr_workitem_id 0
		.amdhsa_next_free_vgpr 18
		.amdhsa_next_free_sgpr 38
		.amdhsa_named_barrier_count 0
		.amdhsa_reserve_vcc 1
		.amdhsa_float_round_mode_32 0
		.amdhsa_float_round_mode_16_64 0
		.amdhsa_float_denorm_mode_32 3
		.amdhsa_float_denorm_mode_16_64 3
		.amdhsa_fp16_overflow 0
		.amdhsa_memory_ordered 1
		.amdhsa_forward_progress 1
		.amdhsa_inst_pref_size 9
		.amdhsa_round_robin_scheduling 0
		.amdhsa_exception_fp_ieee_invalid_op 0
		.amdhsa_exception_fp_denorm_src 0
		.amdhsa_exception_fp_ieee_div_zero 0
		.amdhsa_exception_fp_ieee_overflow 0
		.amdhsa_exception_fp_ieee_underflow 0
		.amdhsa_exception_fp_ieee_inexact 0
		.amdhsa_exception_int_div_zero 0
	.end_amdhsa_kernel
	.section	.text._ZL23rocblas_dot_kernel_inc1ILb0ELi512ELi8ELb0E16rocblas_bfloat16PKPKS0_fEviT4_llS5_lliPT5_PT3_,"axG",@progbits,_ZL23rocblas_dot_kernel_inc1ILb0ELi512ELi8ELb0E16rocblas_bfloat16PKPKS0_fEviT4_llS5_lliPT5_PT3_,comdat
.Lfunc_end83:
	.size	_ZL23rocblas_dot_kernel_inc1ILb0ELi512ELi8ELb0E16rocblas_bfloat16PKPKS0_fEviT4_llS5_lliPT5_PT3_, .Lfunc_end83-_ZL23rocblas_dot_kernel_inc1ILb0ELi512ELi8ELb0E16rocblas_bfloat16PKPKS0_fEviT4_llS5_lliPT5_PT3_
                                        ; -- End function
	.set _ZL23rocblas_dot_kernel_inc1ILb0ELi512ELi8ELb0E16rocblas_bfloat16PKPKS0_fEviT4_llS5_lliPT5_PT3_.num_vgpr, 18
	.set _ZL23rocblas_dot_kernel_inc1ILb0ELi512ELi8ELb0E16rocblas_bfloat16PKPKS0_fEviT4_llS5_lliPT5_PT3_.num_agpr, 0
	.set _ZL23rocblas_dot_kernel_inc1ILb0ELi512ELi8ELb0E16rocblas_bfloat16PKPKS0_fEviT4_llS5_lliPT5_PT3_.numbered_sgpr, 38
	.set _ZL23rocblas_dot_kernel_inc1ILb0ELi512ELi8ELb0E16rocblas_bfloat16PKPKS0_fEviT4_llS5_lliPT5_PT3_.num_named_barrier, 0
	.set _ZL23rocblas_dot_kernel_inc1ILb0ELi512ELi8ELb0E16rocblas_bfloat16PKPKS0_fEviT4_llS5_lliPT5_PT3_.private_seg_size, 0
	.set _ZL23rocblas_dot_kernel_inc1ILb0ELi512ELi8ELb0E16rocblas_bfloat16PKPKS0_fEviT4_llS5_lliPT5_PT3_.uses_vcc, 1
	.set _ZL23rocblas_dot_kernel_inc1ILb0ELi512ELi8ELb0E16rocblas_bfloat16PKPKS0_fEviT4_llS5_lliPT5_PT3_.uses_flat_scratch, 0
	.set _ZL23rocblas_dot_kernel_inc1ILb0ELi512ELi8ELb0E16rocblas_bfloat16PKPKS0_fEviT4_llS5_lliPT5_PT3_.has_dyn_sized_stack, 0
	.set _ZL23rocblas_dot_kernel_inc1ILb0ELi512ELi8ELb0E16rocblas_bfloat16PKPKS0_fEviT4_llS5_lliPT5_PT3_.has_recursion, 0
	.set _ZL23rocblas_dot_kernel_inc1ILb0ELi512ELi8ELb0E16rocblas_bfloat16PKPKS0_fEviT4_llS5_lliPT5_PT3_.has_indirect_call, 0
	.section	.AMDGPU.csdata,"",@progbits
; Kernel info:
; codeLenInByte = 1068
; TotalNumSgprs: 40
; NumVgprs: 18
; ScratchSize: 0
; MemoryBound: 0
; FloatMode: 240
; IeeeMode: 1
; LDSByteSize: 128 bytes/workgroup (compile time only)
; SGPRBlocks: 0
; VGPRBlocks: 1
; NumSGPRsForWavesPerEU: 40
; NumVGPRsForWavesPerEU: 18
; NamedBarCnt: 0
; Occupancy: 16
; WaveLimiterHint : 1
; COMPUTE_PGM_RSRC2:SCRATCH_EN: 0
; COMPUTE_PGM_RSRC2:USER_SGPR: 2
; COMPUTE_PGM_RSRC2:TRAP_HANDLER: 0
; COMPUTE_PGM_RSRC2:TGID_X_EN: 1
; COMPUTE_PGM_RSRC2:TGID_Y_EN: 0
; COMPUTE_PGM_RSRC2:TGID_Z_EN: 1
; COMPUTE_PGM_RSRC2:TIDIG_COMP_CNT: 0
	.section	.text._ZL18rocblas_dot_kernelIiLb0ELi512ELi8ELb0E16rocblas_bfloat16PKPKS0_fEviT5_lT_lS5_lS6_liPT6_PT4_,"axG",@progbits,_ZL18rocblas_dot_kernelIiLb0ELi512ELi8ELb0E16rocblas_bfloat16PKPKS0_fEviT5_lT_lS5_lS6_liPT6_PT4_,comdat
	.globl	_ZL18rocblas_dot_kernelIiLb0ELi512ELi8ELb0E16rocblas_bfloat16PKPKS0_fEviT5_lT_lS5_lS6_liPT6_PT4_ ; -- Begin function _ZL18rocblas_dot_kernelIiLb0ELi512ELi8ELb0E16rocblas_bfloat16PKPKS0_fEviT5_lT_lS5_lS6_liPT6_PT4_
	.p2align	8
	.type	_ZL18rocblas_dot_kernelIiLb0ELi512ELi8ELb0E16rocblas_bfloat16PKPKS0_fEviT5_lT_lS5_lS6_liPT6_PT4_,@function
_ZL18rocblas_dot_kernelIiLb0ELi512ELi8ELb0E16rocblas_bfloat16PKPKS0_fEviT5_lT_lS5_lS6_liPT6_PT4_: ; @_ZL18rocblas_dot_kernelIiLb0ELi512ELi8ELb0E16rocblas_bfloat16PKPKS0_fEviT5_lT_lS5_lS6_liPT6_PT4_
; %bb.0:
	s_load_b32 s30, s[0:1], 0x48
	s_bfe_u32 s2, ttmp6, 0x40014
	s_lshr_b32 s3, ttmp7, 16
	s_add_co_i32 s2, s2, 1
	s_bfe_u32 s5, ttmp6, 0x40008
	s_mul_i32 s4, s3, s2
	s_getreg_b32 s2, hwreg(HW_REG_IB_STS2, 6, 4)
	s_add_co_i32 s5, s5, s4
	s_cmp_eq_u32 s2, 0
	s_mov_b32 s17, 0
	s_cselect_b32 s16, s3, s5
	s_wait_kmcnt 0x0
	s_cmp_ge_u32 s16, s30
	s_cbranch_scc1 .LBB84_24
; %bb.1:
	v_mbcnt_lo_u32_b32 v2, -1, 0
	s_clause 0x6
	s_load_b32 s22, s[0:1], 0x18
	s_load_b32 s26, s[0:1], 0x38
	s_load_b32 s18, s[0:1], 0x60
	s_load_b128 s[4:7], s[0:1], 0x50
	s_load_b128 s[8:11], s[0:1], 0x28
	;; [unrolled: 1-line block ×3, first 2 shown]
	s_load_b32 s31, s[0:1], 0x0
	s_bfe_u32 s3, ttmp6, 0x4000c
	s_wait_xcnt 0x0
	s_and_b32 s1, ttmp6, 15
	s_add_co_i32 s3, s3, 1
	v_cmp_gt_u32_e32 vcc_lo, 24, v2
	s_mul_i32 s3, ttmp9, s3
	v_and_b32_e32 v1, 31, v0
	s_add_co_i32 s1, s1, s3
	s_mov_b32 s25, s17
	v_cndmask_b32_e64 v3, 0, 8, vcc_lo
	v_cmp_gt_u32_e32 vcc_lo, 28, v2
	v_cmp_gt_u32_e64 s0, 32, v0
	v_lshl_or_b32 v5, v2, 2, 64
	v_cmp_eq_u32_e64 s3, 0, v0
	s_wait_kmcnt 0x0
	s_ashr_i32 s23, s22, 31
	v_cndmask_b32_e64 v8, 0, 4, vcc_lo
	v_cmp_gt_u32_e32 vcc_lo, 30, v2
	s_ashr_i32 s27, s26, 31
	s_cmp_eq_u32 s2, 0
	v_add_lshl_u32 v7, v3, v2, 2
	s_cselect_b32 s24, ttmp9, s1
	v_cndmask_b32_e64 v9, 0, 2, vcc_lo
	v_cmp_ne_u32_e32 vcc_lo, 31, v2
	s_cmp_lg_u32 s18, 1
	v_lshrrev_b32_e32 v3, 3, v0
	s_cselect_b32 s33, -1, 0
	s_lshl_b32 s20, s18, 9
	v_add_co_ci_u32_e64 v10, null, 0, v2, vcc_lo
	v_lshl_or_b32 v6, s24, 9, v0
	s_lshl_b64 s[24:25], s[24:25], 2
	s_ashr_i32 s21, s20, 31
	s_delay_alu instid0(VALU_DEP_2)
	v_dual_lshlrev_b32 v4, 2, v1 :: v_dual_lshlrev_b32 v10, 2, v10
	v_add_lshl_u32 v8, v8, v2, 2
	v_add_lshl_u32 v9, v9, v2, 2
	v_cmp_eq_u32_e64 s1, 0, v1
	v_dual_mov_b32 v12, 0 :: v_dual_bitop2_b32 v11, 60, v3 bitop3:0x40
	v_cmp_gt_u32_e64 s2, 16, v0
	s_add_nc_u64 s[4:5], s[4:5], s[24:25]
	s_mul_u64 s[24:25], s[22:23], s[20:21]
	s_mul_u64 s[28:29], s[26:27], s[20:21]
	s_mov_b32 s19, s17
	s_lshl_b64 s[14:15], s[14:15], 1
	s_lshl_b64 s[22:23], s[22:23], 1
	;; [unrolled: 1-line block ×6, first 2 shown]
	s_branch .LBB84_4
.LBB84_2:                               ;   in Loop: Header=BB84_4 Depth=1
	s_or_b32 exec_lo, exec_lo, s34
	s_lshl_b64 s[34:35], s[16:17], 1
	s_delay_alu instid0(SALU_CYCLE_1)
	s_add_nc_u64 s[34:35], s[6:7], s[34:35]
	global_store_d16_hi_b16 v12, v1, s[34:35]
.LBB84_3:                               ;   in Loop: Header=BB84_4 Depth=1
	s_wait_xcnt 0x0
	s_or_b32 exec_lo, exec_lo, s21
	s_add_co_i32 s16, s16, 0x10000
	s_delay_alu instid0(SALU_CYCLE_1)
	s_cmp_lt_u32 s16, s30
	s_cbranch_scc0 .LBB84_24
.LBB84_4:                               ; =>This Loop Header: Depth=1
                                        ;     Child Loop BB84_6 Depth 2
	v_mov_b32_e32 v13, 0
	s_mov_b32 s21, exec_lo
	v_cmpx_gt_i32_e64 s31, v6
	s_cbranch_execz .LBB84_8
; %bb.5:                                ;   in Loop: Header=BB84_4 Depth=1
	s_lshl_b64 s[34:35], s[16:17], 3
	v_ashrrev_i32_e32 v13, 31, v6
	s_add_nc_u64 s[36:37], s[12:13], s[34:35]
	s_add_nc_u64 s[34:35], s[8:9], s[34:35]
	s_load_b64 s[38:39], s[36:37], 0x0
	s_load_b64 s[40:41], s[34:35], 0x0
	s_wait_kmcnt 0x0
	s_wait_xcnt 0x0
	s_add_nc_u64 s[34:35], s[38:39], s[14:15]
	s_add_nc_u64 s[36:37], s[40:41], s[10:11]
	s_wait_dscnt 0x0
	v_mad_nc_u64_u32 v[0:1], s22, v6, s[34:35]
	v_mad_nc_u64_u32 v[2:3], s26, v6, s[36:37]
	s_mov_b32 s34, 0
	s_mov_b32 s35, 0
	s_delay_alu instid0(VALU_DEP_2) | instskip(NEXT) | instid1(VALU_DEP_2)
	v_mad_u32 v1, s23, v6, v1
	v_mad_u32 v3, s27, v6, v3
	s_delay_alu instid0(VALU_DEP_2) | instskip(NEXT) | instid1(VALU_DEP_2)
	v_mad_u32 v1, s22, v13, v1
	v_mad_u32 v3, s26, v13, v3
	v_mov_b32_e32 v13, 0
.LBB84_6:                               ;   Parent Loop BB84_4 Depth=1
                                        ; =>  This Inner Loop Header: Depth=2
	flat_load_u16 v14, v[2:3]
	flat_load_u16 v15, v[0:1]
	v_add_nc_u32_e32 v6, s20, v6
	s_add_co_i32 s36, s35, 1
	s_cmp_gt_u32 s35, 6
	s_wait_xcnt 0x0
	v_add_nc_u64_e32 v[0:1], s[24:25], v[0:1]
	s_cselect_b32 s35, -1, 0
	v_cmp_le_i32_e32 vcc_lo, s31, v6
	v_add_nc_u64_e32 v[2:3], s[28:29], v[2:3]
	s_or_b32 s35, s35, vcc_lo
	s_delay_alu instid0(SALU_CYCLE_1) | instskip(NEXT) | instid1(SALU_CYCLE_1)
	s_and_b32 s35, exec_lo, s35
	s_or_b32 s34, s35, s34
	s_mov_b32 s35, s36
	s_wait_loadcnt_dscnt 0x0
	v_fma_mix_f32_bf16 v13, v15, v14, v13 op_sel_hi:[1,1,0]
	s_and_not1_b32 exec_lo, exec_lo, s34
	s_cbranch_execnz .LBB84_6
; %bb.7:                                ;   in Loop: Header=BB84_4 Depth=1
	s_or_b32 exec_lo, exec_lo, s34
.LBB84_8:                               ;   in Loop: Header=BB84_4 Depth=1
	s_delay_alu instid0(SALU_CYCLE_1)
	s_or_b32 exec_lo, exec_lo, s21
	s_and_saveexec_b32 s21, s0
; %bb.9:                                ;   in Loop: Header=BB84_4 Depth=1
	ds_store_b32 v4, v12
; %bb.10:                               ;   in Loop: Header=BB84_4 Depth=1
	s_or_b32 exec_lo, exec_lo, s21
	s_wait_dscnt 0x0
	ds_bpermute_b32 v0, v5, v13
	s_wait_dscnt 0x0
	s_barrier_signal -1
	s_barrier_wait -1
	v_add_f32_e32 v0, v13, v0
	ds_bpermute_b32 v1, v7, v0
	s_wait_dscnt 0x0
	v_add_f32_e32 v0, v0, v1
	ds_bpermute_b32 v1, v8, v0
	s_wait_dscnt 0x0
	;; [unrolled: 3-line block ×3, first 2 shown]
	v_add_f32_e32 v0, v0, v1
	ds_bpermute_b32 v1, v10, v0
	s_and_saveexec_b32 s21, s1
	s_cbranch_execz .LBB84_12
; %bb.11:                               ;   in Loop: Header=BB84_4 Depth=1
	s_wait_dscnt 0x0
	v_add_f32_e32 v0, v0, v1
	ds_store_b32 v11, v0
.LBB84_12:                              ;   in Loop: Header=BB84_4 Depth=1
	s_or_b32 exec_lo, exec_lo, s21
	v_mov_b32_e32 v0, 0
	s_wait_dscnt 0x0
	s_barrier_signal -1
	s_barrier_wait -1
	s_and_saveexec_b32 s21, s2
	s_cbranch_execnz .LBB84_15
; %bb.13:                               ;   in Loop: Header=BB84_4 Depth=1
	s_or_b32 exec_lo, exec_lo, s21
	s_and_saveexec_b32 s21, s0
	s_cbranch_execnz .LBB84_16
.LBB84_14:                              ;   in Loop: Header=BB84_4 Depth=1
	s_or_b32 exec_lo, exec_lo, s21
	s_and_saveexec_b32 s21, s3
	s_cbranch_execz .LBB84_3
	s_branch .LBB84_17
.LBB84_15:                              ;   in Loop: Header=BB84_4 Depth=1
	ds_load_b32 v0, v4
	s_or_b32 exec_lo, exec_lo, s21
	s_and_saveexec_b32 s21, s0
	s_cbranch_execz .LBB84_14
.LBB84_16:                              ;   in Loop: Header=BB84_4 Depth=1
	s_wait_dscnt 0x0
	ds_bpermute_b32 v1, v7, v0
	s_wait_dscnt 0x0
	v_add_f32_e32 v0, v0, v1
	ds_bpermute_b32 v1, v8, v0
	s_wait_dscnt 0x0
	v_add_f32_e32 v0, v0, v1
	;; [unrolled: 3-line block ×4, first 2 shown]
	s_or_b32 exec_lo, exec_lo, s21
	s_and_saveexec_b32 s21, s3
	s_cbranch_execz .LBB84_3
.LBB84_17:                              ;   in Loop: Header=BB84_4 Depth=1
	s_and_b32 vcc_lo, exec_lo, s33
	s_mov_b32 s34, -1
	s_cbranch_vccz .LBB84_19
; %bb.18:                               ;   in Loop: Header=BB84_4 Depth=1
	s_mul_u64 s[34:35], s[18:19], s[16:17]
	s_delay_alu instid0(SALU_CYCLE_1) | instskip(NEXT) | instid1(SALU_CYCLE_1)
	s_lshl_b64 s[34:35], s[34:35], 2
	s_add_nc_u64 s[36:37], s[4:5], s[34:35]
	s_mov_b32 s34, 0
	s_wait_dscnt 0x0
	global_store_b32 v12, v0, s[36:37]
.LBB84_19:                              ;   in Loop: Header=BB84_4 Depth=1
	s_and_not1_b32 vcc_lo, exec_lo, s34
	s_cbranch_vccnz .LBB84_3
; %bb.20:                               ;   in Loop: Header=BB84_4 Depth=1
	s_wait_dscnt 0x0
	v_and_b32_e32 v1, 0x7f800000, v0
	s_delay_alu instid0(VALU_DEP_1) | instskip(SKIP_2) | instid1(SALU_CYCLE_1)
	v_cmp_ne_u32_e32 vcc_lo, 0x7f800000, v1
                                        ; implicit-def: $vgpr1
	s_wait_xcnt 0x0
	s_and_saveexec_b32 s34, vcc_lo
	s_xor_b32 s34, exec_lo, s34
; %bb.21:                               ;   in Loop: Header=BB84_4 Depth=1
	v_bfe_u32 v1, v0, 16, 1
	s_delay_alu instid0(VALU_DEP_1)
	v_add3_u32 v1, v0, v1, 0x7fff
                                        ; implicit-def: $vgpr0
; %bb.22:                               ;   in Loop: Header=BB84_4 Depth=1
	s_and_not1_saveexec_b32 s34, s34
	s_cbranch_execz .LBB84_2
; %bb.23:                               ;   in Loop: Header=BB84_4 Depth=1
	v_and_b32_e32 v1, 0xffff, v0
	v_or_b32_e32 v2, 0x10000, v0
	s_delay_alu instid0(VALU_DEP_2) | instskip(NEXT) | instid1(VALU_DEP_2)
	v_cmp_eq_u32_e32 vcc_lo, 0, v1
	v_cndmask_b32_e32 v1, v2, v0, vcc_lo
	s_branch .LBB84_2
.LBB84_24:
	s_endpgm
	.section	.rodata,"a",@progbits
	.p2align	6, 0x0
	.amdhsa_kernel _ZL18rocblas_dot_kernelIiLb0ELi512ELi8ELb0E16rocblas_bfloat16PKPKS0_fEviT5_lT_lS5_lS6_liPT6_PT4_
		.amdhsa_group_segment_fixed_size 128
		.amdhsa_private_segment_fixed_size 0
		.amdhsa_kernarg_size 352
		.amdhsa_user_sgpr_count 2
		.amdhsa_user_sgpr_dispatch_ptr 0
		.amdhsa_user_sgpr_queue_ptr 0
		.amdhsa_user_sgpr_kernarg_segment_ptr 1
		.amdhsa_user_sgpr_dispatch_id 0
		.amdhsa_user_sgpr_kernarg_preload_length 0
		.amdhsa_user_sgpr_kernarg_preload_offset 0
		.amdhsa_user_sgpr_private_segment_size 0
		.amdhsa_wavefront_size32 1
		.amdhsa_uses_dynamic_stack 0
		.amdhsa_enable_private_segment 0
		.amdhsa_system_sgpr_workgroup_id_x 1
		.amdhsa_system_sgpr_workgroup_id_y 0
		.amdhsa_system_sgpr_workgroup_id_z 1
		.amdhsa_system_sgpr_workgroup_info 0
		.amdhsa_system_vgpr_workitem_id 0
		.amdhsa_next_free_vgpr 16
		.amdhsa_next_free_sgpr 42
		.amdhsa_named_barrier_count 0
		.amdhsa_reserve_vcc 1
		.amdhsa_float_round_mode_32 0
		.amdhsa_float_round_mode_16_64 0
		.amdhsa_float_denorm_mode_32 3
		.amdhsa_float_denorm_mode_16_64 3
		.amdhsa_fp16_overflow 0
		.amdhsa_memory_ordered 1
		.amdhsa_forward_progress 1
		.amdhsa_inst_pref_size 9
		.amdhsa_round_robin_scheduling 0
		.amdhsa_exception_fp_ieee_invalid_op 0
		.amdhsa_exception_fp_denorm_src 0
		.amdhsa_exception_fp_ieee_div_zero 0
		.amdhsa_exception_fp_ieee_overflow 0
		.amdhsa_exception_fp_ieee_underflow 0
		.amdhsa_exception_fp_ieee_inexact 0
		.amdhsa_exception_int_div_zero 0
	.end_amdhsa_kernel
	.section	.text._ZL18rocblas_dot_kernelIiLb0ELi512ELi8ELb0E16rocblas_bfloat16PKPKS0_fEviT5_lT_lS5_lS6_liPT6_PT4_,"axG",@progbits,_ZL18rocblas_dot_kernelIiLb0ELi512ELi8ELb0E16rocblas_bfloat16PKPKS0_fEviT5_lT_lS5_lS6_liPT6_PT4_,comdat
.Lfunc_end84:
	.size	_ZL18rocblas_dot_kernelIiLb0ELi512ELi8ELb0E16rocblas_bfloat16PKPKS0_fEviT5_lT_lS5_lS6_liPT6_PT4_, .Lfunc_end84-_ZL18rocblas_dot_kernelIiLb0ELi512ELi8ELb0E16rocblas_bfloat16PKPKS0_fEviT5_lT_lS5_lS6_liPT6_PT4_
                                        ; -- End function
	.set _ZL18rocblas_dot_kernelIiLb0ELi512ELi8ELb0E16rocblas_bfloat16PKPKS0_fEviT5_lT_lS5_lS6_liPT6_PT4_.num_vgpr, 16
	.set _ZL18rocblas_dot_kernelIiLb0ELi512ELi8ELb0E16rocblas_bfloat16PKPKS0_fEviT5_lT_lS5_lS6_liPT6_PT4_.num_agpr, 0
	.set _ZL18rocblas_dot_kernelIiLb0ELi512ELi8ELb0E16rocblas_bfloat16PKPKS0_fEviT5_lT_lS5_lS6_liPT6_PT4_.numbered_sgpr, 42
	.set _ZL18rocblas_dot_kernelIiLb0ELi512ELi8ELb0E16rocblas_bfloat16PKPKS0_fEviT5_lT_lS5_lS6_liPT6_PT4_.num_named_barrier, 0
	.set _ZL18rocblas_dot_kernelIiLb0ELi512ELi8ELb0E16rocblas_bfloat16PKPKS0_fEviT5_lT_lS5_lS6_liPT6_PT4_.private_seg_size, 0
	.set _ZL18rocblas_dot_kernelIiLb0ELi512ELi8ELb0E16rocblas_bfloat16PKPKS0_fEviT5_lT_lS5_lS6_liPT6_PT4_.uses_vcc, 1
	.set _ZL18rocblas_dot_kernelIiLb0ELi512ELi8ELb0E16rocblas_bfloat16PKPKS0_fEviT5_lT_lS5_lS6_liPT6_PT4_.uses_flat_scratch, 0
	.set _ZL18rocblas_dot_kernelIiLb0ELi512ELi8ELb0E16rocblas_bfloat16PKPKS0_fEviT5_lT_lS5_lS6_liPT6_PT4_.has_dyn_sized_stack, 0
	.set _ZL18rocblas_dot_kernelIiLb0ELi512ELi8ELb0E16rocblas_bfloat16PKPKS0_fEviT5_lT_lS5_lS6_liPT6_PT4_.has_recursion, 0
	.set _ZL18rocblas_dot_kernelIiLb0ELi512ELi8ELb0E16rocblas_bfloat16PKPKS0_fEviT5_lT_lS5_lS6_liPT6_PT4_.has_indirect_call, 0
	.section	.AMDGPU.csdata,"",@progbits
; Kernel info:
; codeLenInByte = 1152
; TotalNumSgprs: 44
; NumVgprs: 16
; ScratchSize: 0
; MemoryBound: 0
; FloatMode: 240
; IeeeMode: 1
; LDSByteSize: 128 bytes/workgroup (compile time only)
; SGPRBlocks: 0
; VGPRBlocks: 0
; NumSGPRsForWavesPerEU: 44
; NumVGPRsForWavesPerEU: 16
; NamedBarCnt: 0
; Occupancy: 16
; WaveLimiterHint : 0
; COMPUTE_PGM_RSRC2:SCRATCH_EN: 0
; COMPUTE_PGM_RSRC2:USER_SGPR: 2
; COMPUTE_PGM_RSRC2:TRAP_HANDLER: 0
; COMPUTE_PGM_RSRC2:TGID_X_EN: 1
; COMPUTE_PGM_RSRC2:TGID_Y_EN: 0
; COMPUTE_PGM_RSRC2:TGID_Z_EN: 1
; COMPUTE_PGM_RSRC2:TIDIG_COMP_CNT: 0
	.section	.text._ZL24rocblas_dot_kernel_magsqIiLb0ELi512ELi8ELb0E16rocblas_bfloat16PKPKS0_fEviT5_lT_liPT6_PT4_,"axG",@progbits,_ZL24rocblas_dot_kernel_magsqIiLb0ELi512ELi8ELb0E16rocblas_bfloat16PKPKS0_fEviT5_lT_liPT6_PT4_,comdat
	.globl	_ZL24rocblas_dot_kernel_magsqIiLb0ELi512ELi8ELb0E16rocblas_bfloat16PKPKS0_fEviT5_lT_liPT6_PT4_ ; -- Begin function _ZL24rocblas_dot_kernel_magsqIiLb0ELi512ELi8ELb0E16rocblas_bfloat16PKPKS0_fEviT5_lT_liPT6_PT4_
	.p2align	8
	.type	_ZL24rocblas_dot_kernel_magsqIiLb0ELi512ELi8ELb0E16rocblas_bfloat16PKPKS0_fEviT5_lT_liPT6_PT4_,@function
_ZL24rocblas_dot_kernel_magsqIiLb0ELi512ELi8ELb0E16rocblas_bfloat16PKPKS0_fEviT5_lT_liPT6_PT4_: ; @_ZL24rocblas_dot_kernel_magsqIiLb0ELi512ELi8ELb0E16rocblas_bfloat16PKPKS0_fEviT5_lT_liPT6_PT4_
; %bb.0:
	s_load_b32 s22, s[0:1], 0x28
	s_bfe_u32 s2, ttmp6, 0x40014
	s_lshr_b32 s3, ttmp7, 16
	s_add_co_i32 s2, s2, 1
	s_bfe_u32 s5, ttmp6, 0x40008
	s_mul_i32 s4, s3, s2
	s_getreg_b32 s2, hwreg(HW_REG_IB_STS2, 6, 4)
	s_add_co_i32 s5, s5, s4
	s_cmp_eq_u32 s2, 0
	s_mov_b32 s13, 0
	s_cselect_b32 s12, s3, s5
	s_wait_kmcnt 0x0
	s_cmp_ge_u32 s12, s22
	s_cbranch_scc1 .LBB85_24
; %bb.1:
	v_mbcnt_lo_u32_b32 v7, -1, 0
	s_clause 0x4
	s_load_b32 s18, s[0:1], 0x18
	s_load_b32 s14, s[0:1], 0x40
	s_load_b128 s[4:7], s[0:1], 0x30
	s_load_b128 s[8:11], s[0:1], 0x8
	s_load_b32 s23, s[0:1], 0x0
	s_wait_xcnt 0x0
	s_bfe_u32 s0, ttmp6, 0x4000c
	s_and_b32 s1, ttmp6, 15
	s_add_co_i32 s3, s0, 1
	v_cmp_gt_u32_e32 vcc_lo, 24, v7
	s_mul_i32 s3, ttmp9, s3
	v_dual_lshrrev_b32 v10, 3, v0 :: v_dual_bitop2_b32 v1, 31, v0 bitop3:0x40
	s_add_co_i32 s1, s1, s3
	v_cndmask_b32_e64 v5, 0, 8, vcc_lo
	v_cmp_gt_u32_e32 vcc_lo, 28, v7
	s_mov_b32 s21, s13
	v_cmp_gt_u32_e64 s0, 32, v0
	v_lshlrev_b32_e32 v2, 2, v1
	v_lshl_or_b32 v3, v7, 2, 64
	v_cndmask_b32_e64 v6, 0, 4, vcc_lo
	v_cmp_gt_u32_e32 vcc_lo, 30, v7
	s_wait_kmcnt 0x0
	s_ashr_i32 s19, s18, 31
	s_cmp_eq_u32 s2, 0
	v_add_lshl_u32 v5, v5, v7, 2
	s_cselect_b32 s20, ttmp9, s1
	v_cndmask_b32_e64 v8, 0, 2, vcc_lo
	v_cmp_ne_u32_e32 vcc_lo, 31, v7
	s_cmp_lg_u32 s14, 1
	v_lshl_or_b32 v4, s20, 9, v0
	s_cselect_b32 s24, -1, 0
	s_lshl_b32 s16, s14, 9
	v_add_co_ci_u32_e64 v9, null, 0, v7, vcc_lo
	s_lshl_b64 s[20:21], s[20:21], 2
	s_ashr_i32 s17, s16, 31
	v_add_lshl_u32 v6, v6, v7, 2
	v_add_lshl_u32 v7, v8, v7, 2
	v_lshlrev_b32_e32 v8, 2, v9
	v_cmp_eq_u32_e64 s1, 0, v1
	v_and_b32_e32 v9, 60, v10
	v_cmp_gt_u32_e64 s2, 16, v0
	v_cmp_eq_u32_e64 s3, 0, v0
	v_mov_b32_e32 v10, 0
	s_add_nc_u64 s[4:5], s[4:5], s[20:21]
	s_mul_u64 s[20:21], s[18:19], s[16:17]
	s_mov_b32 s15, s13
	s_lshl_b64 s[10:11], s[10:11], 1
	s_lshl_b64 s[18:19], s[18:19], 1
	;; [unrolled: 1-line block ×3, first 2 shown]
	s_branch .LBB85_4
.LBB85_2:                               ;   in Loop: Header=BB85_4 Depth=1
	s_or_b32 exec_lo, exec_lo, s25
	s_lshl_b64 s[26:27], s[12:13], 1
	s_delay_alu instid0(SALU_CYCLE_1)
	s_add_nc_u64 s[26:27], s[6:7], s[26:27]
	global_store_d16_hi_b16 v10, v1, s[26:27]
.LBB85_3:                               ;   in Loop: Header=BB85_4 Depth=1
	s_wait_xcnt 0x0
	s_or_b32 exec_lo, exec_lo, s17
	s_add_co_i32 s12, s12, 0x10000
	s_delay_alu instid0(SALU_CYCLE_1)
	s_cmp_lt_u32 s12, s22
	s_cbranch_scc0 .LBB85_24
.LBB85_4:                               ; =>This Loop Header: Depth=1
                                        ;     Child Loop BB85_6 Depth 2
	v_mov_b32_e32 v11, 0
	s_mov_b32 s17, exec_lo
	v_cmpx_gt_i32_e64 s23, v4
	s_cbranch_execz .LBB85_8
; %bb.5:                                ;   in Loop: Header=BB85_4 Depth=1
	s_lshl_b64 s[26:27], s[12:13], 3
	v_ashrrev_i32_e32 v11, 31, v4
	s_add_nc_u64 s[26:27], s[8:9], s[26:27]
	s_mov_b32 s25, 0
	s_load_b64 s[26:27], s[26:27], 0x0
	s_wait_kmcnt 0x0
	s_wait_xcnt 0x0
	s_add_nc_u64 s[26:27], s[26:27], s[10:11]
	s_wait_dscnt 0x0
	v_mad_nc_u64_u32 v[0:1], s18, v4, s[26:27]
	s_mov_b32 s26, 0
	s_delay_alu instid0(VALU_DEP_1) | instskip(NEXT) | instid1(VALU_DEP_1)
	v_mad_u32 v1, s19, v4, v1
	v_mad_u32 v1, s18, v11, v1
	v_mov_b32_e32 v11, 0
.LBB85_6:                               ;   Parent Loop BB85_4 Depth=1
                                        ; =>  This Inner Loop Header: Depth=2
	flat_load_u16 v12, v[0:1]
	v_add_nc_u32_e32 v4, s16, v4
	s_add_co_i32 s27, s26, 1
	s_cmp_gt_u32 s26, 6
	s_wait_xcnt 0x0
	v_add_nc_u64_e32 v[0:1], s[20:21], v[0:1]
	s_cselect_b32 s26, -1, 0
	v_cmp_le_i32_e32 vcc_lo, s23, v4
	s_or_b32 s26, s26, vcc_lo
	s_delay_alu instid0(SALU_CYCLE_1) | instskip(NEXT) | instid1(SALU_CYCLE_1)
	s_and_b32 s26, exec_lo, s26
	s_or_b32 s25, s26, s25
	s_mov_b32 s26, s27
	s_wait_loadcnt_dscnt 0x0
	v_fma_mix_f32_bf16 v11, v12, v12, v11 op_sel_hi:[1,1,0]
	s_and_not1_b32 exec_lo, exec_lo, s25
	s_cbranch_execnz .LBB85_6
; %bb.7:                                ;   in Loop: Header=BB85_4 Depth=1
	s_or_b32 exec_lo, exec_lo, s25
.LBB85_8:                               ;   in Loop: Header=BB85_4 Depth=1
	s_delay_alu instid0(SALU_CYCLE_1)
	s_or_b32 exec_lo, exec_lo, s17
	s_and_saveexec_b32 s17, s0
; %bb.9:                                ;   in Loop: Header=BB85_4 Depth=1
	ds_store_b32 v2, v10
; %bb.10:                               ;   in Loop: Header=BB85_4 Depth=1
	s_or_b32 exec_lo, exec_lo, s17
	s_wait_dscnt 0x0
	ds_bpermute_b32 v0, v3, v11
	s_wait_dscnt 0x0
	s_barrier_signal -1
	s_barrier_wait -1
	v_add_f32_e32 v0, v11, v0
	ds_bpermute_b32 v1, v5, v0
	s_wait_dscnt 0x0
	v_add_f32_e32 v0, v0, v1
	ds_bpermute_b32 v1, v6, v0
	s_wait_dscnt 0x0
	;; [unrolled: 3-line block ×3, first 2 shown]
	v_add_f32_e32 v0, v0, v1
	ds_bpermute_b32 v1, v8, v0
	s_and_saveexec_b32 s17, s1
	s_cbranch_execz .LBB85_12
; %bb.11:                               ;   in Loop: Header=BB85_4 Depth=1
	s_wait_dscnt 0x0
	v_add_f32_e32 v0, v0, v1
	ds_store_b32 v9, v0
.LBB85_12:                              ;   in Loop: Header=BB85_4 Depth=1
	s_or_b32 exec_lo, exec_lo, s17
	v_mov_b32_e32 v0, 0
	s_wait_dscnt 0x0
	s_barrier_signal -1
	s_barrier_wait -1
	s_and_saveexec_b32 s17, s2
	s_cbranch_execnz .LBB85_15
; %bb.13:                               ;   in Loop: Header=BB85_4 Depth=1
	s_or_b32 exec_lo, exec_lo, s17
	s_and_saveexec_b32 s17, s0
	s_cbranch_execnz .LBB85_16
.LBB85_14:                              ;   in Loop: Header=BB85_4 Depth=1
	s_or_b32 exec_lo, exec_lo, s17
	s_and_saveexec_b32 s17, s3
	s_cbranch_execz .LBB85_3
	s_branch .LBB85_17
.LBB85_15:                              ;   in Loop: Header=BB85_4 Depth=1
	ds_load_b32 v0, v2
	s_or_b32 exec_lo, exec_lo, s17
	s_and_saveexec_b32 s17, s0
	s_cbranch_execz .LBB85_14
.LBB85_16:                              ;   in Loop: Header=BB85_4 Depth=1
	s_wait_dscnt 0x0
	ds_bpermute_b32 v1, v5, v0
	s_wait_dscnt 0x0
	v_add_f32_e32 v0, v0, v1
	ds_bpermute_b32 v1, v6, v0
	s_wait_dscnt 0x0
	v_add_f32_e32 v0, v0, v1
	;; [unrolled: 3-line block ×4, first 2 shown]
	s_or_b32 exec_lo, exec_lo, s17
	s_and_saveexec_b32 s17, s3
	s_cbranch_execz .LBB85_3
.LBB85_17:                              ;   in Loop: Header=BB85_4 Depth=1
	s_and_b32 vcc_lo, exec_lo, s24
	s_mov_b32 s25, -1
	s_cbranch_vccz .LBB85_19
; %bb.18:                               ;   in Loop: Header=BB85_4 Depth=1
	s_mul_u64 s[26:27], s[14:15], s[12:13]
	s_mov_b32 s25, 0
	s_lshl_b64 s[26:27], s[26:27], 2
	s_delay_alu instid0(SALU_CYCLE_1)
	s_add_nc_u64 s[26:27], s[4:5], s[26:27]
	s_wait_dscnt 0x0
	global_store_b32 v10, v0, s[26:27]
.LBB85_19:                              ;   in Loop: Header=BB85_4 Depth=1
	s_and_not1_b32 vcc_lo, exec_lo, s25
	s_cbranch_vccnz .LBB85_3
; %bb.20:                               ;   in Loop: Header=BB85_4 Depth=1
	s_wait_dscnt 0x0
	v_and_b32_e32 v1, 0x7f800000, v0
	s_delay_alu instid0(VALU_DEP_1) | instskip(SKIP_2) | instid1(SALU_CYCLE_1)
	v_cmp_ne_u32_e32 vcc_lo, 0x7f800000, v1
                                        ; implicit-def: $vgpr1
	s_wait_xcnt 0x0
	s_and_saveexec_b32 s25, vcc_lo
	s_xor_b32 s25, exec_lo, s25
; %bb.21:                               ;   in Loop: Header=BB85_4 Depth=1
	v_bfe_u32 v1, v0, 16, 1
	s_delay_alu instid0(VALU_DEP_1)
	v_add3_u32 v1, v0, v1, 0x7fff
                                        ; implicit-def: $vgpr0
; %bb.22:                               ;   in Loop: Header=BB85_4 Depth=1
	s_and_not1_saveexec_b32 s25, s25
	s_cbranch_execz .LBB85_2
; %bb.23:                               ;   in Loop: Header=BB85_4 Depth=1
	v_and_b32_e32 v1, 0xffff, v0
	v_or_b32_e32 v11, 0x10000, v0
	s_delay_alu instid0(VALU_DEP_2) | instskip(NEXT) | instid1(VALU_DEP_2)
	v_cmp_eq_u32_e32 vcc_lo, 0, v1
	v_cndmask_b32_e32 v1, v11, v0, vcc_lo
	s_branch .LBB85_2
.LBB85_24:
	s_endpgm
	.section	.rodata,"a",@progbits
	.p2align	6, 0x0
	.amdhsa_kernel _ZL24rocblas_dot_kernel_magsqIiLb0ELi512ELi8ELb0E16rocblas_bfloat16PKPKS0_fEviT5_lT_liPT6_PT4_
		.amdhsa_group_segment_fixed_size 128
		.amdhsa_private_segment_fixed_size 0
		.amdhsa_kernarg_size 320
		.amdhsa_user_sgpr_count 2
		.amdhsa_user_sgpr_dispatch_ptr 0
		.amdhsa_user_sgpr_queue_ptr 0
		.amdhsa_user_sgpr_kernarg_segment_ptr 1
		.amdhsa_user_sgpr_dispatch_id 0
		.amdhsa_user_sgpr_kernarg_preload_length 0
		.amdhsa_user_sgpr_kernarg_preload_offset 0
		.amdhsa_user_sgpr_private_segment_size 0
		.amdhsa_wavefront_size32 1
		.amdhsa_uses_dynamic_stack 0
		.amdhsa_enable_private_segment 0
		.amdhsa_system_sgpr_workgroup_id_x 1
		.amdhsa_system_sgpr_workgroup_id_y 0
		.amdhsa_system_sgpr_workgroup_id_z 1
		.amdhsa_system_sgpr_workgroup_info 0
		.amdhsa_system_vgpr_workitem_id 0
		.amdhsa_next_free_vgpr 13
		.amdhsa_next_free_sgpr 28
		.amdhsa_named_barrier_count 0
		.amdhsa_reserve_vcc 1
		.amdhsa_float_round_mode_32 0
		.amdhsa_float_round_mode_16_64 0
		.amdhsa_float_denorm_mode_32 3
		.amdhsa_float_denorm_mode_16_64 3
		.amdhsa_fp16_overflow 0
		.amdhsa_memory_ordered 1
		.amdhsa_forward_progress 1
		.amdhsa_inst_pref_size 9
		.amdhsa_round_robin_scheduling 0
		.amdhsa_exception_fp_ieee_invalid_op 0
		.amdhsa_exception_fp_denorm_src 0
		.amdhsa_exception_fp_ieee_div_zero 0
		.amdhsa_exception_fp_ieee_overflow 0
		.amdhsa_exception_fp_ieee_underflow 0
		.amdhsa_exception_fp_ieee_inexact 0
		.amdhsa_exception_int_div_zero 0
	.end_amdhsa_kernel
	.section	.text._ZL24rocblas_dot_kernel_magsqIiLb0ELi512ELi8ELb0E16rocblas_bfloat16PKPKS0_fEviT5_lT_liPT6_PT4_,"axG",@progbits,_ZL24rocblas_dot_kernel_magsqIiLb0ELi512ELi8ELb0E16rocblas_bfloat16PKPKS0_fEviT5_lT_liPT6_PT4_,comdat
.Lfunc_end85:
	.size	_ZL24rocblas_dot_kernel_magsqIiLb0ELi512ELi8ELb0E16rocblas_bfloat16PKPKS0_fEviT5_lT_liPT6_PT4_, .Lfunc_end85-_ZL24rocblas_dot_kernel_magsqIiLb0ELi512ELi8ELb0E16rocblas_bfloat16PKPKS0_fEviT5_lT_liPT6_PT4_
                                        ; -- End function
	.set _ZL24rocblas_dot_kernel_magsqIiLb0ELi512ELi8ELb0E16rocblas_bfloat16PKPKS0_fEviT5_lT_liPT6_PT4_.num_vgpr, 13
	.set _ZL24rocblas_dot_kernel_magsqIiLb0ELi512ELi8ELb0E16rocblas_bfloat16PKPKS0_fEviT5_lT_liPT6_PT4_.num_agpr, 0
	.set _ZL24rocblas_dot_kernel_magsqIiLb0ELi512ELi8ELb0E16rocblas_bfloat16PKPKS0_fEviT5_lT_liPT6_PT4_.numbered_sgpr, 28
	.set _ZL24rocblas_dot_kernel_magsqIiLb0ELi512ELi8ELb0E16rocblas_bfloat16PKPKS0_fEviT5_lT_liPT6_PT4_.num_named_barrier, 0
	.set _ZL24rocblas_dot_kernel_magsqIiLb0ELi512ELi8ELb0E16rocblas_bfloat16PKPKS0_fEviT5_lT_liPT6_PT4_.private_seg_size, 0
	.set _ZL24rocblas_dot_kernel_magsqIiLb0ELi512ELi8ELb0E16rocblas_bfloat16PKPKS0_fEviT5_lT_liPT6_PT4_.uses_vcc, 1
	.set _ZL24rocblas_dot_kernel_magsqIiLb0ELi512ELi8ELb0E16rocblas_bfloat16PKPKS0_fEviT5_lT_liPT6_PT4_.uses_flat_scratch, 0
	.set _ZL24rocblas_dot_kernel_magsqIiLb0ELi512ELi8ELb0E16rocblas_bfloat16PKPKS0_fEviT5_lT_liPT6_PT4_.has_dyn_sized_stack, 0
	.set _ZL24rocblas_dot_kernel_magsqIiLb0ELi512ELi8ELb0E16rocblas_bfloat16PKPKS0_fEviT5_lT_liPT6_PT4_.has_recursion, 0
	.set _ZL24rocblas_dot_kernel_magsqIiLb0ELi512ELi8ELb0E16rocblas_bfloat16PKPKS0_fEviT5_lT_liPT6_PT4_.has_indirect_call, 0
	.section	.AMDGPU.csdata,"",@progbits
; Kernel info:
; codeLenInByte = 1048
; TotalNumSgprs: 30
; NumVgprs: 13
; ScratchSize: 0
; MemoryBound: 0
; FloatMode: 240
; IeeeMode: 1
; LDSByteSize: 128 bytes/workgroup (compile time only)
; SGPRBlocks: 0
; VGPRBlocks: 0
; NumSGPRsForWavesPerEU: 30
; NumVGPRsForWavesPerEU: 13
; NamedBarCnt: 0
; Occupancy: 16
; WaveLimiterHint : 0
; COMPUTE_PGM_RSRC2:SCRATCH_EN: 0
; COMPUTE_PGM_RSRC2:USER_SGPR: 2
; COMPUTE_PGM_RSRC2:TRAP_HANDLER: 0
; COMPUTE_PGM_RSRC2:TGID_X_EN: 1
; COMPUTE_PGM_RSRC2:TGID_Y_EN: 0
; COMPUTE_PGM_RSRC2:TGID_Z_EN: 1
; COMPUTE_PGM_RSRC2:TIDIG_COMP_CNT: 0
	.section	.text._ZL28rocblas_dot_batched_4_kernelIiLi32ELi4ELb0EffPKPKfEviT5_lT_lS4_lS5_liPT4_,"axG",@progbits,_ZL28rocblas_dot_batched_4_kernelIiLi32ELi4ELb0EffPKPKfEviT5_lT_lS4_lS5_liPT4_,comdat
	.globl	_ZL28rocblas_dot_batched_4_kernelIiLi32ELi4ELb0EffPKPKfEviT5_lT_lS4_lS5_liPT4_ ; -- Begin function _ZL28rocblas_dot_batched_4_kernelIiLi32ELi4ELb0EffPKPKfEviT5_lT_lS4_lS5_liPT4_
	.p2align	8
	.type	_ZL28rocblas_dot_batched_4_kernelIiLi32ELi4ELb0EffPKPKfEviT5_lT_lS4_lS5_liPT4_,@function
_ZL28rocblas_dot_batched_4_kernelIiLi32ELi4ELb0EffPKPKfEviT5_lT_lS4_lS5_liPT4_: ; @_ZL28rocblas_dot_batched_4_kernelIiLi32ELi4ELb0EffPKPKfEviT5_lT_lS4_lS5_liPT4_
; %bb.0:
	s_load_b32 s2, s[0:1], 0x48
	s_bfe_u32 s3, ttmp6, 0x4000c
	s_and_b32 s4, ttmp6, 15
	s_add_co_i32 s3, s3, 1
	v_bfe_u32 v1, v0, 10, 10
	s_mul_i32 s3, ttmp9, s3
	s_delay_alu instid0(SALU_CYCLE_1) | instskip(SKIP_1) | instid1(SALU_CYCLE_1)
	s_add_co_i32 s4, s4, s3
	s_getreg_b32 s3, hwreg(HW_REG_IB_STS2, 6, 4)
	s_cmp_eq_u32 s3, 0
	s_cselect_b32 s3, ttmp9, s4
	s_delay_alu instid0(SALU_CYCLE_1) | instskip(SKIP_1) | instid1(VALU_DEP_1)
	v_lshl_add_u32 v2, s3, 2, v1
	s_wait_kmcnt 0x0
	v_cmp_gt_u32_e32 vcc_lo, s2, v2
	s_and_saveexec_b32 s2, vcc_lo
	s_cbranch_execz .LBB86_7
; %bb.1:
	s_load_b32 s6, s[0:1], 0x0
	v_mov_b32_e32 v3, 0
	v_and_b32_e32 v0, 0x3ff, v0
	s_mov_b32 s7, exec_lo
	s_delay_alu instid0(VALU_DEP_2) | instskip(SKIP_1) | instid1(VALU_DEP_2)
	v_mov_b32_e32 v1, v3
	s_wait_kmcnt 0x0
	v_cmpx_gt_i32_e64 s6, v0
	s_cbranch_execz .LBB86_5
; %bb.2:
	s_clause 0x1
	s_load_b128 s[8:11], s[0:1], 0x8
	s_load_b128 s[12:15], s[0:1], 0x28
	v_lshlrev_b64_e32 v[4:5], 3, v[2:3]
	s_clause 0x1
	s_load_b32 s2, s[0:1], 0x18
	s_load_b32 s4, s[0:1], 0x38
	v_mov_b32_e32 v1, 0
	s_wait_kmcnt 0x0
	s_delay_alu instid0(VALU_DEP_2)
	v_add_nc_u64_e32 v[6:7], s[8:9], v[4:5]
	v_add_nc_u64_e32 v[4:5], s[12:13], v[4:5]
	s_ashr_i32 s3, s2, 31
	s_lshl_b64 s[8:9], s[10:11], 2
	s_ashr_i32 s5, s4, 31
	s_lshl_b64 s[10:11], s[14:15], 2
	global_load_b64 v[8:9], v[6:7], off
	global_load_b64 v[10:11], v[4:5], off
	s_wait_xcnt 0x0
	v_mul_u64_e32 v[4:5], s[2:3], v[0:1]
	s_lshl_b64 s[2:3], s[2:3], 7
	s_delay_alu instid0(VALU_DEP_1) | instskip(SKIP_2) | instid1(VALU_DEP_1)
	v_lshl_add_u64 v[4:5], v[4:5], 2, s[8:9]
	s_mov_b32 s8, 0
	s_wait_loadcnt 0x1
	v_add_nc_u64_e32 v[4:5], v[8:9], v[4:5]
	v_mov_b32_e32 v8, v0
	v_mul_u64_e32 v[6:7], s[4:5], v[0:1]
	s_lshl_b64 s[4:5], s[4:5], 7
	s_delay_alu instid0(VALU_DEP_1) | instskip(SKIP_1) | instid1(VALU_DEP_1)
	v_lshl_add_u64 v[6:7], v[6:7], 2, s[10:11]
	s_wait_loadcnt 0x0
	v_add_nc_u64_e32 v[6:7], v[10:11], v[6:7]
.LBB86_3:                               ; =>This Inner Loop Header: Depth=1
	flat_load_b32 v9, v[4:5]
	flat_load_b32 v10, v[6:7]
	v_add_nc_u32_e32 v8, 32, v8
	s_wait_xcnt 0x1
	v_add_nc_u64_e32 v[4:5], s[2:3], v[4:5]
	s_wait_xcnt 0x0
	v_add_nc_u64_e32 v[6:7], s[4:5], v[6:7]
	s_wait_loadcnt_dscnt 0x0
	v_fmac_f32_e32 v1, v9, v10
	v_cmp_le_i32_e32 vcc_lo, s6, v8
	s_or_b32 s8, vcc_lo, s8
	s_delay_alu instid0(SALU_CYCLE_1)
	s_and_not1_b32 exec_lo, exec_lo, s8
	s_cbranch_execnz .LBB86_3
; %bb.4:
	s_or_b32 exec_lo, exec_lo, s8
.LBB86_5:
	s_delay_alu instid0(SALU_CYCLE_1) | instskip(SKIP_4) | instid1(VALU_DEP_1)
	s_or_b32 exec_lo, exec_lo, s7
	v_mbcnt_lo_u32_b32 v4, -1, 0
	s_load_b64 s[0:1], s[0:1], 0x50
	s_barrier_signal -1
	s_barrier_wait -1
	v_lshl_or_b32 v5, v4, 2, 64
	v_cmp_gt_u32_e32 vcc_lo, 24, v4
	ds_bpermute_b32 v5, v5, v1
	v_cndmask_b32_e64 v6, 0, 8, vcc_lo
	v_cmp_gt_u32_e32 vcc_lo, 28, v4
	s_delay_alu instid0(VALU_DEP_2)
	v_add_lshl_u32 v6, v6, v4, 2
	s_wait_dscnt 0x0
	v_add_f32_e32 v1, v1, v5
	ds_bpermute_b32 v5, v6, v1
	v_cndmask_b32_e64 v6, 0, 4, vcc_lo
	v_cmp_gt_u32_e32 vcc_lo, 30, v4
	s_delay_alu instid0(VALU_DEP_2)
	v_add_lshl_u32 v6, v6, v4, 2
	s_wait_dscnt 0x0
	v_add_f32_e32 v1, v1, v5
	ds_bpermute_b32 v5, v6, v1
	v_cndmask_b32_e64 v6, 0, 2, vcc_lo
	v_cmp_ne_u32_e32 vcc_lo, 31, v4
	s_delay_alu instid0(VALU_DEP_2) | instskip(SKIP_3) | instid1(VALU_DEP_2)
	v_add_lshl_u32 v6, v6, v4, 2
	v_add_co_ci_u32_e64 v4, null, 0, v4, vcc_lo
	v_cmp_eq_u32_e32 vcc_lo, 0, v0
	s_wait_dscnt 0x0
	v_dual_add_f32 v1, v1, v5 :: v_dual_lshlrev_b32 v4, 2, v4
	ds_bpermute_b32 v5, v6, v1
	s_wait_dscnt 0x0
	v_add_f32_e32 v1, v1, v5
	ds_bpermute_b32 v4, v4, v1
	s_and_b32 exec_lo, exec_lo, vcc_lo
	s_cbranch_execz .LBB86_7
; %bb.6:
	s_wait_kmcnt 0x0
	v_lshl_add_u64 v[2:3], v[2:3], 2, s[0:1]
	s_wait_dscnt 0x0
	v_add_f32_e32 v0, v1, v4
	global_store_b32 v[2:3], v0, off
.LBB86_7:
	s_endpgm
	.section	.rodata,"a",@progbits
	.p2align	6, 0x0
	.amdhsa_kernel _ZL28rocblas_dot_batched_4_kernelIiLi32ELi4ELb0EffPKPKfEviT5_lT_lS4_lS5_liPT4_
		.amdhsa_group_segment_fixed_size 0
		.amdhsa_private_segment_fixed_size 0
		.amdhsa_kernarg_size 88
		.amdhsa_user_sgpr_count 2
		.amdhsa_user_sgpr_dispatch_ptr 0
		.amdhsa_user_sgpr_queue_ptr 0
		.amdhsa_user_sgpr_kernarg_segment_ptr 1
		.amdhsa_user_sgpr_dispatch_id 0
		.amdhsa_user_sgpr_kernarg_preload_length 0
		.amdhsa_user_sgpr_kernarg_preload_offset 0
		.amdhsa_user_sgpr_private_segment_size 0
		.amdhsa_wavefront_size32 1
		.amdhsa_uses_dynamic_stack 0
		.amdhsa_enable_private_segment 0
		.amdhsa_system_sgpr_workgroup_id_x 1
		.amdhsa_system_sgpr_workgroup_id_y 0
		.amdhsa_system_sgpr_workgroup_id_z 0
		.amdhsa_system_sgpr_workgroup_info 0
		.amdhsa_system_vgpr_workitem_id 1
		.amdhsa_next_free_vgpr 12
		.amdhsa_next_free_sgpr 16
		.amdhsa_named_barrier_count 0
		.amdhsa_reserve_vcc 1
		.amdhsa_float_round_mode_32 0
		.amdhsa_float_round_mode_16_64 0
		.amdhsa_float_denorm_mode_32 3
		.amdhsa_float_denorm_mode_16_64 3
		.amdhsa_fp16_overflow 0
		.amdhsa_memory_ordered 1
		.amdhsa_forward_progress 1
		.amdhsa_inst_pref_size 5
		.amdhsa_round_robin_scheduling 0
		.amdhsa_exception_fp_ieee_invalid_op 0
		.amdhsa_exception_fp_denorm_src 0
		.amdhsa_exception_fp_ieee_div_zero 0
		.amdhsa_exception_fp_ieee_overflow 0
		.amdhsa_exception_fp_ieee_underflow 0
		.amdhsa_exception_fp_ieee_inexact 0
		.amdhsa_exception_int_div_zero 0
	.end_amdhsa_kernel
	.section	.text._ZL28rocblas_dot_batched_4_kernelIiLi32ELi4ELb0EffPKPKfEviT5_lT_lS4_lS5_liPT4_,"axG",@progbits,_ZL28rocblas_dot_batched_4_kernelIiLi32ELi4ELb0EffPKPKfEviT5_lT_lS4_lS5_liPT4_,comdat
.Lfunc_end86:
	.size	_ZL28rocblas_dot_batched_4_kernelIiLi32ELi4ELb0EffPKPKfEviT5_lT_lS4_lS5_liPT4_, .Lfunc_end86-_ZL28rocblas_dot_batched_4_kernelIiLi32ELi4ELb0EffPKPKfEviT5_lT_lS4_lS5_liPT4_
                                        ; -- End function
	.set _ZL28rocblas_dot_batched_4_kernelIiLi32ELi4ELb0EffPKPKfEviT5_lT_lS4_lS5_liPT4_.num_vgpr, 12
	.set _ZL28rocblas_dot_batched_4_kernelIiLi32ELi4ELb0EffPKPKfEviT5_lT_lS4_lS5_liPT4_.num_agpr, 0
	.set _ZL28rocblas_dot_batched_4_kernelIiLi32ELi4ELb0EffPKPKfEviT5_lT_lS4_lS5_liPT4_.numbered_sgpr, 16
	.set _ZL28rocblas_dot_batched_4_kernelIiLi32ELi4ELb0EffPKPKfEviT5_lT_lS4_lS5_liPT4_.num_named_barrier, 0
	.set _ZL28rocblas_dot_batched_4_kernelIiLi32ELi4ELb0EffPKPKfEviT5_lT_lS4_lS5_liPT4_.private_seg_size, 0
	.set _ZL28rocblas_dot_batched_4_kernelIiLi32ELi4ELb0EffPKPKfEviT5_lT_lS4_lS5_liPT4_.uses_vcc, 1
	.set _ZL28rocblas_dot_batched_4_kernelIiLi32ELi4ELb0EffPKPKfEviT5_lT_lS4_lS5_liPT4_.uses_flat_scratch, 0
	.set _ZL28rocblas_dot_batched_4_kernelIiLi32ELi4ELb0EffPKPKfEviT5_lT_lS4_lS5_liPT4_.has_dyn_sized_stack, 0
	.set _ZL28rocblas_dot_batched_4_kernelIiLi32ELi4ELb0EffPKPKfEviT5_lT_lS4_lS5_liPT4_.has_recursion, 0
	.set _ZL28rocblas_dot_batched_4_kernelIiLi32ELi4ELb0EffPKPKfEviT5_lT_lS4_lS5_liPT4_.has_indirect_call, 0
	.section	.AMDGPU.csdata,"",@progbits
; Kernel info:
; codeLenInByte = 628
; TotalNumSgprs: 18
; NumVgprs: 12
; ScratchSize: 0
; MemoryBound: 0
; FloatMode: 240
; IeeeMode: 1
; LDSByteSize: 0 bytes/workgroup (compile time only)
; SGPRBlocks: 0
; VGPRBlocks: 0
; NumSGPRsForWavesPerEU: 18
; NumVGPRsForWavesPerEU: 12
; NamedBarCnt: 0
; Occupancy: 16
; WaveLimiterHint : 0
; COMPUTE_PGM_RSRC2:SCRATCH_EN: 0
; COMPUTE_PGM_RSRC2:USER_SGPR: 2
; COMPUTE_PGM_RSRC2:TRAP_HANDLER: 0
; COMPUTE_PGM_RSRC2:TGID_X_EN: 1
; COMPUTE_PGM_RSRC2:TGID_Y_EN: 0
; COMPUTE_PGM_RSRC2:TGID_Z_EN: 0
; COMPUTE_PGM_RSRC2:TIDIG_COMP_CNT: 1
	.section	.text._ZL28rocblas_dot_batched_4_kernelIiLi64ELi4ELb0EffPKPKfEviT5_lT_lS4_lS5_liPT4_,"axG",@progbits,_ZL28rocblas_dot_batched_4_kernelIiLi64ELi4ELb0EffPKPKfEviT5_lT_lS4_lS5_liPT4_,comdat
	.globl	_ZL28rocblas_dot_batched_4_kernelIiLi64ELi4ELb0EffPKPKfEviT5_lT_lS4_lS5_liPT4_ ; -- Begin function _ZL28rocblas_dot_batched_4_kernelIiLi64ELi4ELb0EffPKPKfEviT5_lT_lS4_lS5_liPT4_
	.p2align	8
	.type	_ZL28rocblas_dot_batched_4_kernelIiLi64ELi4ELb0EffPKPKfEviT5_lT_lS4_lS5_liPT4_,@function
_ZL28rocblas_dot_batched_4_kernelIiLi64ELi4ELb0EffPKPKfEviT5_lT_lS4_lS5_liPT4_: ; @_ZL28rocblas_dot_batched_4_kernelIiLi64ELi4ELb0EffPKPKfEviT5_lT_lS4_lS5_liPT4_
; %bb.0:
	s_load_b32 s2, s[0:1], 0x48
	s_bfe_u32 s3, ttmp6, 0x4000c
	s_and_b32 s4, ttmp6, 15
	s_add_co_i32 s3, s3, 1
	v_bfe_u32 v1, v0, 10, 10
	s_mul_i32 s3, ttmp9, s3
	s_delay_alu instid0(SALU_CYCLE_1) | instskip(SKIP_1) | instid1(SALU_CYCLE_1)
	s_add_co_i32 s4, s4, s3
	s_getreg_b32 s3, hwreg(HW_REG_IB_STS2, 6, 4)
	s_cmp_eq_u32 s3, 0
	s_cselect_b32 s3, ttmp9, s4
	s_delay_alu instid0(SALU_CYCLE_1) | instskip(SKIP_1) | instid1(VALU_DEP_1)
	v_lshl_add_u32 v2, s3, 2, v1
	s_wait_kmcnt 0x0
	v_cmp_gt_u32_e32 vcc_lo, s2, v2
	s_and_saveexec_b32 s2, vcc_lo
	s_cbranch_execz .LBB87_7
; %bb.1:
	s_load_b32 s6, s[0:1], 0x0
	v_mov_b32_e32 v3, 0
	v_and_b32_e32 v0, 0x3ff, v0
	s_mov_b32 s7, exec_lo
	s_delay_alu instid0(VALU_DEP_2) | instskip(SKIP_1) | instid1(VALU_DEP_2)
	v_mov_b32_e32 v1, v3
	s_wait_kmcnt 0x0
	v_cmpx_gt_i32_e64 s6, v0
	s_cbranch_execz .LBB87_5
; %bb.2:
	s_clause 0x1
	s_load_b128 s[8:11], s[0:1], 0x8
	s_load_b128 s[12:15], s[0:1], 0x28
	v_lshlrev_b64_e32 v[4:5], 3, v[2:3]
	s_clause 0x1
	s_load_b32 s2, s[0:1], 0x18
	s_load_b32 s4, s[0:1], 0x38
	v_mov_b32_e32 v1, 0
	s_wait_kmcnt 0x0
	s_delay_alu instid0(VALU_DEP_2)
	v_add_nc_u64_e32 v[6:7], s[8:9], v[4:5]
	v_add_nc_u64_e32 v[4:5], s[12:13], v[4:5]
	s_ashr_i32 s3, s2, 31
	s_lshl_b64 s[8:9], s[10:11], 2
	s_ashr_i32 s5, s4, 31
	s_lshl_b64 s[10:11], s[14:15], 2
	global_load_b64 v[8:9], v[6:7], off
	global_load_b64 v[10:11], v[4:5], off
	s_wait_xcnt 0x0
	v_mul_u64_e32 v[4:5], s[2:3], v[0:1]
	s_lshl_b64 s[2:3], s[2:3], 8
	s_delay_alu instid0(VALU_DEP_1) | instskip(SKIP_2) | instid1(VALU_DEP_1)
	v_lshl_add_u64 v[4:5], v[4:5], 2, s[8:9]
	s_mov_b32 s8, 0
	s_wait_loadcnt 0x1
	v_add_nc_u64_e32 v[4:5], v[8:9], v[4:5]
	v_mov_b32_e32 v8, v0
	v_mul_u64_e32 v[6:7], s[4:5], v[0:1]
	s_lshl_b64 s[4:5], s[4:5], 8
	s_delay_alu instid0(VALU_DEP_1) | instskip(SKIP_1) | instid1(VALU_DEP_1)
	v_lshl_add_u64 v[6:7], v[6:7], 2, s[10:11]
	s_wait_loadcnt 0x0
	v_add_nc_u64_e32 v[6:7], v[10:11], v[6:7]
.LBB87_3:                               ; =>This Inner Loop Header: Depth=1
	flat_load_b32 v9, v[4:5]
	flat_load_b32 v10, v[6:7]
	v_add_nc_u32_e32 v8, 64, v8
	s_wait_xcnt 0x1
	v_add_nc_u64_e32 v[4:5], s[2:3], v[4:5]
	s_wait_xcnt 0x0
	v_add_nc_u64_e32 v[6:7], s[4:5], v[6:7]
	s_wait_loadcnt_dscnt 0x0
	v_fmac_f32_e32 v1, v9, v10
	v_cmp_le_i32_e32 vcc_lo, s6, v8
	s_or_b32 s8, vcc_lo, s8
	s_delay_alu instid0(SALU_CYCLE_1)
	s_and_not1_b32 exec_lo, exec_lo, s8
	s_cbranch_execnz .LBB87_3
; %bb.4:
	s_or_b32 exec_lo, exec_lo, s8
.LBB87_5:
	s_delay_alu instid0(SALU_CYCLE_1) | instskip(SKIP_4) | instid1(VALU_DEP_1)
	s_or_b32 exec_lo, exec_lo, s7
	v_mbcnt_lo_u32_b32 v4, -1, 0
	s_load_b64 s[0:1], s[0:1], 0x50
	s_barrier_signal -1
	s_barrier_wait -1
	v_lshlrev_b32_e32 v5, 2, v4
	v_cmp_gt_u32_e32 vcc_lo, 24, v4
	ds_bpermute_b32 v6, v5, v1
	s_wait_dscnt 0x0
	v_dual_add_f32 v1, v1, v6 :: v_dual_bitop2_b32 v5, 64, v5 bitop3:0x54
	v_cndmask_b32_e64 v6, 0, 8, vcc_lo
	v_cmp_gt_u32_e32 vcc_lo, 28, v4
	ds_bpermute_b32 v5, v5, v1
	v_add_lshl_u32 v6, v6, v4, 2
	s_wait_dscnt 0x0
	v_add_f32_e32 v1, v1, v5
	ds_bpermute_b32 v5, v6, v1
	v_cndmask_b32_e64 v6, 0, 4, vcc_lo
	v_cmp_gt_u32_e32 vcc_lo, 30, v4
	s_delay_alu instid0(VALU_DEP_2)
	v_add_lshl_u32 v6, v6, v4, 2
	s_wait_dscnt 0x0
	v_add_f32_e32 v1, v1, v5
	ds_bpermute_b32 v5, v6, v1
	v_cndmask_b32_e64 v6, 0, 2, vcc_lo
	v_cmp_ne_u32_e32 vcc_lo, 31, v4
	s_delay_alu instid0(VALU_DEP_2) | instskip(SKIP_3) | instid1(VALU_DEP_2)
	v_add_lshl_u32 v6, v6, v4, 2
	v_add_co_ci_u32_e64 v4, null, 0, v4, vcc_lo
	v_cmp_eq_u32_e32 vcc_lo, 0, v0
	s_wait_dscnt 0x0
	v_dual_add_f32 v1, v1, v5 :: v_dual_lshlrev_b32 v4, 2, v4
	ds_bpermute_b32 v5, v6, v1
	s_wait_dscnt 0x0
	v_add_f32_e32 v1, v1, v5
	ds_bpermute_b32 v4, v4, v1
	s_and_b32 exec_lo, exec_lo, vcc_lo
	s_cbranch_execz .LBB87_7
; %bb.6:
	s_wait_kmcnt 0x0
	v_lshl_add_u64 v[2:3], v[2:3], 2, s[0:1]
	s_wait_dscnt 0x0
	v_add_f32_e32 v0, v1, v4
	global_store_b32 v[2:3], v0, off
.LBB87_7:
	s_endpgm
	.section	.rodata,"a",@progbits
	.p2align	6, 0x0
	.amdhsa_kernel _ZL28rocblas_dot_batched_4_kernelIiLi64ELi4ELb0EffPKPKfEviT5_lT_lS4_lS5_liPT4_
		.amdhsa_group_segment_fixed_size 0
		.amdhsa_private_segment_fixed_size 0
		.amdhsa_kernarg_size 88
		.amdhsa_user_sgpr_count 2
		.amdhsa_user_sgpr_dispatch_ptr 0
		.amdhsa_user_sgpr_queue_ptr 0
		.amdhsa_user_sgpr_kernarg_segment_ptr 1
		.amdhsa_user_sgpr_dispatch_id 0
		.amdhsa_user_sgpr_kernarg_preload_length 0
		.amdhsa_user_sgpr_kernarg_preload_offset 0
		.amdhsa_user_sgpr_private_segment_size 0
		.amdhsa_wavefront_size32 1
		.amdhsa_uses_dynamic_stack 0
		.amdhsa_enable_private_segment 0
		.amdhsa_system_sgpr_workgroup_id_x 1
		.amdhsa_system_sgpr_workgroup_id_y 0
		.amdhsa_system_sgpr_workgroup_id_z 0
		.amdhsa_system_sgpr_workgroup_info 0
		.amdhsa_system_vgpr_workitem_id 1
		.amdhsa_next_free_vgpr 12
		.amdhsa_next_free_sgpr 16
		.amdhsa_named_barrier_count 0
		.amdhsa_reserve_vcc 1
		.amdhsa_float_round_mode_32 0
		.amdhsa_float_round_mode_16_64 0
		.amdhsa_float_denorm_mode_32 3
		.amdhsa_float_denorm_mode_16_64 3
		.amdhsa_fp16_overflow 0
		.amdhsa_memory_ordered 1
		.amdhsa_forward_progress 1
		.amdhsa_inst_pref_size 6
		.amdhsa_round_robin_scheduling 0
		.amdhsa_exception_fp_ieee_invalid_op 0
		.amdhsa_exception_fp_denorm_src 0
		.amdhsa_exception_fp_ieee_div_zero 0
		.amdhsa_exception_fp_ieee_overflow 0
		.amdhsa_exception_fp_ieee_underflow 0
		.amdhsa_exception_fp_ieee_inexact 0
		.amdhsa_exception_int_div_zero 0
	.end_amdhsa_kernel
	.section	.text._ZL28rocblas_dot_batched_4_kernelIiLi64ELi4ELb0EffPKPKfEviT5_lT_lS4_lS5_liPT4_,"axG",@progbits,_ZL28rocblas_dot_batched_4_kernelIiLi64ELi4ELb0EffPKPKfEviT5_lT_lS4_lS5_liPT4_,comdat
.Lfunc_end87:
	.size	_ZL28rocblas_dot_batched_4_kernelIiLi64ELi4ELb0EffPKPKfEviT5_lT_lS4_lS5_liPT4_, .Lfunc_end87-_ZL28rocblas_dot_batched_4_kernelIiLi64ELi4ELb0EffPKPKfEviT5_lT_lS4_lS5_liPT4_
                                        ; -- End function
	.set _ZL28rocblas_dot_batched_4_kernelIiLi64ELi4ELb0EffPKPKfEviT5_lT_lS4_lS5_liPT4_.num_vgpr, 12
	.set _ZL28rocblas_dot_batched_4_kernelIiLi64ELi4ELb0EffPKPKfEviT5_lT_lS4_lS5_liPT4_.num_agpr, 0
	.set _ZL28rocblas_dot_batched_4_kernelIiLi64ELi4ELb0EffPKPKfEviT5_lT_lS4_lS5_liPT4_.numbered_sgpr, 16
	.set _ZL28rocblas_dot_batched_4_kernelIiLi64ELi4ELb0EffPKPKfEviT5_lT_lS4_lS5_liPT4_.num_named_barrier, 0
	.set _ZL28rocblas_dot_batched_4_kernelIiLi64ELi4ELb0EffPKPKfEviT5_lT_lS4_lS5_liPT4_.private_seg_size, 0
	.set _ZL28rocblas_dot_batched_4_kernelIiLi64ELi4ELb0EffPKPKfEviT5_lT_lS4_lS5_liPT4_.uses_vcc, 1
	.set _ZL28rocblas_dot_batched_4_kernelIiLi64ELi4ELb0EffPKPKfEviT5_lT_lS4_lS5_liPT4_.uses_flat_scratch, 0
	.set _ZL28rocblas_dot_batched_4_kernelIiLi64ELi4ELb0EffPKPKfEviT5_lT_lS4_lS5_liPT4_.has_dyn_sized_stack, 0
	.set _ZL28rocblas_dot_batched_4_kernelIiLi64ELi4ELb0EffPKPKfEviT5_lT_lS4_lS5_liPT4_.has_recursion, 0
	.set _ZL28rocblas_dot_batched_4_kernelIiLi64ELi4ELb0EffPKPKfEviT5_lT_lS4_lS5_liPT4_.has_indirect_call, 0
	.section	.AMDGPU.csdata,"",@progbits
; Kernel info:
; codeLenInByte = 644
; TotalNumSgprs: 18
; NumVgprs: 12
; ScratchSize: 0
; MemoryBound: 0
; FloatMode: 240
; IeeeMode: 1
; LDSByteSize: 0 bytes/workgroup (compile time only)
; SGPRBlocks: 0
; VGPRBlocks: 0
; NumSGPRsForWavesPerEU: 18
; NumVGPRsForWavesPerEU: 12
; NamedBarCnt: 0
; Occupancy: 16
; WaveLimiterHint : 0
; COMPUTE_PGM_RSRC2:SCRATCH_EN: 0
; COMPUTE_PGM_RSRC2:USER_SGPR: 2
; COMPUTE_PGM_RSRC2:TRAP_HANDLER: 0
; COMPUTE_PGM_RSRC2:TGID_X_EN: 1
; COMPUTE_PGM_RSRC2:TGID_Y_EN: 0
; COMPUTE_PGM_RSRC2:TGID_Z_EN: 0
; COMPUTE_PGM_RSRC2:TIDIG_COMP_CNT: 1
	.section	.text._ZL26rocblas_dot_kernel_inc1by2ILb1ELi1024ELi32ELb0EfPKPKffEviT4_llS4_lliPT5_PT3_,"axG",@progbits,_ZL26rocblas_dot_kernel_inc1by2ILb1ELi1024ELi32ELb0EfPKPKffEviT4_llS4_lliPT5_PT3_,comdat
	.globl	_ZL26rocblas_dot_kernel_inc1by2ILb1ELi1024ELi32ELb0EfPKPKffEviT4_llS4_lliPT5_PT3_ ; -- Begin function _ZL26rocblas_dot_kernel_inc1by2ILb1ELi1024ELi32ELb0EfPKPKffEviT4_llS4_lliPT5_PT3_
	.p2align	8
	.type	_ZL26rocblas_dot_kernel_inc1by2ILb1ELi1024ELi32ELb0EfPKPKffEviT4_llS4_lliPT5_PT3_,@function
_ZL26rocblas_dot_kernel_inc1by2ILb1ELi1024ELi32ELb0EfPKPKffEviT4_llS4_lliPT5_PT3_: ; @_ZL26rocblas_dot_kernel_inc1by2ILb1ELi1024ELi32ELb0EfPKPKffEviT4_llS4_lliPT5_PT3_
; %bb.0:
	s_load_b32 s3, s[0:1], 0x38
	s_bfe_u32 s2, ttmp6, 0x40014
	s_lshr_b32 s4, ttmp7, 16
	s_add_co_i32 s2, s2, 1
	s_bfe_u32 s5, ttmp6, 0x40008
	s_mul_i32 s2, s4, s2
	s_getreg_b32 s6, hwreg(HW_REG_IB_STS2, 6, 4)
	s_add_co_i32 s5, s5, s2
	s_cmp_eq_u32 s6, 0
	s_mov_b32 s13, 0
	s_cselect_b32 s12, s4, s5
	s_wait_kmcnt 0x0
	s_cmp_ge_u32 s12, s3
	s_cbranch_scc1 .LBB88_19
; %bb.1:
	v_mbcnt_lo_u32_b32 v2, -1, 0
	s_clause 0x3
	s_load_b32 s16, s[0:1], 0x0
	s_load_b128 s[4:7], s[0:1], 0x8
	s_load_b64 s[14:15], s[0:1], 0x48
	s_load_b128 s[8:11], s[0:1], 0x20
	v_dual_lshrrev_b32 v3, 3, v0 :: v_dual_bitop2_b32 v1, 31, v0 bitop3:0x40
	s_wait_xcnt 0x0
	v_cmp_gt_u32_e64 s0, 24, v2
	v_lshl_or_b32 v7, v2, 2, 64
	v_cmp_eq_u32_e64 s1, 0, v0
	v_mov_b32_e32 v13, 0
	v_and_b32_e32 v12, 0x7c, v3
	v_cndmask_b32_e64 v4, 0, 8, s0
	v_cmp_gt_u32_e64 s0, 28, v2
	v_cmp_gt_u32_e32 vcc_lo, 32, v0
	s_delay_alu instid0(VALU_DEP_3) | instskip(NEXT) | instid1(VALU_DEP_3)
	v_add_lshl_u32 v8, v4, v2, 2
	v_cndmask_b32_e64 v5, 0, 4, s0
	v_cmp_gt_u32_e64 s0, 30, v2
	s_wait_kmcnt 0x0
	s_ashr_i32 s17, s16, 31
	s_add_co_i32 s22, s16, -1
	v_cndmask_b32_e64 v10, 0, 2, s0
	v_cmp_ne_u32_e64 s0, 31, v2
	v_add_lshl_u32 v9, v5, v2, 2
	s_bitcmp1_b32 s16, 0
	v_add_lshl_u32 v10, v10, v2, 2
	v_add_co_ci_u32_e64 v11, null, 0, v2, s0
	v_lshlrev_b32_e32 v6, 2, v1
	v_cmp_eq_u32_e64 s0, 0, v1
	s_cselect_b32 s23, -1, 0
	v_lshlrev_b32_e32 v11, 2, v11
	s_lshl_b64 s[6:7], s[6:7], 2
	s_lshl_b64 s[10:11], s[10:11], 2
	;; [unrolled: 1-line block ×3, first 2 shown]
	s_branch .LBB88_3
.LBB88_2:                               ;   in Loop: Header=BB88_3 Depth=1
	s_wait_xcnt 0x0
	s_or_b32 exec_lo, exec_lo, s2
	s_add_co_i32 s12, s12, 0x10000
	s_delay_alu instid0(SALU_CYCLE_1)
	s_cmp_lt_u32 s12, s3
	s_cbranch_scc0 .LBB88_19
.LBB88_3:                               ; =>This Loop Header: Depth=1
                                        ;     Child Loop BB88_5 Depth 2
	s_load_b64 s[18:19], s[4:5], s12 offset:0x0 scale_offset
	s_load_b64 s[20:21], s[8:9], s12 offset:0x0 scale_offset
	s_wait_dscnt 0x0
	v_dual_mov_b32 v1, 0 :: v_dual_lshlrev_b32 v0, 1, v0
	s_mov_b32 s24, exec_lo
	s_wait_kmcnt 0x0
	s_add_nc_u64 s[18:19], s[18:19], s[6:7]
	s_add_nc_u64 s[20:21], s[20:21], s[10:11]
	v_cmpx_gt_i32_e64 s22, v0
	s_cbranch_execz .LBB88_7
; %bb.4:                                ;   in Loop: Header=BB88_3 Depth=1
	v_ashrrev_i32_e32 v1, 31, v0
	s_mov_b32 s25, 0
	s_mov_b32 s2, 0
	s_delay_alu instid0(VALU_DEP_1) | instskip(SKIP_1) | instid1(VALU_DEP_2)
	v_lshlrev_b64_e32 v[4:5], 2, v[0:1]
	v_mov_b32_e32 v1, 0
	v_add_nc_u64_e32 v[2:3], s[18:19], v[4:5]
	v_add_nc_u64_e32 v[4:5], s[20:21], v[4:5]
.LBB88_5:                               ;   Parent Loop BB88_3 Depth=1
                                        ; =>  This Inner Loop Header: Depth=2
	flat_load_b64 v[14:15], v[4:5]
	flat_load_b64 v[16:17], v[2:3]
	s_add_co_i32 s26, s2, 1
	s_cmp_gt_u32 s2, 30
	s_wait_xcnt 0x0
	v_add_nc_u64_e32 v[2:3], 0x2000, v[2:3]
	s_cselect_b32 s27, -1, 0
	v_add_nc_u64_e32 v[4:5], 0x2000, v[4:5]
	s_wait_loadcnt_dscnt 0x0
	v_pk_mul_f32 v[14:15], v[14:15], v[16:17]
	s_delay_alu instid0(VALU_DEP_1) | instskip(NEXT) | instid1(VALU_DEP_1)
	v_dual_add_f32 v1, v1, v14 :: v_dual_add_nc_u32 v0, 0x800, v0
	v_cmp_le_i32_e64 s2, s22, v0
	s_delay_alu instid0(VALU_DEP_2) | instskip(SKIP_1) | instid1(SALU_CYCLE_1)
	v_add_f32_e32 v1, v1, v15
	s_or_b32 s2, s27, s2
	s_and_b32 s2, exec_lo, s2
	s_delay_alu instid0(SALU_CYCLE_1)
	s_or_b32 s25, s2, s25
	s_mov_b32 s2, s26
	s_and_not1_b32 exec_lo, exec_lo, s25
	s_cbranch_execnz .LBB88_5
; %bb.6:                                ;   in Loop: Header=BB88_3 Depth=1
	s_or_b32 exec_lo, exec_lo, s25
.LBB88_7:                               ;   in Loop: Header=BB88_3 Depth=1
	s_delay_alu instid0(SALU_CYCLE_1) | instskip(SKIP_2) | instid1(SALU_CYCLE_1)
	s_or_b32 exec_lo, exec_lo, s24
	v_cmp_eq_u32_e64 s2, s22, v0
	s_and_b32 s24, s23, s2
	s_and_saveexec_b32 s2, s24
	s_cbranch_execz .LBB88_9
; %bb.8:                                ;   in Loop: Header=BB88_3 Depth=1
	s_add_nc_u64 s[20:21], s[20:21], s[16:17]
	s_add_nc_u64 s[18:19], s[18:19], s[16:17]
	s_clause 0x1
	flat_load_b32 v2, v13, s[20:21] offset:-4
	flat_load_b32 v3, v13, s[18:19] offset:-4
	s_wait_loadcnt_dscnt 0x0
	v_fmac_f32_e32 v1, v2, v3
.LBB88_9:                               ;   in Loop: Header=BB88_3 Depth=1
	s_wait_xcnt 0x0
	s_or_b32 exec_lo, exec_lo, s2
	s_and_saveexec_b32 s2, vcc_lo
; %bb.10:                               ;   in Loop: Header=BB88_3 Depth=1
	ds_store_b32 v6, v13
; %bb.11:                               ;   in Loop: Header=BB88_3 Depth=1
	s_or_b32 exec_lo, exec_lo, s2
	ds_bpermute_b32 v2, v7, v1
	s_wait_dscnt 0x0
	s_barrier_signal -1
	s_barrier_wait -1
	v_add_f32_e32 v1, v1, v2
	ds_bpermute_b32 v2, v8, v1
	s_wait_dscnt 0x0
	v_add_f32_e32 v1, v1, v2
	ds_bpermute_b32 v2, v9, v1
	s_wait_dscnt 0x0
	v_add_f32_e32 v1, v1, v2
	ds_bpermute_b32 v2, v10, v1
	s_wait_dscnt 0x0
	v_add_f32_e32 v1, v1, v2
	ds_bpermute_b32 v2, v11, v1
	s_and_saveexec_b32 s2, s0
	s_cbranch_execz .LBB88_13
; %bb.12:                               ;   in Loop: Header=BB88_3 Depth=1
	s_wait_dscnt 0x0
	v_add_f32_e32 v1, v1, v2
	ds_store_b32 v12, v1
.LBB88_13:                              ;   in Loop: Header=BB88_3 Depth=1
	s_or_b32 exec_lo, exec_lo, s2
	v_mov_b32_e32 v1, 0
	s_wait_dscnt 0x0
	s_barrier_signal -1
	s_barrier_wait -1
	s_and_saveexec_b32 s2, vcc_lo
	s_cbranch_execnz .LBB88_16
; %bb.14:                               ;   in Loop: Header=BB88_3 Depth=1
	s_or_b32 exec_lo, exec_lo, s2
	s_and_saveexec_b32 s2, vcc_lo
	s_cbranch_execnz .LBB88_17
.LBB88_15:                              ;   in Loop: Header=BB88_3 Depth=1
	s_or_b32 exec_lo, exec_lo, s2
	s_and_saveexec_b32 s2, s1
	s_cbranch_execz .LBB88_2
	s_branch .LBB88_18
.LBB88_16:                              ;   in Loop: Header=BB88_3 Depth=1
	ds_load_b32 v1, v6
	s_or_b32 exec_lo, exec_lo, s2
	s_and_saveexec_b32 s2, vcc_lo
	s_cbranch_execz .LBB88_15
.LBB88_17:                              ;   in Loop: Header=BB88_3 Depth=1
	s_wait_dscnt 0x0
	ds_bpermute_b32 v2, v7, v1
	s_wait_dscnt 0x0
	v_add_f32_e32 v1, v1, v2
	ds_bpermute_b32 v2, v8, v1
	s_wait_dscnt 0x0
	v_add_f32_e32 v1, v1, v2
	;; [unrolled: 3-line block ×5, first 2 shown]
	s_or_b32 exec_lo, exec_lo, s2
	s_and_saveexec_b32 s2, s1
	s_cbranch_execz .LBB88_2
.LBB88_18:                              ;   in Loop: Header=BB88_3 Depth=1
	s_lshl_b64 s[18:19], s[12:13], 2
	s_delay_alu instid0(SALU_CYCLE_1)
	s_add_nc_u64 s[18:19], s[14:15], s[18:19]
	s_wait_dscnt 0x0
	global_store_b32 v13, v1, s[18:19]
	s_branch .LBB88_2
.LBB88_19:
	s_endpgm
	.section	.rodata,"a",@progbits
	.p2align	6, 0x0
	.amdhsa_kernel _ZL26rocblas_dot_kernel_inc1by2ILb1ELi1024ELi32ELb0EfPKPKffEviT4_llS4_lliPT5_PT3_
		.amdhsa_group_segment_fixed_size 128
		.amdhsa_private_segment_fixed_size 0
		.amdhsa_kernarg_size 80
		.amdhsa_user_sgpr_count 2
		.amdhsa_user_sgpr_dispatch_ptr 0
		.amdhsa_user_sgpr_queue_ptr 0
		.amdhsa_user_sgpr_kernarg_segment_ptr 1
		.amdhsa_user_sgpr_dispatch_id 0
		.amdhsa_user_sgpr_kernarg_preload_length 0
		.amdhsa_user_sgpr_kernarg_preload_offset 0
		.amdhsa_user_sgpr_private_segment_size 0
		.amdhsa_wavefront_size32 1
		.amdhsa_uses_dynamic_stack 0
		.amdhsa_enable_private_segment 0
		.amdhsa_system_sgpr_workgroup_id_x 1
		.amdhsa_system_sgpr_workgroup_id_y 0
		.amdhsa_system_sgpr_workgroup_id_z 1
		.amdhsa_system_sgpr_workgroup_info 0
		.amdhsa_system_vgpr_workitem_id 0
		.amdhsa_next_free_vgpr 18
		.amdhsa_next_free_sgpr 28
		.amdhsa_named_barrier_count 0
		.amdhsa_reserve_vcc 1
		.amdhsa_float_round_mode_32 0
		.amdhsa_float_round_mode_16_64 0
		.amdhsa_float_denorm_mode_32 3
		.amdhsa_float_denorm_mode_16_64 3
		.amdhsa_fp16_overflow 0
		.amdhsa_memory_ordered 1
		.amdhsa_forward_progress 1
		.amdhsa_inst_pref_size 8
		.amdhsa_round_robin_scheduling 0
		.amdhsa_exception_fp_ieee_invalid_op 0
		.amdhsa_exception_fp_denorm_src 0
		.amdhsa_exception_fp_ieee_div_zero 0
		.amdhsa_exception_fp_ieee_overflow 0
		.amdhsa_exception_fp_ieee_underflow 0
		.amdhsa_exception_fp_ieee_inexact 0
		.amdhsa_exception_int_div_zero 0
	.end_amdhsa_kernel
	.section	.text._ZL26rocblas_dot_kernel_inc1by2ILb1ELi1024ELi32ELb0EfPKPKffEviT4_llS4_lliPT5_PT3_,"axG",@progbits,_ZL26rocblas_dot_kernel_inc1by2ILb1ELi1024ELi32ELb0EfPKPKffEviT4_llS4_lliPT5_PT3_,comdat
.Lfunc_end88:
	.size	_ZL26rocblas_dot_kernel_inc1by2ILb1ELi1024ELi32ELb0EfPKPKffEviT4_llS4_lliPT5_PT3_, .Lfunc_end88-_ZL26rocblas_dot_kernel_inc1by2ILb1ELi1024ELi32ELb0EfPKPKffEviT4_llS4_lliPT5_PT3_
                                        ; -- End function
	.set _ZL26rocblas_dot_kernel_inc1by2ILb1ELi1024ELi32ELb0EfPKPKffEviT4_llS4_lliPT5_PT3_.num_vgpr, 18
	.set _ZL26rocblas_dot_kernel_inc1by2ILb1ELi1024ELi32ELb0EfPKPKffEviT4_llS4_lliPT5_PT3_.num_agpr, 0
	.set _ZL26rocblas_dot_kernel_inc1by2ILb1ELi1024ELi32ELb0EfPKPKffEviT4_llS4_lliPT5_PT3_.numbered_sgpr, 28
	.set _ZL26rocblas_dot_kernel_inc1by2ILb1ELi1024ELi32ELb0EfPKPKffEviT4_llS4_lliPT5_PT3_.num_named_barrier, 0
	.set _ZL26rocblas_dot_kernel_inc1by2ILb1ELi1024ELi32ELb0EfPKPKffEviT4_llS4_lliPT5_PT3_.private_seg_size, 0
	.set _ZL26rocblas_dot_kernel_inc1by2ILb1ELi1024ELi32ELb0EfPKPKffEviT4_llS4_lliPT5_PT3_.uses_vcc, 1
	.set _ZL26rocblas_dot_kernel_inc1by2ILb1ELi1024ELi32ELb0EfPKPKffEviT4_llS4_lliPT5_PT3_.uses_flat_scratch, 1
	.set _ZL26rocblas_dot_kernel_inc1by2ILb1ELi1024ELi32ELb0EfPKPKffEviT4_llS4_lliPT5_PT3_.has_dyn_sized_stack, 0
	.set _ZL26rocblas_dot_kernel_inc1by2ILb1ELi1024ELi32ELb0EfPKPKffEviT4_llS4_lliPT5_PT3_.has_recursion, 0
	.set _ZL26rocblas_dot_kernel_inc1by2ILb1ELi1024ELi32ELb0EfPKPKffEviT4_llS4_lliPT5_PT3_.has_indirect_call, 0
	.section	.AMDGPU.csdata,"",@progbits
; Kernel info:
; codeLenInByte = 960
; TotalNumSgprs: 30
; NumVgprs: 18
; ScratchSize: 0
; MemoryBound: 0
; FloatMode: 240
; IeeeMode: 1
; LDSByteSize: 128 bytes/workgroup (compile time only)
; SGPRBlocks: 0
; VGPRBlocks: 1
; NumSGPRsForWavesPerEU: 30
; NumVGPRsForWavesPerEU: 18
; NamedBarCnt: 0
; Occupancy: 16
; WaveLimiterHint : 1
; COMPUTE_PGM_RSRC2:SCRATCH_EN: 0
; COMPUTE_PGM_RSRC2:USER_SGPR: 2
; COMPUTE_PGM_RSRC2:TRAP_HANDLER: 0
; COMPUTE_PGM_RSRC2:TGID_X_EN: 1
; COMPUTE_PGM_RSRC2:TGID_Y_EN: 0
; COMPUTE_PGM_RSRC2:TGID_Z_EN: 1
; COMPUTE_PGM_RSRC2:TIDIG_COMP_CNT: 0
	.section	.text._ZL18rocblas_dot_kernelIiLb1ELi1024ELi32ELb0EfPKPKffEviT5_lT_lS4_lS5_liPT6_PT4_,"axG",@progbits,_ZL18rocblas_dot_kernelIiLb1ELi1024ELi32ELb0EfPKPKffEviT5_lT_lS4_lS5_liPT6_PT4_,comdat
	.globl	_ZL18rocblas_dot_kernelIiLb1ELi1024ELi32ELb0EfPKPKffEviT5_lT_lS4_lS5_liPT6_PT4_ ; -- Begin function _ZL18rocblas_dot_kernelIiLb1ELi1024ELi32ELb0EfPKPKffEviT5_lT_lS4_lS5_liPT6_PT4_
	.p2align	8
	.type	_ZL18rocblas_dot_kernelIiLb1ELi1024ELi32ELb0EfPKPKffEviT5_lT_lS4_lS5_liPT6_PT4_,@function
_ZL18rocblas_dot_kernelIiLb1ELi1024ELi32ELb0EfPKPKffEviT5_lT_lS4_lS5_liPT6_PT4_: ; @_ZL18rocblas_dot_kernelIiLb1ELi1024ELi32ELb0EfPKPKffEviT5_lT_lS4_lS5_liPT6_PT4_
; %bb.0:
	s_load_b32 s3, s[0:1], 0x48
	s_bfe_u32 s2, ttmp6, 0x40014
	s_lshr_b32 s4, ttmp7, 16
	s_add_co_i32 s2, s2, 1
	s_bfe_u32 s5, ttmp6, 0x40008
	s_mul_i32 s2, s4, s2
	s_getreg_b32 s6, hwreg(HW_REG_IB_STS2, 6, 4)
	s_add_co_i32 s5, s5, s2
	s_cmp_eq_u32 s6, 0
	s_mov_b32 s17, 0
	s_cselect_b32 s16, s4, s5
	s_wait_kmcnt 0x0
	s_cmp_ge_u32 s16, s3
	s_cbranch_scc1 .LBB89_17
; %bb.1:
	v_mbcnt_lo_u32_b32 v3, -1, 0
	s_clause 0x5
	s_load_b32 s18, s[0:1], 0x18
	s_load_b32 s22, s[0:1], 0x38
	s_load_b96 s[12:14], s[0:1], 0x58
	s_load_b128 s[4:7], s[0:1], 0x28
	s_load_b128 s[8:11], s[0:1], 0x8
	s_load_b32 s26, s[0:1], 0x0
	v_and_b32_e32 v2, 31, v0
	s_wait_xcnt 0x0
	v_cmp_eq_u32_e64 s1, 0, v0
	v_cmp_gt_u32_e64 s0, 24, v3
	v_lshl_or_b32 v6, v3, 2, 64
	v_cmp_gt_u32_e32 vcc_lo, 32, v0
	v_mov_b32_e32 v12, 0
	s_delay_alu instid0(VALU_DEP_4) | instskip(SKIP_1) | instid1(VALU_DEP_2)
	v_cndmask_b32_e64 v4, 0, 8, s0
	v_cmp_gt_u32_e64 s0, 28, v3
	v_add_lshl_u32 v7, v4, v3, 2
	s_delay_alu instid0(VALU_DEP_2)
	v_cndmask_b32_e64 v5, 0, 4, s0
	v_cmp_gt_u32_e64 s0, 30, v3
	v_lshrrev_b32_e32 v4, 3, v0
	s_wait_kmcnt 0x0
	s_ashr_i32 s19, s18, 31
	s_lshl_b32 s14, s14, 10
	s_ashr_i32 s23, s22, 31
	v_cndmask_b32_e64 v9, 0, 2, s0
	v_cmp_ne_u32_e64 s0, 31, v3
	s_ashr_i32 s15, s14, 31
	v_lshlrev_b32_e32 v1, 2, v2
	v_add_lshl_u32 v8, v5, v3, 2
	v_add_lshl_u32 v9, v9, v3, 2
	v_add_co_ci_u32_e64 v10, null, 0, v3, s0
	v_cmp_eq_u32_e64 s0, 0, v2
	v_and_b32_e32 v11, 0x7c, v4
	s_mul_u64 s[20:21], s[18:19], s[14:15]
	v_lshlrev_b32_e32 v10, 2, v10
	s_mul_u64 s[24:25], s[22:23], s[14:15]
	s_lshl_b64 s[10:11], s[10:11], 2
	s_lshl_b64 s[18:19], s[18:19], 2
	;; [unrolled: 1-line block ×6, first 2 shown]
	s_branch .LBB89_3
.LBB89_2:                               ;   in Loop: Header=BB89_3 Depth=1
	s_wait_xcnt 0x0
	s_or_b32 exec_lo, exec_lo, s2
	s_add_co_i32 s16, s16, 0x10000
	s_delay_alu instid0(SALU_CYCLE_1)
	s_cmp_lt_u32 s16, s3
	s_cbranch_scc0 .LBB89_17
.LBB89_3:                               ; =>This Loop Header: Depth=1
                                        ;     Child Loop BB89_5 Depth 2
	v_mov_b32_e32 v13, 0
	s_mov_b32 s15, exec_lo
	v_cmpx_gt_i32_e64 s26, v0
	s_cbranch_execz .LBB89_7
; %bb.4:                                ;   in Loop: Header=BB89_3 Depth=1
	s_lshl_b64 s[28:29], s[16:17], 3
	v_ashrrev_i32_e32 v13, 31, v0
	s_add_nc_u64 s[30:31], s[8:9], s[28:29]
	s_add_nc_u64 s[28:29], s[4:5], s[28:29]
	s_load_b64 s[34:35], s[30:31], 0x0
	s_load_b64 s[36:37], s[28:29], 0x0
	s_mov_b32 s27, 0
	s_wait_kmcnt 0x0
	s_wait_xcnt 0x0
	s_add_nc_u64 s[28:29], s[34:35], s[10:11]
	s_add_nc_u64 s[30:31], s[36:37], s[6:7]
	s_wait_dscnt 0x0
	v_mad_nc_u64_u32 v[2:3], s18, v0, s[28:29]
	v_mad_nc_u64_u32 v[4:5], s22, v0, s[30:31]
	s_mov_b32 s28, 0
	s_delay_alu instid0(VALU_DEP_2) | instskip(NEXT) | instid1(VALU_DEP_2)
	v_mad_u32 v3, s19, v0, v3
	v_mad_u32 v5, s23, v0, v5
	s_delay_alu instid0(VALU_DEP_2) | instskip(NEXT) | instid1(VALU_DEP_2)
	v_mad_u32 v3, s18, v13, v3
	v_mad_u32 v5, s22, v13, v5
	v_mov_b32_e32 v13, 0
.LBB89_5:                               ;   Parent Loop BB89_3 Depth=1
                                        ; =>  This Inner Loop Header: Depth=2
	flat_load_b32 v14, v[4:5]
	flat_load_b32 v15, v[2:3]
	v_add_nc_u32_e32 v0, s14, v0
	s_add_co_i32 s29, s28, 1
	s_cmp_gt_u32 s28, 30
	s_wait_xcnt 0x0
	v_add_nc_u64_e32 v[2:3], s[20:21], v[2:3]
	s_cselect_b32 s28, -1, 0
	v_add_nc_u64_e32 v[4:5], s[24:25], v[4:5]
	s_wait_loadcnt_dscnt 0x0
	v_fmac_f32_e32 v13, v14, v15
	v_cmp_le_i32_e64 s2, s26, v0
	s_or_b32 s2, s28, s2
	s_mov_b32 s28, s29
	s_and_b32 s2, exec_lo, s2
	s_delay_alu instid0(SALU_CYCLE_1) | instskip(NEXT) | instid1(SALU_CYCLE_1)
	s_or_b32 s27, s2, s27
	s_and_not1_b32 exec_lo, exec_lo, s27
	s_cbranch_execnz .LBB89_5
; %bb.6:                                ;   in Loop: Header=BB89_3 Depth=1
	s_or_b32 exec_lo, exec_lo, s27
.LBB89_7:                               ;   in Loop: Header=BB89_3 Depth=1
	s_delay_alu instid0(SALU_CYCLE_1)
	s_or_b32 exec_lo, exec_lo, s15
	s_and_saveexec_b32 s2, vcc_lo
; %bb.8:                                ;   in Loop: Header=BB89_3 Depth=1
	ds_store_b32 v1, v12
; %bb.9:                                ;   in Loop: Header=BB89_3 Depth=1
	s_or_b32 exec_lo, exec_lo, s2
	s_wait_dscnt 0x0
	ds_bpermute_b32 v2, v6, v13
	s_wait_dscnt 0x0
	s_barrier_signal -1
	s_barrier_wait -1
	v_add_f32_e32 v2, v13, v2
	ds_bpermute_b32 v3, v7, v2
	s_wait_dscnt 0x0
	v_add_f32_e32 v2, v2, v3
	ds_bpermute_b32 v3, v8, v2
	s_wait_dscnt 0x0
	;; [unrolled: 3-line block ×3, first 2 shown]
	v_add_f32_e32 v2, v2, v3
	ds_bpermute_b32 v3, v10, v2
	s_and_saveexec_b32 s2, s0
	s_cbranch_execz .LBB89_11
; %bb.10:                               ;   in Loop: Header=BB89_3 Depth=1
	s_wait_dscnt 0x0
	v_add_f32_e32 v2, v2, v3
	ds_store_b32 v11, v2
.LBB89_11:                              ;   in Loop: Header=BB89_3 Depth=1
	s_or_b32 exec_lo, exec_lo, s2
	v_mov_b32_e32 v2, 0
	s_wait_dscnt 0x0
	s_barrier_signal -1
	s_barrier_wait -1
	s_and_saveexec_b32 s2, vcc_lo
	s_cbranch_execnz .LBB89_14
; %bb.12:                               ;   in Loop: Header=BB89_3 Depth=1
	s_or_b32 exec_lo, exec_lo, s2
	s_and_saveexec_b32 s2, vcc_lo
	s_cbranch_execnz .LBB89_15
.LBB89_13:                              ;   in Loop: Header=BB89_3 Depth=1
	s_or_b32 exec_lo, exec_lo, s2
	s_and_saveexec_b32 s2, s1
	s_cbranch_execz .LBB89_2
	s_branch .LBB89_16
.LBB89_14:                              ;   in Loop: Header=BB89_3 Depth=1
	ds_load_b32 v2, v1
	s_or_b32 exec_lo, exec_lo, s2
	s_and_saveexec_b32 s2, vcc_lo
	s_cbranch_execz .LBB89_13
.LBB89_15:                              ;   in Loop: Header=BB89_3 Depth=1
	s_wait_dscnt 0x0
	ds_bpermute_b32 v3, v6, v2
	s_wait_dscnt 0x0
	v_add_f32_e32 v2, v2, v3
	ds_bpermute_b32 v3, v7, v2
	s_wait_dscnt 0x0
	v_add_f32_e32 v2, v2, v3
	;; [unrolled: 3-line block ×5, first 2 shown]
	s_or_b32 exec_lo, exec_lo, s2
	s_and_saveexec_b32 s2, s1
	s_cbranch_execz .LBB89_2
.LBB89_16:                              ;   in Loop: Header=BB89_3 Depth=1
	s_lshl_b64 s[28:29], s[16:17], 2
	s_delay_alu instid0(SALU_CYCLE_1)
	s_add_nc_u64 s[28:29], s[12:13], s[28:29]
	s_wait_dscnt 0x0
	global_store_b32 v12, v2, s[28:29]
	s_branch .LBB89_2
.LBB89_17:
	s_endpgm
	.section	.rodata,"a",@progbits
	.p2align	6, 0x0
	.amdhsa_kernel _ZL18rocblas_dot_kernelIiLb1ELi1024ELi32ELb0EfPKPKffEviT5_lT_lS4_lS5_liPT6_PT4_
		.amdhsa_group_segment_fixed_size 128
		.amdhsa_private_segment_fixed_size 0
		.amdhsa_kernarg_size 352
		.amdhsa_user_sgpr_count 2
		.amdhsa_user_sgpr_dispatch_ptr 0
		.amdhsa_user_sgpr_queue_ptr 0
		.amdhsa_user_sgpr_kernarg_segment_ptr 1
		.amdhsa_user_sgpr_dispatch_id 0
		.amdhsa_user_sgpr_kernarg_preload_length 0
		.amdhsa_user_sgpr_kernarg_preload_offset 0
		.amdhsa_user_sgpr_private_segment_size 0
		.amdhsa_wavefront_size32 1
		.amdhsa_uses_dynamic_stack 0
		.amdhsa_enable_private_segment 0
		.amdhsa_system_sgpr_workgroup_id_x 1
		.amdhsa_system_sgpr_workgroup_id_y 0
		.amdhsa_system_sgpr_workgroup_id_z 1
		.amdhsa_system_sgpr_workgroup_info 0
		.amdhsa_system_vgpr_workitem_id 0
		.amdhsa_next_free_vgpr 16
		.amdhsa_next_free_sgpr 38
		.amdhsa_named_barrier_count 0
		.amdhsa_reserve_vcc 1
		.amdhsa_float_round_mode_32 0
		.amdhsa_float_round_mode_16_64 0
		.amdhsa_float_denorm_mode_32 3
		.amdhsa_float_denorm_mode_16_64 3
		.amdhsa_fp16_overflow 0
		.amdhsa_memory_ordered 1
		.amdhsa_forward_progress 1
		.amdhsa_inst_pref_size 8
		.amdhsa_round_robin_scheduling 0
		.amdhsa_exception_fp_ieee_invalid_op 0
		.amdhsa_exception_fp_denorm_src 0
		.amdhsa_exception_fp_ieee_div_zero 0
		.amdhsa_exception_fp_ieee_overflow 0
		.amdhsa_exception_fp_ieee_underflow 0
		.amdhsa_exception_fp_ieee_inexact 0
		.amdhsa_exception_int_div_zero 0
	.end_amdhsa_kernel
	.section	.text._ZL18rocblas_dot_kernelIiLb1ELi1024ELi32ELb0EfPKPKffEviT5_lT_lS4_lS5_liPT6_PT4_,"axG",@progbits,_ZL18rocblas_dot_kernelIiLb1ELi1024ELi32ELb0EfPKPKffEviT5_lT_lS4_lS5_liPT6_PT4_,comdat
.Lfunc_end89:
	.size	_ZL18rocblas_dot_kernelIiLb1ELi1024ELi32ELb0EfPKPKffEviT5_lT_lS4_lS5_liPT6_PT4_, .Lfunc_end89-_ZL18rocblas_dot_kernelIiLb1ELi1024ELi32ELb0EfPKPKffEviT5_lT_lS4_lS5_liPT6_PT4_
                                        ; -- End function
	.set _ZL18rocblas_dot_kernelIiLb1ELi1024ELi32ELb0EfPKPKffEviT5_lT_lS4_lS5_liPT6_PT4_.num_vgpr, 16
	.set _ZL18rocblas_dot_kernelIiLb1ELi1024ELi32ELb0EfPKPKffEviT5_lT_lS4_lS5_liPT6_PT4_.num_agpr, 0
	.set _ZL18rocblas_dot_kernelIiLb1ELi1024ELi32ELb0EfPKPKffEviT5_lT_lS4_lS5_liPT6_PT4_.numbered_sgpr, 38
	.set _ZL18rocblas_dot_kernelIiLb1ELi1024ELi32ELb0EfPKPKffEviT5_lT_lS4_lS5_liPT6_PT4_.num_named_barrier, 0
	.set _ZL18rocblas_dot_kernelIiLb1ELi1024ELi32ELb0EfPKPKffEviT5_lT_lS4_lS5_liPT6_PT4_.private_seg_size, 0
	.set _ZL18rocblas_dot_kernelIiLb1ELi1024ELi32ELb0EfPKPKffEviT5_lT_lS4_lS5_liPT6_PT4_.uses_vcc, 1
	.set _ZL18rocblas_dot_kernelIiLb1ELi1024ELi32ELb0EfPKPKffEviT5_lT_lS4_lS5_liPT6_PT4_.uses_flat_scratch, 0
	.set _ZL18rocblas_dot_kernelIiLb1ELi1024ELi32ELb0EfPKPKffEviT5_lT_lS4_lS5_liPT6_PT4_.has_dyn_sized_stack, 0
	.set _ZL18rocblas_dot_kernelIiLb1ELi1024ELi32ELb0EfPKPKffEviT5_lT_lS4_lS5_liPT6_PT4_.has_recursion, 0
	.set _ZL18rocblas_dot_kernelIiLb1ELi1024ELi32ELb0EfPKPKffEviT5_lT_lS4_lS5_liPT6_PT4_.has_indirect_call, 0
	.section	.AMDGPU.csdata,"",@progbits
; Kernel info:
; codeLenInByte = 948
; TotalNumSgprs: 40
; NumVgprs: 16
; ScratchSize: 0
; MemoryBound: 0
; FloatMode: 240
; IeeeMode: 1
; LDSByteSize: 128 bytes/workgroup (compile time only)
; SGPRBlocks: 0
; VGPRBlocks: 0
; NumSGPRsForWavesPerEU: 40
; NumVGPRsForWavesPerEU: 16
; NamedBarCnt: 0
; Occupancy: 16
; WaveLimiterHint : 0
; COMPUTE_PGM_RSRC2:SCRATCH_EN: 0
; COMPUTE_PGM_RSRC2:USER_SGPR: 2
; COMPUTE_PGM_RSRC2:TRAP_HANDLER: 0
; COMPUTE_PGM_RSRC2:TGID_X_EN: 1
; COMPUTE_PGM_RSRC2:TGID_Y_EN: 0
; COMPUTE_PGM_RSRC2:TGID_Z_EN: 1
; COMPUTE_PGM_RSRC2:TIDIG_COMP_CNT: 0
	.section	.text._ZL24rocblas_dot_kernel_magsqIiLb1ELi1024ELi32ELb0EfPKPKffEviT5_lT_liPT6_PT4_,"axG",@progbits,_ZL24rocblas_dot_kernel_magsqIiLb1ELi1024ELi32ELb0EfPKPKffEviT5_lT_liPT6_PT4_,comdat
	.globl	_ZL24rocblas_dot_kernel_magsqIiLb1ELi1024ELi32ELb0EfPKPKffEviT5_lT_liPT6_PT4_ ; -- Begin function _ZL24rocblas_dot_kernel_magsqIiLb1ELi1024ELi32ELb0EfPKPKffEviT5_lT_liPT6_PT4_
	.p2align	8
	.type	_ZL24rocblas_dot_kernel_magsqIiLb1ELi1024ELi32ELb0EfPKPKffEviT5_lT_liPT6_PT4_,@function
_ZL24rocblas_dot_kernel_magsqIiLb1ELi1024ELi32ELb0EfPKPKffEviT5_lT_liPT6_PT4_: ; @_ZL24rocblas_dot_kernel_magsqIiLb1ELi1024ELi32ELb0EfPKPKffEviT5_lT_liPT6_PT4_
; %bb.0:
	s_load_b32 s3, s[0:1], 0x28
	s_bfe_u32 s2, ttmp6, 0x40014
	s_lshr_b32 s4, ttmp7, 16
	s_add_co_i32 s2, s2, 1
	s_bfe_u32 s5, ttmp6, 0x40008
	s_mul_i32 s2, s4, s2
	s_getreg_b32 s6, hwreg(HW_REG_IB_STS2, 6, 4)
	s_add_co_i32 s5, s5, s2
	s_cmp_eq_u32 s6, 0
	s_mov_b32 s13, 0
	s_cselect_b32 s12, s4, s5
	s_wait_kmcnt 0x0
	s_cmp_ge_u32 s12, s3
	s_cbranch_scc1 .LBB90_17
; %bb.1:
	v_mbcnt_lo_u32_b32 v3, -1, 0
	s_clause 0x3
	s_load_b32 s14, s[0:1], 0x18
	s_load_b96 s[8:10], s[0:1], 0x38
	s_load_b128 s[4:7], s[0:1], 0x8
	s_load_b32 s18, s[0:1], 0x0
	v_dual_lshrrev_b32 v9, 3, v0 :: v_dual_bitop2_b32 v2, 31, v0 bitop3:0x40
	s_wait_xcnt 0x0
	v_cmp_gt_u32_e64 s0, 24, v3
	v_lshl_or_b32 v4, v3, 2, 64
	v_cmp_eq_u32_e64 s1, 0, v0
	v_mov_b32_e32 v10, 0
	v_and_b32_e32 v9, 0x7c, v9
	v_cndmask_b32_e64 v5, 0, 8, s0
	v_cmp_gt_u32_e64 s0, 28, v3
	v_cmp_gt_u32_e32 vcc_lo, 32, v0
	s_delay_alu instid0(VALU_DEP_3) | instskip(NEXT) | instid1(VALU_DEP_3)
	v_add_lshl_u32 v5, v5, v3, 2
	v_cndmask_b32_e64 v6, 0, 4, s0
	v_cmp_gt_u32_e64 s0, 30, v3
	s_wait_kmcnt 0x0
	s_ashr_i32 s15, s14, 31
	s_lshl_b32 s10, s10, 10
	v_cndmask_b32_e64 v7, 0, 2, s0
	v_cmp_ne_u32_e64 s0, 31, v3
	s_ashr_i32 s11, s10, 31
	v_add_lshl_u32 v6, v6, v3, 2
	s_mul_u64 s[16:17], s[14:15], s[10:11]
	v_add_lshl_u32 v7, v7, v3, 2
	v_add_co_ci_u32_e64 v8, null, 0, v3, s0
	v_lshlrev_b32_e32 v1, 2, v2
	v_cmp_eq_u32_e64 s0, 0, v2
	s_lshl_b64 s[6:7], s[6:7], 2
	v_lshlrev_b32_e32 v8, 2, v8
	s_lshl_b64 s[14:15], s[14:15], 2
	s_lshl_b64 s[16:17], s[16:17], 2
	s_branch .LBB90_3
.LBB90_2:                               ;   in Loop: Header=BB90_3 Depth=1
	s_wait_xcnt 0x0
	s_or_b32 exec_lo, exec_lo, s2
	s_add_co_i32 s12, s12, 0x10000
	s_delay_alu instid0(SALU_CYCLE_1)
	s_cmp_lt_u32 s12, s3
	s_cbranch_scc0 .LBB90_17
.LBB90_3:                               ; =>This Loop Header: Depth=1
                                        ;     Child Loop BB90_5 Depth 2
	v_mov_b32_e32 v11, 0
	s_mov_b32 s11, exec_lo
	v_cmpx_gt_i32_e64 s18, v0
	s_cbranch_execz .LBB90_7
; %bb.4:                                ;   in Loop: Header=BB90_3 Depth=1
	s_lshl_b64 s[20:21], s[12:13], 3
	v_ashrrev_i32_e32 v11, 31, v0
	s_add_nc_u64 s[20:21], s[4:5], s[20:21]
	s_mov_b32 s19, 0
	s_load_b64 s[20:21], s[20:21], 0x0
	s_wait_kmcnt 0x0
	s_wait_xcnt 0x0
	s_add_nc_u64 s[20:21], s[20:21], s[6:7]
	s_wait_dscnt 0x0
	v_mad_nc_u64_u32 v[2:3], s14, v0, s[20:21]
	s_mov_b32 s20, 0
	s_delay_alu instid0(VALU_DEP_1) | instskip(NEXT) | instid1(VALU_DEP_1)
	v_mad_u32 v3, s15, v0, v3
	v_mad_u32 v3, s14, v11, v3
	v_mov_b32_e32 v11, 0
.LBB90_5:                               ;   Parent Loop BB90_3 Depth=1
                                        ; =>  This Inner Loop Header: Depth=2
	flat_load_b32 v12, v[2:3]
	v_add_nc_u32_e32 v0, s10, v0
	s_add_co_i32 s21, s20, 1
	s_cmp_gt_u32 s20, 30
	s_wait_xcnt 0x0
	v_add_nc_u64_e32 v[2:3], s[16:17], v[2:3]
	s_cselect_b32 s20, -1, 0
	v_cmp_le_i32_e64 s2, s18, v0
	s_or_b32 s2, s20, s2
	s_mov_b32 s20, s21
	s_and_b32 s2, exec_lo, s2
	s_delay_alu instid0(SALU_CYCLE_1)
	s_or_b32 s19, s2, s19
	s_wait_loadcnt_dscnt 0x0
	v_fmac_f32_e32 v11, v12, v12
	s_and_not1_b32 exec_lo, exec_lo, s19
	s_cbranch_execnz .LBB90_5
; %bb.6:                                ;   in Loop: Header=BB90_3 Depth=1
	s_or_b32 exec_lo, exec_lo, s19
.LBB90_7:                               ;   in Loop: Header=BB90_3 Depth=1
	s_delay_alu instid0(SALU_CYCLE_1)
	s_or_b32 exec_lo, exec_lo, s11
	s_and_saveexec_b32 s2, vcc_lo
; %bb.8:                                ;   in Loop: Header=BB90_3 Depth=1
	ds_store_b32 v1, v10
; %bb.9:                                ;   in Loop: Header=BB90_3 Depth=1
	s_or_b32 exec_lo, exec_lo, s2
	s_wait_dscnt 0x0
	ds_bpermute_b32 v2, v4, v11
	s_wait_dscnt 0x0
	s_barrier_signal -1
	s_barrier_wait -1
	v_add_f32_e32 v2, v11, v2
	ds_bpermute_b32 v3, v5, v2
	s_wait_dscnt 0x0
	v_add_f32_e32 v2, v2, v3
	ds_bpermute_b32 v3, v6, v2
	s_wait_dscnt 0x0
	;; [unrolled: 3-line block ×3, first 2 shown]
	v_add_f32_e32 v2, v2, v3
	ds_bpermute_b32 v3, v8, v2
	s_and_saveexec_b32 s2, s0
	s_cbranch_execz .LBB90_11
; %bb.10:                               ;   in Loop: Header=BB90_3 Depth=1
	s_wait_dscnt 0x0
	v_add_f32_e32 v2, v2, v3
	ds_store_b32 v9, v2
.LBB90_11:                              ;   in Loop: Header=BB90_3 Depth=1
	s_or_b32 exec_lo, exec_lo, s2
	v_mov_b32_e32 v2, 0
	s_wait_dscnt 0x0
	s_barrier_signal -1
	s_barrier_wait -1
	s_and_saveexec_b32 s2, vcc_lo
	s_cbranch_execnz .LBB90_14
; %bb.12:                               ;   in Loop: Header=BB90_3 Depth=1
	s_or_b32 exec_lo, exec_lo, s2
	s_and_saveexec_b32 s2, vcc_lo
	s_cbranch_execnz .LBB90_15
.LBB90_13:                              ;   in Loop: Header=BB90_3 Depth=1
	s_or_b32 exec_lo, exec_lo, s2
	s_and_saveexec_b32 s2, s1
	s_cbranch_execz .LBB90_2
	s_branch .LBB90_16
.LBB90_14:                              ;   in Loop: Header=BB90_3 Depth=1
	ds_load_b32 v2, v1
	s_or_b32 exec_lo, exec_lo, s2
	s_and_saveexec_b32 s2, vcc_lo
	s_cbranch_execz .LBB90_13
.LBB90_15:                              ;   in Loop: Header=BB90_3 Depth=1
	s_wait_dscnt 0x0
	ds_bpermute_b32 v3, v4, v2
	s_wait_dscnt 0x0
	v_add_f32_e32 v2, v2, v3
	ds_bpermute_b32 v3, v5, v2
	s_wait_dscnt 0x0
	v_add_f32_e32 v2, v2, v3
	;; [unrolled: 3-line block ×5, first 2 shown]
	s_or_b32 exec_lo, exec_lo, s2
	s_and_saveexec_b32 s2, s1
	s_cbranch_execz .LBB90_2
.LBB90_16:                              ;   in Loop: Header=BB90_3 Depth=1
	s_lshl_b64 s[20:21], s[12:13], 2
	s_delay_alu instid0(SALU_CYCLE_1)
	s_add_nc_u64 s[20:21], s[8:9], s[20:21]
	s_wait_dscnt 0x0
	global_store_b32 v10, v2, s[20:21]
	s_branch .LBB90_2
.LBB90_17:
	s_endpgm
	.section	.rodata,"a",@progbits
	.p2align	6, 0x0
	.amdhsa_kernel _ZL24rocblas_dot_kernel_magsqIiLb1ELi1024ELi32ELb0EfPKPKffEviT5_lT_liPT6_PT4_
		.amdhsa_group_segment_fixed_size 128
		.amdhsa_private_segment_fixed_size 0
		.amdhsa_kernarg_size 320
		.amdhsa_user_sgpr_count 2
		.amdhsa_user_sgpr_dispatch_ptr 0
		.amdhsa_user_sgpr_queue_ptr 0
		.amdhsa_user_sgpr_kernarg_segment_ptr 1
		.amdhsa_user_sgpr_dispatch_id 0
		.amdhsa_user_sgpr_kernarg_preload_length 0
		.amdhsa_user_sgpr_kernarg_preload_offset 0
		.amdhsa_user_sgpr_private_segment_size 0
		.amdhsa_wavefront_size32 1
		.amdhsa_uses_dynamic_stack 0
		.amdhsa_enable_private_segment 0
		.amdhsa_system_sgpr_workgroup_id_x 1
		.amdhsa_system_sgpr_workgroup_id_y 0
		.amdhsa_system_sgpr_workgroup_id_z 1
		.amdhsa_system_sgpr_workgroup_info 0
		.amdhsa_system_vgpr_workitem_id 0
		.amdhsa_next_free_vgpr 13
		.amdhsa_next_free_sgpr 22
		.amdhsa_named_barrier_count 0
		.amdhsa_reserve_vcc 1
		.amdhsa_float_round_mode_32 0
		.amdhsa_float_round_mode_16_64 0
		.amdhsa_float_denorm_mode_32 3
		.amdhsa_float_denorm_mode_16_64 3
		.amdhsa_fp16_overflow 0
		.amdhsa_memory_ordered 1
		.amdhsa_forward_progress 1
		.amdhsa_inst_pref_size 7
		.amdhsa_round_robin_scheduling 0
		.amdhsa_exception_fp_ieee_invalid_op 0
		.amdhsa_exception_fp_denorm_src 0
		.amdhsa_exception_fp_ieee_div_zero 0
		.amdhsa_exception_fp_ieee_overflow 0
		.amdhsa_exception_fp_ieee_underflow 0
		.amdhsa_exception_fp_ieee_inexact 0
		.amdhsa_exception_int_div_zero 0
	.end_amdhsa_kernel
	.section	.text._ZL24rocblas_dot_kernel_magsqIiLb1ELi1024ELi32ELb0EfPKPKffEviT5_lT_liPT6_PT4_,"axG",@progbits,_ZL24rocblas_dot_kernel_magsqIiLb1ELi1024ELi32ELb0EfPKPKffEviT5_lT_liPT6_PT4_,comdat
.Lfunc_end90:
	.size	_ZL24rocblas_dot_kernel_magsqIiLb1ELi1024ELi32ELb0EfPKPKffEviT5_lT_liPT6_PT4_, .Lfunc_end90-_ZL24rocblas_dot_kernel_magsqIiLb1ELi1024ELi32ELb0EfPKPKffEviT5_lT_liPT6_PT4_
                                        ; -- End function
	.set _ZL24rocblas_dot_kernel_magsqIiLb1ELi1024ELi32ELb0EfPKPKffEviT5_lT_liPT6_PT4_.num_vgpr, 13
	.set _ZL24rocblas_dot_kernel_magsqIiLb1ELi1024ELi32ELb0EfPKPKffEviT5_lT_liPT6_PT4_.num_agpr, 0
	.set _ZL24rocblas_dot_kernel_magsqIiLb1ELi1024ELi32ELb0EfPKPKffEviT5_lT_liPT6_PT4_.numbered_sgpr, 22
	.set _ZL24rocblas_dot_kernel_magsqIiLb1ELi1024ELi32ELb0EfPKPKffEviT5_lT_liPT6_PT4_.num_named_barrier, 0
	.set _ZL24rocblas_dot_kernel_magsqIiLb1ELi1024ELi32ELb0EfPKPKffEviT5_lT_liPT6_PT4_.private_seg_size, 0
	.set _ZL24rocblas_dot_kernel_magsqIiLb1ELi1024ELi32ELb0EfPKPKffEviT5_lT_liPT6_PT4_.uses_vcc, 1
	.set _ZL24rocblas_dot_kernel_magsqIiLb1ELi1024ELi32ELb0EfPKPKffEviT5_lT_liPT6_PT4_.uses_flat_scratch, 0
	.set _ZL24rocblas_dot_kernel_magsqIiLb1ELi1024ELi32ELb0EfPKPKffEviT5_lT_liPT6_PT4_.has_dyn_sized_stack, 0
	.set _ZL24rocblas_dot_kernel_magsqIiLb1ELi1024ELi32ELb0EfPKPKffEviT5_lT_liPT6_PT4_.has_recursion, 0
	.set _ZL24rocblas_dot_kernel_magsqIiLb1ELi1024ELi32ELb0EfPKPKffEviT5_lT_liPT6_PT4_.has_indirect_call, 0
	.section	.AMDGPU.csdata,"",@progbits
; Kernel info:
; codeLenInByte = 852
; TotalNumSgprs: 24
; NumVgprs: 13
; ScratchSize: 0
; MemoryBound: 0
; FloatMode: 240
; IeeeMode: 1
; LDSByteSize: 128 bytes/workgroup (compile time only)
; SGPRBlocks: 0
; VGPRBlocks: 0
; NumSGPRsForWavesPerEU: 24
; NumVGPRsForWavesPerEU: 13
; NamedBarCnt: 0
; Occupancy: 16
; WaveLimiterHint : 0
; COMPUTE_PGM_RSRC2:SCRATCH_EN: 0
; COMPUTE_PGM_RSRC2:USER_SGPR: 2
; COMPUTE_PGM_RSRC2:TRAP_HANDLER: 0
; COMPUTE_PGM_RSRC2:TGID_X_EN: 1
; COMPUTE_PGM_RSRC2:TGID_Y_EN: 0
; COMPUTE_PGM_RSRC2:TGID_Z_EN: 1
; COMPUTE_PGM_RSRC2:TIDIG_COMP_CNT: 0
	.section	.text._ZL23rocblas_dot_kernel_inc1ILb0ELi512ELi4ELb0EfPKPKffEviT4_llS4_lliPT5_PT3_,"axG",@progbits,_ZL23rocblas_dot_kernel_inc1ILb0ELi512ELi4ELb0EfPKPKffEviT4_llS4_lliPT5_PT3_,comdat
	.globl	_ZL23rocblas_dot_kernel_inc1ILb0ELi512ELi4ELb0EfPKPKffEviT4_llS4_lliPT5_PT3_ ; -- Begin function _ZL23rocblas_dot_kernel_inc1ILb0ELi512ELi4ELb0EfPKPKffEviT4_llS4_lliPT5_PT3_
	.p2align	8
	.type	_ZL23rocblas_dot_kernel_inc1ILb0ELi512ELi4ELb0EfPKPKffEviT4_llS4_lliPT5_PT3_,@function
_ZL23rocblas_dot_kernel_inc1ILb0ELi512ELi4ELb0EfPKPKffEviT4_llS4_lliPT5_PT3_: ; @_ZL23rocblas_dot_kernel_inc1ILb0ELi512ELi4ELb0EfPKPKffEviT4_llS4_lliPT5_PT3_
; %bb.0:
	s_load_b32 s28, s[0:1], 0x38
	s_bfe_u32 s2, ttmp6, 0x40014
	s_lshr_b32 s3, ttmp7, 16
	s_add_co_i32 s2, s2, 1
	s_bfe_u32 s5, ttmp6, 0x40008
	s_mul_i32 s4, s3, s2
	s_getreg_b32 s2, hwreg(HW_REG_IB_STS2, 6, 4)
	s_add_co_i32 s5, s5, s4
	s_cmp_eq_u32 s2, 0
	s_mov_b32 s17, 0
	s_cselect_b32 s16, s3, s5
	s_wait_kmcnt 0x0
	s_cmp_ge_u32 s16, s28
	s_cbranch_scc1 .LBB91_20
; %bb.1:
	v_mbcnt_lo_u32_b32 v3, -1, 0
	s_clause 0x4
	s_load_b32 s18, s[0:1], 0x50
	s_load_b128 s[4:7], s[0:1], 0x40
	s_load_b128 s[8:11], s[0:1], 0x20
	;; [unrolled: 1-line block ×3, first 2 shown]
	s_load_b32 s29, s[0:1], 0x0
	s_bfe_u32 s3, ttmp6, 0x4000c
	s_wait_xcnt 0x0
	s_and_b32 s1, ttmp6, 15
	s_add_co_i32 s3, s3, 1
	v_cmp_gt_u32_e32 vcc_lo, 24, v3
	s_mul_i32 s3, ttmp9, s3
	v_dual_lshrrev_b32 v10, 3, v0 :: v_dual_bitop2_b32 v1, 31, v0 bitop3:0x40
	s_add_co_i32 s1, s1, s3
	v_cndmask_b32_e64 v6, 0, 8, vcc_lo
	v_cmp_gt_u32_e32 vcc_lo, 28, v3
	s_cmp_eq_u32 s2, 0
	s_mov_b32 s23, s17
	s_cselect_b32 s22, ttmp9, s1
	v_cmp_gt_u32_e64 s0, 32, v0
	v_cndmask_b32_e64 v7, 0, 4, vcc_lo
	v_cmp_gt_u32_e32 vcc_lo, 30, v3
	s_wait_kmcnt 0x0
	s_cmp_lg_u32 s18, 1
	v_dual_lshlrev_b32 v4, 2, v1 :: v_dual_bitop2_b32 v10, 60, v10 bitop3:0x40
	s_cselect_b32 s30, -1, 0
	v_cndmask_b32_e64 v8, 0, 2, vcc_lo
	v_cmp_ne_u32_e32 vcc_lo, 31, v3
	s_lshl_b32 s20, s18, 9
	v_lshl_or_b32 v5, v3, 2, 64
	v_lshl_or_b32 v2, s22, 9, v0
	v_add_lshl_u32 v6, v6, v3, 2
	v_add_co_ci_u32_e64 v9, null, 0, v3, vcc_lo
	v_add_lshl_u32 v7, v7, v3, 2
	v_add_lshl_u32 v8, v8, v3, 2
	v_cmp_eq_u32_e64 s1, 0, v1
	s_delay_alu instid0(VALU_DEP_4)
	v_dual_lshlrev_b32 v9, 2, v9 :: v_dual_mov_b32 v11, 0
	v_cmp_gt_u32_e64 s2, 16, v0
	v_cmp_eq_u32_e64 s3, 0, v0
	s_lshl_b64 s[22:23], s[22:23], 2
	s_ashr_i32 s21, s20, 31
	s_mov_b32 s19, s17
	s_add_nc_u64 s[4:5], s[4:5], s[22:23]
	s_lshl_b64 s[22:23], s[20:21], 2
	s_lshl_b64 s[14:15], s[14:15], 2
	;; [unrolled: 1-line block ×3, first 2 shown]
	s_branch .LBB91_3
.LBB91_2:                               ;   in Loop: Header=BB91_3 Depth=1
	s_wait_xcnt 0x0
	s_or_b32 exec_lo, exec_lo, s21
	s_add_co_i32 s16, s16, 0x10000
	s_delay_alu instid0(SALU_CYCLE_1)
	s_cmp_lt_u32 s16, s28
	s_cbranch_scc0 .LBB91_20
.LBB91_3:                               ; =>This Loop Header: Depth=1
                                        ;     Child Loop BB91_5 Depth 2
	v_mov_b32_e32 v3, 0
	s_mov_b32 s21, exec_lo
	v_cmpx_gt_i32_e64 s29, v2
	s_cbranch_execz .LBB91_7
; %bb.4:                                ;   in Loop: Header=BB91_3 Depth=1
	s_lshl_b64 s[24:25], s[16:17], 3
	v_ashrrev_i32_e32 v3, 31, v2
	s_add_nc_u64 s[26:27], s[12:13], s[24:25]
	s_add_nc_u64 s[24:25], s[8:9], s[24:25]
	s_load_b64 s[34:35], s[26:27], 0x0
	s_load_b64 s[36:37], s[24:25], 0x0
	s_mov_b32 s31, 0
	s_wait_dscnt 0x0
	v_lshlrev_b64_e32 v[0:1], 2, v[2:3]
	v_mov_b32_e32 v3, 0
	s_mov_b32 s33, 0
	s_wait_kmcnt 0x0
	s_wait_xcnt 0x0
	s_add_nc_u64 s[24:25], s[34:35], s[14:15]
	s_add_nc_u64 s[26:27], s[36:37], s[10:11]
.LBB91_5:                               ;   Parent Loop BB91_3 Depth=1
                                        ; =>  This Inner Loop Header: Depth=2
	s_delay_alu instid0(SALU_CYCLE_1)
	v_add_nc_u64_e32 v[12:13], s[26:27], v[0:1]
	v_add_nc_u64_e32 v[14:15], s[24:25], v[0:1]
	s_add_co_i32 s34, s33, 1
	s_cmp_gt_u32 s33, 2
	v_add_nc_u64_e32 v[0:1], s[22:23], v[0:1]
	s_cselect_b32 s33, -1, 0
	flat_load_b32 v16, v[12:13]
	flat_load_b32 v17, v[14:15]
	s_wait_loadcnt_dscnt 0x0
	v_dual_fmac_f32 v3, v16, v17 :: v_dual_add_nc_u32 v2, s20, v2
	s_delay_alu instid0(VALU_DEP_1) | instskip(SKIP_1) | instid1(SALU_CYCLE_1)
	v_cmp_le_i32_e32 vcc_lo, s29, v2
	s_or_b32 s33, s33, vcc_lo
	s_and_b32 s33, exec_lo, s33
	s_delay_alu instid0(SALU_CYCLE_1)
	s_or_b32 s31, s33, s31
	s_mov_b32 s33, s34
	s_wait_xcnt 0x0
	s_and_not1_b32 exec_lo, exec_lo, s31
	s_cbranch_execnz .LBB91_5
; %bb.6:                                ;   in Loop: Header=BB91_3 Depth=1
	s_or_b32 exec_lo, exec_lo, s31
.LBB91_7:                               ;   in Loop: Header=BB91_3 Depth=1
	s_delay_alu instid0(SALU_CYCLE_1)
	s_or_b32 exec_lo, exec_lo, s21
	s_and_saveexec_b32 s21, s0
; %bb.8:                                ;   in Loop: Header=BB91_3 Depth=1
	ds_store_b32 v4, v11
; %bb.9:                                ;   in Loop: Header=BB91_3 Depth=1
	s_or_b32 exec_lo, exec_lo, s21
	s_wait_dscnt 0x0
	ds_bpermute_b32 v0, v5, v3
	s_wait_dscnt 0x0
	s_barrier_signal -1
	s_barrier_wait -1
	v_add_f32_e32 v0, v3, v0
	ds_bpermute_b32 v1, v6, v0
	s_wait_dscnt 0x0
	v_add_f32_e32 v0, v0, v1
	ds_bpermute_b32 v1, v7, v0
	s_wait_dscnt 0x0
	v_add_f32_e32 v0, v0, v1
	ds_bpermute_b32 v1, v8, v0
	s_wait_dscnt 0x0
	v_add_f32_e32 v0, v0, v1
	ds_bpermute_b32 v1, v9, v0
	s_and_saveexec_b32 s21, s1
	s_cbranch_execz .LBB91_11
; %bb.10:                               ;   in Loop: Header=BB91_3 Depth=1
	s_wait_dscnt 0x0
	v_add_f32_e32 v0, v0, v1
	ds_store_b32 v10, v0
.LBB91_11:                              ;   in Loop: Header=BB91_3 Depth=1
	s_or_b32 exec_lo, exec_lo, s21
	v_mov_b32_e32 v0, 0
	s_wait_dscnt 0x0
	s_barrier_signal -1
	s_barrier_wait -1
	s_and_saveexec_b32 s21, s2
	s_cbranch_execnz .LBB91_14
; %bb.12:                               ;   in Loop: Header=BB91_3 Depth=1
	s_or_b32 exec_lo, exec_lo, s21
	s_and_saveexec_b32 s21, s0
	s_cbranch_execnz .LBB91_15
.LBB91_13:                              ;   in Loop: Header=BB91_3 Depth=1
	s_or_b32 exec_lo, exec_lo, s21
	s_and_saveexec_b32 s21, s3
	s_cbranch_execz .LBB91_2
	s_branch .LBB91_16
.LBB91_14:                              ;   in Loop: Header=BB91_3 Depth=1
	ds_load_b32 v0, v4
	s_or_b32 exec_lo, exec_lo, s21
	s_and_saveexec_b32 s21, s0
	s_cbranch_execz .LBB91_13
.LBB91_15:                              ;   in Loop: Header=BB91_3 Depth=1
	s_wait_dscnt 0x0
	ds_bpermute_b32 v1, v6, v0
	s_wait_dscnt 0x0
	v_add_f32_e32 v0, v0, v1
	ds_bpermute_b32 v1, v7, v0
	s_wait_dscnt 0x0
	v_add_f32_e32 v0, v0, v1
	;; [unrolled: 3-line block ×4, first 2 shown]
	s_or_b32 exec_lo, exec_lo, s21
	s_and_saveexec_b32 s21, s3
	s_cbranch_execz .LBB91_2
.LBB91_16:                              ;   in Loop: Header=BB91_3 Depth=1
	s_and_b32 vcc_lo, exec_lo, s30
	s_mov_b32 s24, -1
	s_cbranch_vccz .LBB91_18
; %bb.17:                               ;   in Loop: Header=BB91_3 Depth=1
	s_mul_u64 s[24:25], s[18:19], s[16:17]
	s_delay_alu instid0(SALU_CYCLE_1) | instskip(NEXT) | instid1(SALU_CYCLE_1)
	s_lshl_b64 s[24:25], s[24:25], 2
	s_add_nc_u64 s[26:27], s[4:5], s[24:25]
	s_mov_b32 s24, 0
	s_wait_dscnt 0x0
	global_store_b32 v11, v0, s[26:27]
.LBB91_18:                              ;   in Loop: Header=BB91_3 Depth=1
	s_and_not1_b32 vcc_lo, exec_lo, s24
	s_cbranch_vccnz .LBB91_2
; %bb.19:                               ;   in Loop: Header=BB91_3 Depth=1
	s_lshl_b64 s[24:25], s[16:17], 2
	s_delay_alu instid0(SALU_CYCLE_1)
	s_add_nc_u64 s[24:25], s[6:7], s[24:25]
	s_wait_dscnt 0x0
	global_store_b32 v11, v0, s[24:25]
	s_branch .LBB91_2
.LBB91_20:
	s_endpgm
	.section	.rodata,"a",@progbits
	.p2align	6, 0x0
	.amdhsa_kernel _ZL23rocblas_dot_kernel_inc1ILb0ELi512ELi4ELb0EfPKPKffEviT4_llS4_lliPT5_PT3_
		.amdhsa_group_segment_fixed_size 128
		.amdhsa_private_segment_fixed_size 0
		.amdhsa_kernarg_size 336
		.amdhsa_user_sgpr_count 2
		.amdhsa_user_sgpr_dispatch_ptr 0
		.amdhsa_user_sgpr_queue_ptr 0
		.amdhsa_user_sgpr_kernarg_segment_ptr 1
		.amdhsa_user_sgpr_dispatch_id 0
		.amdhsa_user_sgpr_kernarg_preload_length 0
		.amdhsa_user_sgpr_kernarg_preload_offset 0
		.amdhsa_user_sgpr_private_segment_size 0
		.amdhsa_wavefront_size32 1
		.amdhsa_uses_dynamic_stack 0
		.amdhsa_enable_private_segment 0
		.amdhsa_system_sgpr_workgroup_id_x 1
		.amdhsa_system_sgpr_workgroup_id_y 0
		.amdhsa_system_sgpr_workgroup_id_z 1
		.amdhsa_system_sgpr_workgroup_info 0
		.amdhsa_system_vgpr_workitem_id 0
		.amdhsa_next_free_vgpr 18
		.amdhsa_next_free_sgpr 38
		.amdhsa_named_barrier_count 0
		.amdhsa_reserve_vcc 1
		.amdhsa_float_round_mode_32 0
		.amdhsa_float_round_mode_16_64 0
		.amdhsa_float_denorm_mode_32 3
		.amdhsa_float_denorm_mode_16_64 3
		.amdhsa_fp16_overflow 0
		.amdhsa_memory_ordered 1
		.amdhsa_forward_progress 1
		.amdhsa_inst_pref_size 8
		.amdhsa_round_robin_scheduling 0
		.amdhsa_exception_fp_ieee_invalid_op 0
		.amdhsa_exception_fp_denorm_src 0
		.amdhsa_exception_fp_ieee_div_zero 0
		.amdhsa_exception_fp_ieee_overflow 0
		.amdhsa_exception_fp_ieee_underflow 0
		.amdhsa_exception_fp_ieee_inexact 0
		.amdhsa_exception_int_div_zero 0
	.end_amdhsa_kernel
	.section	.text._ZL23rocblas_dot_kernel_inc1ILb0ELi512ELi4ELb0EfPKPKffEviT4_llS4_lliPT5_PT3_,"axG",@progbits,_ZL23rocblas_dot_kernel_inc1ILb0ELi512ELi4ELb0EfPKPKffEviT4_llS4_lliPT5_PT3_,comdat
.Lfunc_end91:
	.size	_ZL23rocblas_dot_kernel_inc1ILb0ELi512ELi4ELb0EfPKPKffEviT4_llS4_lliPT5_PT3_, .Lfunc_end91-_ZL23rocblas_dot_kernel_inc1ILb0ELi512ELi4ELb0EfPKPKffEviT4_llS4_lliPT5_PT3_
                                        ; -- End function
	.set _ZL23rocblas_dot_kernel_inc1ILb0ELi512ELi4ELb0EfPKPKffEviT4_llS4_lliPT5_PT3_.num_vgpr, 18
	.set _ZL23rocblas_dot_kernel_inc1ILb0ELi512ELi4ELb0EfPKPKffEviT4_llS4_lliPT5_PT3_.num_agpr, 0
	.set _ZL23rocblas_dot_kernel_inc1ILb0ELi512ELi4ELb0EfPKPKffEviT4_llS4_lliPT5_PT3_.numbered_sgpr, 38
	.set _ZL23rocblas_dot_kernel_inc1ILb0ELi512ELi4ELb0EfPKPKffEviT4_llS4_lliPT5_PT3_.num_named_barrier, 0
	.set _ZL23rocblas_dot_kernel_inc1ILb0ELi512ELi4ELb0EfPKPKffEviT4_llS4_lliPT5_PT3_.private_seg_size, 0
	.set _ZL23rocblas_dot_kernel_inc1ILb0ELi512ELi4ELb0EfPKPKffEviT4_llS4_lliPT5_PT3_.uses_vcc, 1
	.set _ZL23rocblas_dot_kernel_inc1ILb0ELi512ELi4ELb0EfPKPKffEviT4_llS4_lliPT5_PT3_.uses_flat_scratch, 0
	.set _ZL23rocblas_dot_kernel_inc1ILb0ELi512ELi4ELb0EfPKPKffEviT4_llS4_lliPT5_PT3_.has_dyn_sized_stack, 0
	.set _ZL23rocblas_dot_kernel_inc1ILb0ELi512ELi4ELb0EfPKPKffEviT4_llS4_lliPT5_PT3_.has_recursion, 0
	.set _ZL23rocblas_dot_kernel_inc1ILb0ELi512ELi4ELb0EfPKPKffEviT4_llS4_lliPT5_PT3_.has_indirect_call, 0
	.section	.AMDGPU.csdata,"",@progbits
; Kernel info:
; codeLenInByte = 972
; TotalNumSgprs: 40
; NumVgprs: 18
; ScratchSize: 0
; MemoryBound: 0
; FloatMode: 240
; IeeeMode: 1
; LDSByteSize: 128 bytes/workgroup (compile time only)
; SGPRBlocks: 0
; VGPRBlocks: 1
; NumSGPRsForWavesPerEU: 40
; NumVGPRsForWavesPerEU: 18
; NamedBarCnt: 0
; Occupancy: 16
; WaveLimiterHint : 1
; COMPUTE_PGM_RSRC2:SCRATCH_EN: 0
; COMPUTE_PGM_RSRC2:USER_SGPR: 2
; COMPUTE_PGM_RSRC2:TRAP_HANDLER: 0
; COMPUTE_PGM_RSRC2:TGID_X_EN: 1
; COMPUTE_PGM_RSRC2:TGID_Y_EN: 0
; COMPUTE_PGM_RSRC2:TGID_Z_EN: 1
; COMPUTE_PGM_RSRC2:TIDIG_COMP_CNT: 0
	.section	.text._ZL18rocblas_dot_kernelIiLb0ELi512ELi4ELb0EfPKPKffEviT5_lT_lS4_lS5_liPT6_PT4_,"axG",@progbits,_ZL18rocblas_dot_kernelIiLb0ELi512ELi4ELb0EfPKPKffEviT5_lT_lS4_lS5_liPT6_PT4_,comdat
	.globl	_ZL18rocblas_dot_kernelIiLb0ELi512ELi4ELb0EfPKPKffEviT5_lT_lS4_lS5_liPT6_PT4_ ; -- Begin function _ZL18rocblas_dot_kernelIiLb0ELi512ELi4ELb0EfPKPKffEviT5_lT_lS4_lS5_liPT6_PT4_
	.p2align	8
	.type	_ZL18rocblas_dot_kernelIiLb0ELi512ELi4ELb0EfPKPKffEviT5_lT_lS4_lS5_liPT6_PT4_,@function
_ZL18rocblas_dot_kernelIiLb0ELi512ELi4ELb0EfPKPKffEviT5_lT_lS4_lS5_liPT6_PT4_: ; @_ZL18rocblas_dot_kernelIiLb0ELi512ELi4ELb0EfPKPKffEviT5_lT_lS4_lS5_liPT6_PT4_
; %bb.0:
	s_load_b32 s30, s[0:1], 0x48
	s_bfe_u32 s2, ttmp6, 0x40014
	s_lshr_b32 s3, ttmp7, 16
	s_add_co_i32 s2, s2, 1
	s_bfe_u32 s5, ttmp6, 0x40008
	s_mul_i32 s4, s3, s2
	s_getreg_b32 s2, hwreg(HW_REG_IB_STS2, 6, 4)
	s_add_co_i32 s5, s5, s4
	s_cmp_eq_u32 s2, 0
	s_mov_b32 s17, 0
	s_cselect_b32 s16, s3, s5
	s_wait_kmcnt 0x0
	s_cmp_ge_u32 s16, s30
	s_cbranch_scc1 .LBB92_20
; %bb.1:
	v_mbcnt_lo_u32_b32 v2, -1, 0
	s_clause 0x6
	s_load_b32 s22, s[0:1], 0x18
	s_load_b32 s26, s[0:1], 0x38
	;; [unrolled: 1-line block ×3, first 2 shown]
	s_load_b128 s[4:7], s[0:1], 0x50
	s_load_b128 s[8:11], s[0:1], 0x28
	;; [unrolled: 1-line block ×3, first 2 shown]
	s_load_b32 s31, s[0:1], 0x0
	s_bfe_u32 s3, ttmp6, 0x4000c
	s_wait_xcnt 0x0
	s_and_b32 s1, ttmp6, 15
	s_add_co_i32 s3, s3, 1
	v_cmp_gt_u32_e32 vcc_lo, 24, v2
	s_mul_i32 s3, ttmp9, s3
	v_and_b32_e32 v1, 31, v0
	s_add_co_i32 s1, s1, s3
	s_mov_b32 s25, s17
	v_cndmask_b32_e64 v3, 0, 8, vcc_lo
	v_cmp_gt_u32_e32 vcc_lo, 28, v2
	v_cmp_gt_u32_e64 s0, 32, v0
	v_lshl_or_b32 v5, v2, 2, 64
	v_cmp_eq_u32_e64 s3, 0, v0
	s_wait_kmcnt 0x0
	s_ashr_i32 s23, s22, 31
	v_cndmask_b32_e64 v8, 0, 4, vcc_lo
	v_cmp_gt_u32_e32 vcc_lo, 30, v2
	s_ashr_i32 s27, s26, 31
	s_cmp_eq_u32 s2, 0
	v_add_lshl_u32 v7, v3, v2, 2
	s_cselect_b32 s24, ttmp9, s1
	v_cndmask_b32_e64 v9, 0, 2, vcc_lo
	v_cmp_ne_u32_e32 vcc_lo, 31, v2
	s_cmp_lg_u32 s18, 1
	v_lshrrev_b32_e32 v3, 3, v0
	s_cselect_b32 s33, -1, 0
	s_lshl_b32 s20, s18, 9
	v_add_co_ci_u32_e64 v10, null, 0, v2, vcc_lo
	v_lshl_or_b32 v6, s24, 9, v0
	s_lshl_b64 s[24:25], s[24:25], 2
	s_ashr_i32 s21, s20, 31
	s_delay_alu instid0(VALU_DEP_2)
	v_dual_lshlrev_b32 v4, 2, v1 :: v_dual_lshlrev_b32 v10, 2, v10
	v_add_lshl_u32 v8, v8, v2, 2
	v_add_lshl_u32 v9, v9, v2, 2
	v_cmp_eq_u32_e64 s1, 0, v1
	v_dual_mov_b32 v12, 0 :: v_dual_bitop2_b32 v11, 60, v3 bitop3:0x40
	v_cmp_gt_u32_e64 s2, 16, v0
	s_add_nc_u64 s[4:5], s[4:5], s[24:25]
	s_mul_u64 s[24:25], s[22:23], s[20:21]
	s_mul_u64 s[28:29], s[26:27], s[20:21]
	s_mov_b32 s19, s17
	s_lshl_b64 s[14:15], s[14:15], 2
	s_lshl_b64 s[22:23], s[22:23], 2
	;; [unrolled: 1-line block ×6, first 2 shown]
	s_branch .LBB92_3
.LBB92_2:                               ;   in Loop: Header=BB92_3 Depth=1
	s_wait_xcnt 0x0
	s_or_b32 exec_lo, exec_lo, s21
	s_add_co_i32 s16, s16, 0x10000
	s_delay_alu instid0(SALU_CYCLE_1)
	s_cmp_lt_u32 s16, s30
	s_cbranch_scc0 .LBB92_20
.LBB92_3:                               ; =>This Loop Header: Depth=1
                                        ;     Child Loop BB92_5 Depth 2
	v_mov_b32_e32 v13, 0
	s_mov_b32 s21, exec_lo
	v_cmpx_gt_i32_e64 s31, v6
	s_cbranch_execz .LBB92_7
; %bb.4:                                ;   in Loop: Header=BB92_3 Depth=1
	s_lshl_b64 s[34:35], s[16:17], 3
	v_ashrrev_i32_e32 v13, 31, v6
	s_add_nc_u64 s[36:37], s[12:13], s[34:35]
	s_add_nc_u64 s[34:35], s[8:9], s[34:35]
	s_load_b64 s[38:39], s[36:37], 0x0
	s_load_b64 s[40:41], s[34:35], 0x0
	s_wait_kmcnt 0x0
	s_wait_xcnt 0x0
	s_add_nc_u64 s[34:35], s[38:39], s[14:15]
	s_add_nc_u64 s[36:37], s[40:41], s[10:11]
	s_wait_dscnt 0x0
	v_mad_nc_u64_u32 v[0:1], s22, v6, s[34:35]
	v_mad_nc_u64_u32 v[2:3], s26, v6, s[36:37]
	s_mov_b32 s34, 0
	s_mov_b32 s35, 0
	s_delay_alu instid0(VALU_DEP_2) | instskip(NEXT) | instid1(VALU_DEP_2)
	v_mad_u32 v1, s23, v6, v1
	v_mad_u32 v3, s27, v6, v3
	s_delay_alu instid0(VALU_DEP_2) | instskip(NEXT) | instid1(VALU_DEP_2)
	v_mad_u32 v1, s22, v13, v1
	v_mad_u32 v3, s26, v13, v3
	v_mov_b32_e32 v13, 0
.LBB92_5:                               ;   Parent Loop BB92_3 Depth=1
                                        ; =>  This Inner Loop Header: Depth=2
	flat_load_b32 v14, v[2:3]
	flat_load_b32 v15, v[0:1]
	v_add_nc_u32_e32 v6, s20, v6
	s_add_co_i32 s36, s35, 1
	s_cmp_gt_u32 s35, 2
	s_wait_xcnt 0x0
	v_add_nc_u64_e32 v[0:1], s[24:25], v[0:1]
	s_cselect_b32 s35, -1, 0
	v_add_nc_u64_e32 v[2:3], s[28:29], v[2:3]
	s_wait_loadcnt_dscnt 0x0
	v_fmac_f32_e32 v13, v14, v15
	v_cmp_le_i32_e32 vcc_lo, s31, v6
	s_or_b32 s35, s35, vcc_lo
	s_delay_alu instid0(SALU_CYCLE_1) | instskip(NEXT) | instid1(SALU_CYCLE_1)
	s_and_b32 s35, exec_lo, s35
	s_or_b32 s34, s35, s34
	s_mov_b32 s35, s36
	s_and_not1_b32 exec_lo, exec_lo, s34
	s_cbranch_execnz .LBB92_5
; %bb.6:                                ;   in Loop: Header=BB92_3 Depth=1
	s_or_b32 exec_lo, exec_lo, s34
.LBB92_7:                               ;   in Loop: Header=BB92_3 Depth=1
	s_delay_alu instid0(SALU_CYCLE_1)
	s_or_b32 exec_lo, exec_lo, s21
	s_and_saveexec_b32 s21, s0
; %bb.8:                                ;   in Loop: Header=BB92_3 Depth=1
	ds_store_b32 v4, v12
; %bb.9:                                ;   in Loop: Header=BB92_3 Depth=1
	s_or_b32 exec_lo, exec_lo, s21
	s_wait_dscnt 0x0
	ds_bpermute_b32 v0, v5, v13
	s_wait_dscnt 0x0
	s_barrier_signal -1
	s_barrier_wait -1
	v_add_f32_e32 v0, v13, v0
	ds_bpermute_b32 v1, v7, v0
	s_wait_dscnt 0x0
	v_add_f32_e32 v0, v0, v1
	ds_bpermute_b32 v1, v8, v0
	s_wait_dscnt 0x0
	;; [unrolled: 3-line block ×3, first 2 shown]
	v_add_f32_e32 v0, v0, v1
	ds_bpermute_b32 v1, v10, v0
	s_and_saveexec_b32 s21, s1
	s_cbranch_execz .LBB92_11
; %bb.10:                               ;   in Loop: Header=BB92_3 Depth=1
	s_wait_dscnt 0x0
	v_add_f32_e32 v0, v0, v1
	ds_store_b32 v11, v0
.LBB92_11:                              ;   in Loop: Header=BB92_3 Depth=1
	s_or_b32 exec_lo, exec_lo, s21
	v_mov_b32_e32 v0, 0
	s_wait_dscnt 0x0
	s_barrier_signal -1
	s_barrier_wait -1
	s_and_saveexec_b32 s21, s2
	s_cbranch_execnz .LBB92_14
; %bb.12:                               ;   in Loop: Header=BB92_3 Depth=1
	s_or_b32 exec_lo, exec_lo, s21
	s_and_saveexec_b32 s21, s0
	s_cbranch_execnz .LBB92_15
.LBB92_13:                              ;   in Loop: Header=BB92_3 Depth=1
	s_or_b32 exec_lo, exec_lo, s21
	s_and_saveexec_b32 s21, s3
	s_cbranch_execz .LBB92_2
	s_branch .LBB92_16
.LBB92_14:                              ;   in Loop: Header=BB92_3 Depth=1
	ds_load_b32 v0, v4
	s_or_b32 exec_lo, exec_lo, s21
	s_and_saveexec_b32 s21, s0
	s_cbranch_execz .LBB92_13
.LBB92_15:                              ;   in Loop: Header=BB92_3 Depth=1
	s_wait_dscnt 0x0
	ds_bpermute_b32 v1, v7, v0
	s_wait_dscnt 0x0
	v_add_f32_e32 v0, v0, v1
	ds_bpermute_b32 v1, v8, v0
	s_wait_dscnt 0x0
	v_add_f32_e32 v0, v0, v1
	;; [unrolled: 3-line block ×4, first 2 shown]
	s_or_b32 exec_lo, exec_lo, s21
	s_and_saveexec_b32 s21, s3
	s_cbranch_execz .LBB92_2
.LBB92_16:                              ;   in Loop: Header=BB92_3 Depth=1
	s_and_b32 vcc_lo, exec_lo, s33
	s_mov_b32 s34, -1
	s_cbranch_vccz .LBB92_18
; %bb.17:                               ;   in Loop: Header=BB92_3 Depth=1
	s_mul_u64 s[34:35], s[18:19], s[16:17]
	s_delay_alu instid0(SALU_CYCLE_1) | instskip(NEXT) | instid1(SALU_CYCLE_1)
	s_lshl_b64 s[34:35], s[34:35], 2
	s_add_nc_u64 s[36:37], s[4:5], s[34:35]
	s_mov_b32 s34, 0
	s_wait_dscnt 0x0
	global_store_b32 v12, v0, s[36:37]
.LBB92_18:                              ;   in Loop: Header=BB92_3 Depth=1
	s_and_not1_b32 vcc_lo, exec_lo, s34
	s_cbranch_vccnz .LBB92_2
; %bb.19:                               ;   in Loop: Header=BB92_3 Depth=1
	s_lshl_b64 s[34:35], s[16:17], 2
	s_delay_alu instid0(SALU_CYCLE_1)
	s_add_nc_u64 s[34:35], s[6:7], s[34:35]
	s_wait_dscnt 0x0
	global_store_b32 v12, v0, s[34:35]
	s_branch .LBB92_2
.LBB92_20:
	s_endpgm
	.section	.rodata,"a",@progbits
	.p2align	6, 0x0
	.amdhsa_kernel _ZL18rocblas_dot_kernelIiLb0ELi512ELi4ELb0EfPKPKffEviT5_lT_lS4_lS5_liPT6_PT4_
		.amdhsa_group_segment_fixed_size 128
		.amdhsa_private_segment_fixed_size 0
		.amdhsa_kernarg_size 352
		.amdhsa_user_sgpr_count 2
		.amdhsa_user_sgpr_dispatch_ptr 0
		.amdhsa_user_sgpr_queue_ptr 0
		.amdhsa_user_sgpr_kernarg_segment_ptr 1
		.amdhsa_user_sgpr_dispatch_id 0
		.amdhsa_user_sgpr_kernarg_preload_length 0
		.amdhsa_user_sgpr_kernarg_preload_offset 0
		.amdhsa_user_sgpr_private_segment_size 0
		.amdhsa_wavefront_size32 1
		.amdhsa_uses_dynamic_stack 0
		.amdhsa_enable_private_segment 0
		.amdhsa_system_sgpr_workgroup_id_x 1
		.amdhsa_system_sgpr_workgroup_id_y 0
		.amdhsa_system_sgpr_workgroup_id_z 1
		.amdhsa_system_sgpr_workgroup_info 0
		.amdhsa_system_vgpr_workitem_id 0
		.amdhsa_next_free_vgpr 16
		.amdhsa_next_free_sgpr 42
		.amdhsa_named_barrier_count 0
		.amdhsa_reserve_vcc 1
		.amdhsa_float_round_mode_32 0
		.amdhsa_float_round_mode_16_64 0
		.amdhsa_float_denorm_mode_32 3
		.amdhsa_float_denorm_mode_16_64 3
		.amdhsa_fp16_overflow 0
		.amdhsa_memory_ordered 1
		.amdhsa_forward_progress 1
		.amdhsa_inst_pref_size 9
		.amdhsa_round_robin_scheduling 0
		.amdhsa_exception_fp_ieee_invalid_op 0
		.amdhsa_exception_fp_denorm_src 0
		.amdhsa_exception_fp_ieee_div_zero 0
		.amdhsa_exception_fp_ieee_overflow 0
		.amdhsa_exception_fp_ieee_underflow 0
		.amdhsa_exception_fp_ieee_inexact 0
		.amdhsa_exception_int_div_zero 0
	.end_amdhsa_kernel
	.section	.text._ZL18rocblas_dot_kernelIiLb0ELi512ELi4ELb0EfPKPKffEviT5_lT_lS4_lS5_liPT6_PT4_,"axG",@progbits,_ZL18rocblas_dot_kernelIiLb0ELi512ELi4ELb0EfPKPKffEviT5_lT_lS4_lS5_liPT6_PT4_,comdat
.Lfunc_end92:
	.size	_ZL18rocblas_dot_kernelIiLb0ELi512ELi4ELb0EfPKPKffEviT5_lT_lS4_lS5_liPT6_PT4_, .Lfunc_end92-_ZL18rocblas_dot_kernelIiLb0ELi512ELi4ELb0EfPKPKffEviT5_lT_lS4_lS5_liPT6_PT4_
                                        ; -- End function
	.set _ZL18rocblas_dot_kernelIiLb0ELi512ELi4ELb0EfPKPKffEviT5_lT_lS4_lS5_liPT6_PT4_.num_vgpr, 16
	.set _ZL18rocblas_dot_kernelIiLb0ELi512ELi4ELb0EfPKPKffEviT5_lT_lS4_lS5_liPT6_PT4_.num_agpr, 0
	.set _ZL18rocblas_dot_kernelIiLb0ELi512ELi4ELb0EfPKPKffEviT5_lT_lS4_lS5_liPT6_PT4_.numbered_sgpr, 42
	.set _ZL18rocblas_dot_kernelIiLb0ELi512ELi4ELb0EfPKPKffEviT5_lT_lS4_lS5_liPT6_PT4_.num_named_barrier, 0
	.set _ZL18rocblas_dot_kernelIiLb0ELi512ELi4ELb0EfPKPKffEviT5_lT_lS4_lS5_liPT6_PT4_.private_seg_size, 0
	.set _ZL18rocblas_dot_kernelIiLb0ELi512ELi4ELb0EfPKPKffEviT5_lT_lS4_lS5_liPT6_PT4_.uses_vcc, 1
	.set _ZL18rocblas_dot_kernelIiLb0ELi512ELi4ELb0EfPKPKffEviT5_lT_lS4_lS5_liPT6_PT4_.uses_flat_scratch, 0
	.set _ZL18rocblas_dot_kernelIiLb0ELi512ELi4ELb0EfPKPKffEviT5_lT_lS4_lS5_liPT6_PT4_.has_dyn_sized_stack, 0
	.set _ZL18rocblas_dot_kernelIiLb0ELi512ELi4ELb0EfPKPKffEviT5_lT_lS4_lS5_liPT6_PT4_.has_recursion, 0
	.set _ZL18rocblas_dot_kernelIiLb0ELi512ELi4ELb0EfPKPKffEviT5_lT_lS4_lS5_liPT6_PT4_.has_indirect_call, 0
	.section	.AMDGPU.csdata,"",@progbits
; Kernel info:
; codeLenInByte = 1052
; TotalNumSgprs: 44
; NumVgprs: 16
; ScratchSize: 0
; MemoryBound: 0
; FloatMode: 240
; IeeeMode: 1
; LDSByteSize: 128 bytes/workgroup (compile time only)
; SGPRBlocks: 0
; VGPRBlocks: 0
; NumSGPRsForWavesPerEU: 44
; NumVGPRsForWavesPerEU: 16
; NamedBarCnt: 0
; Occupancy: 16
; WaveLimiterHint : 0
; COMPUTE_PGM_RSRC2:SCRATCH_EN: 0
; COMPUTE_PGM_RSRC2:USER_SGPR: 2
; COMPUTE_PGM_RSRC2:TRAP_HANDLER: 0
; COMPUTE_PGM_RSRC2:TGID_X_EN: 1
; COMPUTE_PGM_RSRC2:TGID_Y_EN: 0
; COMPUTE_PGM_RSRC2:TGID_Z_EN: 1
; COMPUTE_PGM_RSRC2:TIDIG_COMP_CNT: 0
	.section	.text._ZL24rocblas_dot_kernel_magsqIiLb0ELi512ELi4ELb0EfPKPKffEviT5_lT_liPT6_PT4_,"axG",@progbits,_ZL24rocblas_dot_kernel_magsqIiLb0ELi512ELi4ELb0EfPKPKffEviT5_lT_liPT6_PT4_,comdat
	.globl	_ZL24rocblas_dot_kernel_magsqIiLb0ELi512ELi4ELb0EfPKPKffEviT5_lT_liPT6_PT4_ ; -- Begin function _ZL24rocblas_dot_kernel_magsqIiLb0ELi512ELi4ELb0EfPKPKffEviT5_lT_liPT6_PT4_
	.p2align	8
	.type	_ZL24rocblas_dot_kernel_magsqIiLb0ELi512ELi4ELb0EfPKPKffEviT5_lT_liPT6_PT4_,@function
_ZL24rocblas_dot_kernel_magsqIiLb0ELi512ELi4ELb0EfPKPKffEviT5_lT_liPT6_PT4_: ; @_ZL24rocblas_dot_kernel_magsqIiLb0ELi512ELi4ELb0EfPKPKffEviT5_lT_liPT6_PT4_
; %bb.0:
	s_load_b32 s22, s[0:1], 0x28
	s_bfe_u32 s2, ttmp6, 0x40014
	s_lshr_b32 s3, ttmp7, 16
	s_add_co_i32 s2, s2, 1
	s_bfe_u32 s5, ttmp6, 0x40008
	s_mul_i32 s4, s3, s2
	s_getreg_b32 s2, hwreg(HW_REG_IB_STS2, 6, 4)
	s_add_co_i32 s5, s5, s4
	s_cmp_eq_u32 s2, 0
	s_mov_b32 s13, 0
	s_cselect_b32 s12, s3, s5
	s_wait_kmcnt 0x0
	s_cmp_ge_u32 s12, s22
	s_cbranch_scc1 .LBB93_20
; %bb.1:
	v_mbcnt_lo_u32_b32 v7, -1, 0
	s_clause 0x4
	s_load_b32 s18, s[0:1], 0x18
	s_load_b32 s14, s[0:1], 0x40
	s_load_b128 s[4:7], s[0:1], 0x30
	s_load_b128 s[8:11], s[0:1], 0x8
	s_load_b32 s23, s[0:1], 0x0
	s_wait_xcnt 0x0
	s_bfe_u32 s0, ttmp6, 0x4000c
	s_and_b32 s1, ttmp6, 15
	s_add_co_i32 s3, s0, 1
	v_cmp_gt_u32_e32 vcc_lo, 24, v7
	s_mul_i32 s3, ttmp9, s3
	v_dual_lshrrev_b32 v10, 3, v0 :: v_dual_bitop2_b32 v1, 31, v0 bitop3:0x40
	s_add_co_i32 s1, s1, s3
	v_cndmask_b32_e64 v5, 0, 8, vcc_lo
	v_cmp_gt_u32_e32 vcc_lo, 28, v7
	s_mov_b32 s21, s13
	v_cmp_gt_u32_e64 s0, 32, v0
	v_lshlrev_b32_e32 v2, 2, v1
	v_lshl_or_b32 v3, v7, 2, 64
	v_cndmask_b32_e64 v6, 0, 4, vcc_lo
	v_cmp_gt_u32_e32 vcc_lo, 30, v7
	s_wait_kmcnt 0x0
	s_ashr_i32 s19, s18, 31
	s_cmp_eq_u32 s2, 0
	v_add_lshl_u32 v5, v5, v7, 2
	s_cselect_b32 s20, ttmp9, s1
	v_cndmask_b32_e64 v8, 0, 2, vcc_lo
	v_cmp_ne_u32_e32 vcc_lo, 31, v7
	s_cmp_lg_u32 s14, 1
	v_lshl_or_b32 v4, s20, 9, v0
	s_cselect_b32 s24, -1, 0
	s_lshl_b32 s16, s14, 9
	v_add_co_ci_u32_e64 v9, null, 0, v7, vcc_lo
	s_lshl_b64 s[20:21], s[20:21], 2
	s_ashr_i32 s17, s16, 31
	v_add_lshl_u32 v6, v6, v7, 2
	v_add_lshl_u32 v7, v8, v7, 2
	v_lshlrev_b32_e32 v8, 2, v9
	v_cmp_eq_u32_e64 s1, 0, v1
	v_and_b32_e32 v9, 60, v10
	v_cmp_gt_u32_e64 s2, 16, v0
	v_cmp_eq_u32_e64 s3, 0, v0
	v_mov_b32_e32 v10, 0
	s_add_nc_u64 s[4:5], s[4:5], s[20:21]
	s_mul_u64 s[20:21], s[18:19], s[16:17]
	s_mov_b32 s15, s13
	s_lshl_b64 s[10:11], s[10:11], 2
	s_lshl_b64 s[18:19], s[18:19], 2
	;; [unrolled: 1-line block ×3, first 2 shown]
	s_branch .LBB93_3
.LBB93_2:                               ;   in Loop: Header=BB93_3 Depth=1
	s_wait_xcnt 0x0
	s_or_b32 exec_lo, exec_lo, s17
	s_add_co_i32 s12, s12, 0x10000
	s_delay_alu instid0(SALU_CYCLE_1)
	s_cmp_lt_u32 s12, s22
	s_cbranch_scc0 .LBB93_20
.LBB93_3:                               ; =>This Loop Header: Depth=1
                                        ;     Child Loop BB93_5 Depth 2
	v_mov_b32_e32 v11, 0
	s_mov_b32 s17, exec_lo
	v_cmpx_gt_i32_e64 s23, v4
	s_cbranch_execz .LBB93_7
; %bb.4:                                ;   in Loop: Header=BB93_3 Depth=1
	s_lshl_b64 s[26:27], s[12:13], 3
	v_ashrrev_i32_e32 v11, 31, v4
	s_add_nc_u64 s[26:27], s[8:9], s[26:27]
	s_mov_b32 s25, 0
	s_load_b64 s[26:27], s[26:27], 0x0
	s_wait_kmcnt 0x0
	s_wait_xcnt 0x0
	s_add_nc_u64 s[26:27], s[26:27], s[10:11]
	s_wait_dscnt 0x0
	v_mad_nc_u64_u32 v[0:1], s18, v4, s[26:27]
	s_mov_b32 s26, 0
	s_delay_alu instid0(VALU_DEP_1) | instskip(NEXT) | instid1(VALU_DEP_1)
	v_mad_u32 v1, s19, v4, v1
	v_mad_u32 v1, s18, v11, v1
	v_mov_b32_e32 v11, 0
.LBB93_5:                               ;   Parent Loop BB93_3 Depth=1
                                        ; =>  This Inner Loop Header: Depth=2
	flat_load_b32 v12, v[0:1]
	v_add_nc_u32_e32 v4, s16, v4
	s_add_co_i32 s27, s26, 1
	s_cmp_gt_u32 s26, 2
	s_wait_xcnt 0x0
	v_add_nc_u64_e32 v[0:1], s[20:21], v[0:1]
	s_cselect_b32 s26, -1, 0
	v_cmp_le_i32_e32 vcc_lo, s23, v4
	s_or_b32 s26, s26, vcc_lo
	s_delay_alu instid0(SALU_CYCLE_1) | instskip(NEXT) | instid1(SALU_CYCLE_1)
	s_and_b32 s26, exec_lo, s26
	s_or_b32 s25, s26, s25
	s_mov_b32 s26, s27
	s_wait_loadcnt_dscnt 0x0
	v_fmac_f32_e32 v11, v12, v12
	s_and_not1_b32 exec_lo, exec_lo, s25
	s_cbranch_execnz .LBB93_5
; %bb.6:                                ;   in Loop: Header=BB93_3 Depth=1
	s_or_b32 exec_lo, exec_lo, s25
.LBB93_7:                               ;   in Loop: Header=BB93_3 Depth=1
	s_delay_alu instid0(SALU_CYCLE_1)
	s_or_b32 exec_lo, exec_lo, s17
	s_and_saveexec_b32 s17, s0
; %bb.8:                                ;   in Loop: Header=BB93_3 Depth=1
	ds_store_b32 v2, v10
; %bb.9:                                ;   in Loop: Header=BB93_3 Depth=1
	s_or_b32 exec_lo, exec_lo, s17
	s_wait_dscnt 0x0
	ds_bpermute_b32 v0, v3, v11
	s_wait_dscnt 0x0
	s_barrier_signal -1
	s_barrier_wait -1
	v_add_f32_e32 v0, v11, v0
	ds_bpermute_b32 v1, v5, v0
	s_wait_dscnt 0x0
	v_add_f32_e32 v0, v0, v1
	ds_bpermute_b32 v1, v6, v0
	s_wait_dscnt 0x0
	;; [unrolled: 3-line block ×3, first 2 shown]
	v_add_f32_e32 v0, v0, v1
	ds_bpermute_b32 v1, v8, v0
	s_and_saveexec_b32 s17, s1
	s_cbranch_execz .LBB93_11
; %bb.10:                               ;   in Loop: Header=BB93_3 Depth=1
	s_wait_dscnt 0x0
	v_add_f32_e32 v0, v0, v1
	ds_store_b32 v9, v0
.LBB93_11:                              ;   in Loop: Header=BB93_3 Depth=1
	s_or_b32 exec_lo, exec_lo, s17
	v_mov_b32_e32 v0, 0
	s_wait_dscnt 0x0
	s_barrier_signal -1
	s_barrier_wait -1
	s_and_saveexec_b32 s17, s2
	s_cbranch_execnz .LBB93_14
; %bb.12:                               ;   in Loop: Header=BB93_3 Depth=1
	s_or_b32 exec_lo, exec_lo, s17
	s_and_saveexec_b32 s17, s0
	s_cbranch_execnz .LBB93_15
.LBB93_13:                              ;   in Loop: Header=BB93_3 Depth=1
	s_or_b32 exec_lo, exec_lo, s17
	s_and_saveexec_b32 s17, s3
	s_cbranch_execz .LBB93_2
	s_branch .LBB93_16
.LBB93_14:                              ;   in Loop: Header=BB93_3 Depth=1
	ds_load_b32 v0, v2
	s_or_b32 exec_lo, exec_lo, s17
	s_and_saveexec_b32 s17, s0
	s_cbranch_execz .LBB93_13
.LBB93_15:                              ;   in Loop: Header=BB93_3 Depth=1
	s_wait_dscnt 0x0
	ds_bpermute_b32 v1, v5, v0
	s_wait_dscnt 0x0
	v_add_f32_e32 v0, v0, v1
	ds_bpermute_b32 v1, v6, v0
	s_wait_dscnt 0x0
	v_add_f32_e32 v0, v0, v1
	;; [unrolled: 3-line block ×4, first 2 shown]
	s_or_b32 exec_lo, exec_lo, s17
	s_and_saveexec_b32 s17, s3
	s_cbranch_execz .LBB93_2
.LBB93_16:                              ;   in Loop: Header=BB93_3 Depth=1
	s_and_b32 vcc_lo, exec_lo, s24
	s_mov_b32 s25, -1
	s_cbranch_vccz .LBB93_18
; %bb.17:                               ;   in Loop: Header=BB93_3 Depth=1
	s_mul_u64 s[26:27], s[14:15], s[12:13]
	s_mov_b32 s25, 0
	s_lshl_b64 s[26:27], s[26:27], 2
	s_delay_alu instid0(SALU_CYCLE_1)
	s_add_nc_u64 s[26:27], s[4:5], s[26:27]
	s_wait_dscnt 0x0
	global_store_b32 v10, v0, s[26:27]
.LBB93_18:                              ;   in Loop: Header=BB93_3 Depth=1
	s_and_not1_b32 vcc_lo, exec_lo, s25
	s_cbranch_vccnz .LBB93_2
; %bb.19:                               ;   in Loop: Header=BB93_3 Depth=1
	s_wait_xcnt 0x0
	s_lshl_b64 s[26:27], s[12:13], 2
	s_delay_alu instid0(SALU_CYCLE_1)
	s_add_nc_u64 s[26:27], s[6:7], s[26:27]
	s_wait_dscnt 0x0
	global_store_b32 v10, v0, s[26:27]
	s_branch .LBB93_2
.LBB93_20:
	s_endpgm
	.section	.rodata,"a",@progbits
	.p2align	6, 0x0
	.amdhsa_kernel _ZL24rocblas_dot_kernel_magsqIiLb0ELi512ELi4ELb0EfPKPKffEviT5_lT_liPT6_PT4_
		.amdhsa_group_segment_fixed_size 128
		.amdhsa_private_segment_fixed_size 0
		.amdhsa_kernarg_size 320
		.amdhsa_user_sgpr_count 2
		.amdhsa_user_sgpr_dispatch_ptr 0
		.amdhsa_user_sgpr_queue_ptr 0
		.amdhsa_user_sgpr_kernarg_segment_ptr 1
		.amdhsa_user_sgpr_dispatch_id 0
		.amdhsa_user_sgpr_kernarg_preload_length 0
		.amdhsa_user_sgpr_kernarg_preload_offset 0
		.amdhsa_user_sgpr_private_segment_size 0
		.amdhsa_wavefront_size32 1
		.amdhsa_uses_dynamic_stack 0
		.amdhsa_enable_private_segment 0
		.amdhsa_system_sgpr_workgroup_id_x 1
		.amdhsa_system_sgpr_workgroup_id_y 0
		.amdhsa_system_sgpr_workgroup_id_z 1
		.amdhsa_system_sgpr_workgroup_info 0
		.amdhsa_system_vgpr_workitem_id 0
		.amdhsa_next_free_vgpr 13
		.amdhsa_next_free_sgpr 28
		.amdhsa_named_barrier_count 0
		.amdhsa_reserve_vcc 1
		.amdhsa_float_round_mode_32 0
		.amdhsa_float_round_mode_16_64 0
		.amdhsa_float_denorm_mode_32 3
		.amdhsa_float_denorm_mode_16_64 3
		.amdhsa_fp16_overflow 0
		.amdhsa_memory_ordered 1
		.amdhsa_forward_progress 1
		.amdhsa_inst_pref_size 8
		.amdhsa_round_robin_scheduling 0
		.amdhsa_exception_fp_ieee_invalid_op 0
		.amdhsa_exception_fp_denorm_src 0
		.amdhsa_exception_fp_ieee_div_zero 0
		.amdhsa_exception_fp_ieee_overflow 0
		.amdhsa_exception_fp_ieee_underflow 0
		.amdhsa_exception_fp_ieee_inexact 0
		.amdhsa_exception_int_div_zero 0
	.end_amdhsa_kernel
	.section	.text._ZL24rocblas_dot_kernel_magsqIiLb0ELi512ELi4ELb0EfPKPKffEviT5_lT_liPT6_PT4_,"axG",@progbits,_ZL24rocblas_dot_kernel_magsqIiLb0ELi512ELi4ELb0EfPKPKffEviT5_lT_liPT6_PT4_,comdat
.Lfunc_end93:
	.size	_ZL24rocblas_dot_kernel_magsqIiLb0ELi512ELi4ELb0EfPKPKffEviT5_lT_liPT6_PT4_, .Lfunc_end93-_ZL24rocblas_dot_kernel_magsqIiLb0ELi512ELi4ELb0EfPKPKffEviT5_lT_liPT6_PT4_
                                        ; -- End function
	.set _ZL24rocblas_dot_kernel_magsqIiLb0ELi512ELi4ELb0EfPKPKffEviT5_lT_liPT6_PT4_.num_vgpr, 13
	.set _ZL24rocblas_dot_kernel_magsqIiLb0ELi512ELi4ELb0EfPKPKffEviT5_lT_liPT6_PT4_.num_agpr, 0
	.set _ZL24rocblas_dot_kernel_magsqIiLb0ELi512ELi4ELb0EfPKPKffEviT5_lT_liPT6_PT4_.numbered_sgpr, 28
	.set _ZL24rocblas_dot_kernel_magsqIiLb0ELi512ELi4ELb0EfPKPKffEviT5_lT_liPT6_PT4_.num_named_barrier, 0
	.set _ZL24rocblas_dot_kernel_magsqIiLb0ELi512ELi4ELb0EfPKPKffEviT5_lT_liPT6_PT4_.private_seg_size, 0
	.set _ZL24rocblas_dot_kernel_magsqIiLb0ELi512ELi4ELb0EfPKPKffEviT5_lT_liPT6_PT4_.uses_vcc, 1
	.set _ZL24rocblas_dot_kernel_magsqIiLb0ELi512ELi4ELb0EfPKPKffEviT5_lT_liPT6_PT4_.uses_flat_scratch, 0
	.set _ZL24rocblas_dot_kernel_magsqIiLb0ELi512ELi4ELb0EfPKPKffEviT5_lT_liPT6_PT4_.has_dyn_sized_stack, 0
	.set _ZL24rocblas_dot_kernel_magsqIiLb0ELi512ELi4ELb0EfPKPKffEviT5_lT_liPT6_PT4_.has_recursion, 0
	.set _ZL24rocblas_dot_kernel_magsqIiLb0ELi512ELi4ELb0EfPKPKffEviT5_lT_liPT6_PT4_.has_indirect_call, 0
	.section	.AMDGPU.csdata,"",@progbits
; Kernel info:
; codeLenInByte = 952
; TotalNumSgprs: 30
; NumVgprs: 13
; ScratchSize: 0
; MemoryBound: 0
; FloatMode: 240
; IeeeMode: 1
; LDSByteSize: 128 bytes/workgroup (compile time only)
; SGPRBlocks: 0
; VGPRBlocks: 0
; NumSGPRsForWavesPerEU: 30
; NumVGPRsForWavesPerEU: 13
; NamedBarCnt: 0
; Occupancy: 16
; WaveLimiterHint : 0
; COMPUTE_PGM_RSRC2:SCRATCH_EN: 0
; COMPUTE_PGM_RSRC2:USER_SGPR: 2
; COMPUTE_PGM_RSRC2:TRAP_HANDLER: 0
; COMPUTE_PGM_RSRC2:TGID_X_EN: 1
; COMPUTE_PGM_RSRC2:TGID_Y_EN: 0
; COMPUTE_PGM_RSRC2:TGID_Z_EN: 1
; COMPUTE_PGM_RSRC2:TIDIG_COMP_CNT: 0
	.section	.text._ZL28rocblas_dot_batched_4_kernelIiLi32ELi4ELb0EddPKPKdEviT5_lT_lS4_lS5_liPT4_,"axG",@progbits,_ZL28rocblas_dot_batched_4_kernelIiLi32ELi4ELb0EddPKPKdEviT5_lT_lS4_lS5_liPT4_,comdat
	.globl	_ZL28rocblas_dot_batched_4_kernelIiLi32ELi4ELb0EddPKPKdEviT5_lT_lS4_lS5_liPT4_ ; -- Begin function _ZL28rocblas_dot_batched_4_kernelIiLi32ELi4ELb0EddPKPKdEviT5_lT_lS4_lS5_liPT4_
	.p2align	8
	.type	_ZL28rocblas_dot_batched_4_kernelIiLi32ELi4ELb0EddPKPKdEviT5_lT_lS4_lS5_liPT4_,@function
_ZL28rocblas_dot_batched_4_kernelIiLi32ELi4ELb0EddPKPKdEviT5_lT_lS4_lS5_liPT4_: ; @_ZL28rocblas_dot_batched_4_kernelIiLi32ELi4ELb0EddPKPKdEviT5_lT_lS4_lS5_liPT4_
; %bb.0:
	s_load_b32 s2, s[0:1], 0x48
	s_bfe_u32 s3, ttmp6, 0x4000c
	s_and_b32 s4, ttmp6, 15
	s_add_co_i32 s3, s3, 1
	v_bfe_u32 v1, v0, 10, 10
	s_mul_i32 s3, ttmp9, s3
	s_delay_alu instid0(SALU_CYCLE_1) | instskip(SKIP_1) | instid1(SALU_CYCLE_1)
	s_add_co_i32 s4, s4, s3
	s_getreg_b32 s3, hwreg(HW_REG_IB_STS2, 6, 4)
	s_cmp_eq_u32 s3, 0
	s_cselect_b32 s3, ttmp9, s4
	s_delay_alu instid0(SALU_CYCLE_1) | instskip(SKIP_1) | instid1(VALU_DEP_1)
	v_lshl_add_u32 v2, s3, 2, v1
	s_wait_kmcnt 0x0
	v_cmp_gt_u32_e32 vcc_lo, s2, v2
	s_and_saveexec_b32 s2, vcc_lo
	s_cbranch_execz .LBB94_7
; %bb.1:
	s_load_b32 s6, s[0:1], 0x0
	v_mov_b64_e32 v[4:5], 0
	v_and_b32_e32 v0, 0x3ff, v0
	v_mov_b32_e32 v3, 0
	s_mov_b32 s7, exec_lo
	s_wait_kmcnt 0x0
	s_delay_alu instid0(VALU_DEP_2)
	v_cmpx_gt_i32_e64 s6, v0
	s_cbranch_execz .LBB94_5
; %bb.2:
	s_clause 0x1
	s_load_b128 s[8:11], s[0:1], 0x8
	s_load_b128 s[12:15], s[0:1], 0x28
	v_lshlrev_b64_e32 v[4:5], 3, v[2:3]
	s_clause 0x1
	s_load_b32 s2, s[0:1], 0x18
	s_load_b32 s4, s[0:1], 0x38
	v_mov_b32_e32 v1, v3
	s_wait_kmcnt 0x0
	s_delay_alu instid0(VALU_DEP_2)
	v_add_nc_u64_e32 v[6:7], s[8:9], v[4:5]
	v_add_nc_u64_e32 v[4:5], s[12:13], v[4:5]
	s_ashr_i32 s3, s2, 31
	s_ashr_i32 s5, s4, 31
	s_lshl_b64 s[8:9], s[10:11], 3
	s_lshl_b64 s[10:11], s[14:15], 3
	global_load_b64 v[8:9], v[6:7], off
	global_load_b64 v[10:11], v[4:5], off
	s_wait_xcnt 0x0
	v_mul_u64_e32 v[4:5], s[2:3], v[0:1]
	v_mul_u64_e32 v[6:7], s[4:5], v[0:1]
	v_mov_b32_e32 v1, v0
	s_lshl_b64 s[2:3], s[2:3], 8
	s_lshl_b64 s[4:5], s[4:5], 8
	s_delay_alu instid0(VALU_DEP_3) | instskip(NEXT) | instid1(VALU_DEP_3)
	v_lshl_add_u64 v[4:5], v[4:5], 3, s[8:9]
	v_lshl_add_u64 v[12:13], v[6:7], 3, s[10:11]
	s_mov_b32 s8, 0
	s_wait_loadcnt 0x1
	s_delay_alu instid0(VALU_DEP_2)
	v_add_nc_u64_e32 v[6:7], v[8:9], v[4:5]
	s_wait_loadcnt 0x0
	v_add_nc_u64_e32 v[8:9], v[10:11], v[12:13]
	v_mov_b64_e32 v[4:5], 0
.LBB94_3:                               ; =>This Inner Loop Header: Depth=1
	flat_load_b64 v[10:11], v[6:7]
	flat_load_b64 v[12:13], v[8:9]
	v_add_nc_u32_e32 v1, 32, v1
	s_wait_xcnt 0x1
	v_add_nc_u64_e32 v[6:7], s[2:3], v[6:7]
	s_wait_xcnt 0x0
	v_add_nc_u64_e32 v[8:9], s[4:5], v[8:9]
	v_cmp_le_i32_e32 vcc_lo, s6, v1
	s_or_b32 s8, vcc_lo, s8
	s_wait_loadcnt_dscnt 0x0
	v_fmac_f64_e32 v[4:5], v[10:11], v[12:13]
	s_and_not1_b32 exec_lo, exec_lo, s8
	s_cbranch_execnz .LBB94_3
; %bb.4:
	s_or_b32 exec_lo, exec_lo, s8
.LBB94_5:
	s_delay_alu instid0(SALU_CYCLE_1) | instskip(SKIP_4) | instid1(VALU_DEP_1)
	s_or_b32 exec_lo, exec_lo, s7
	v_mbcnt_lo_u32_b32 v1, -1, 0
	s_load_b64 s[0:1], s[0:1], 0x50
	s_barrier_signal -1
	s_barrier_wait -1
	v_lshl_or_b32 v7, v1, 2, 64
	v_cmp_gt_u32_e32 vcc_lo, 24, v1
	ds_bpermute_b32 v6, v7, v4
	ds_bpermute_b32 v7, v7, v5
	s_wait_dscnt 0x0
	v_add_f64_e32 v[4:5], v[4:5], v[6:7]
	v_cndmask_b32_e64 v6, 0, 8, vcc_lo
	v_cmp_gt_u32_e32 vcc_lo, 28, v1
	s_delay_alu instid0(VALU_DEP_2)
	v_add_lshl_u32 v7, v6, v1, 2
	ds_bpermute_b32 v6, v7, v4
	ds_bpermute_b32 v7, v7, v5
	s_wait_dscnt 0x0
	v_add_f64_e32 v[4:5], v[4:5], v[6:7]
	v_cndmask_b32_e64 v6, 0, 4, vcc_lo
	v_cmp_gt_u32_e32 vcc_lo, 30, v1
	s_delay_alu instid0(VALU_DEP_2)
	v_add_lshl_u32 v7, v6, v1, 2
	ds_bpermute_b32 v6, v7, v4
	ds_bpermute_b32 v7, v7, v5
	s_wait_dscnt 0x0
	v_add_f64_e32 v[4:5], v[4:5], v[6:7]
	v_cndmask_b32_e64 v6, 0, 2, vcc_lo
	v_cmp_ne_u32_e32 vcc_lo, 31, v1
	s_delay_alu instid0(VALU_DEP_2) | instskip(SKIP_2) | instid1(VALU_DEP_2)
	v_add_lshl_u32 v7, v6, v1, 2
	v_add_co_ci_u32_e64 v1, null, 0, v1, vcc_lo
	v_cmp_eq_u32_e32 vcc_lo, 0, v0
	v_lshlrev_b32_e32 v1, 2, v1
	ds_bpermute_b32 v6, v7, v4
	ds_bpermute_b32 v7, v7, v5
	s_wait_dscnt 0x0
	v_add_f64_e32 v[4:5], v[4:5], v[6:7]
	ds_bpermute_b32 v6, v1, v4
	ds_bpermute_b32 v7, v1, v5
	s_and_b32 exec_lo, exec_lo, vcc_lo
	s_cbranch_execz .LBB94_7
; %bb.6:
	s_wait_dscnt 0x0
	v_add_f64_e32 v[0:1], v[4:5], v[6:7]
	s_wait_kmcnt 0x0
	v_lshl_add_u64 v[2:3], v[2:3], 3, s[0:1]
	global_store_b64 v[2:3], v[0:1], off
.LBB94_7:
	s_endpgm
	.section	.rodata,"a",@progbits
	.p2align	6, 0x0
	.amdhsa_kernel _ZL28rocblas_dot_batched_4_kernelIiLi32ELi4ELb0EddPKPKdEviT5_lT_lS4_lS5_liPT4_
		.amdhsa_group_segment_fixed_size 0
		.amdhsa_private_segment_fixed_size 0
		.amdhsa_kernarg_size 88
		.amdhsa_user_sgpr_count 2
		.amdhsa_user_sgpr_dispatch_ptr 0
		.amdhsa_user_sgpr_queue_ptr 0
		.amdhsa_user_sgpr_kernarg_segment_ptr 1
		.amdhsa_user_sgpr_dispatch_id 0
		.amdhsa_user_sgpr_kernarg_preload_length 0
		.amdhsa_user_sgpr_kernarg_preload_offset 0
		.amdhsa_user_sgpr_private_segment_size 0
		.amdhsa_wavefront_size32 1
		.amdhsa_uses_dynamic_stack 0
		.amdhsa_enable_private_segment 0
		.amdhsa_system_sgpr_workgroup_id_x 1
		.amdhsa_system_sgpr_workgroup_id_y 0
		.amdhsa_system_sgpr_workgroup_id_z 0
		.amdhsa_system_sgpr_workgroup_info 0
		.amdhsa_system_vgpr_workitem_id 1
		.amdhsa_next_free_vgpr 14
		.amdhsa_next_free_sgpr 16
		.amdhsa_named_barrier_count 0
		.amdhsa_reserve_vcc 1
		.amdhsa_float_round_mode_32 0
		.amdhsa_float_round_mode_16_64 0
		.amdhsa_float_denorm_mode_32 3
		.amdhsa_float_denorm_mode_16_64 3
		.amdhsa_fp16_overflow 0
		.amdhsa_memory_ordered 1
		.amdhsa_forward_progress 1
		.amdhsa_inst_pref_size 6
		.amdhsa_round_robin_scheduling 0
		.amdhsa_exception_fp_ieee_invalid_op 0
		.amdhsa_exception_fp_denorm_src 0
		.amdhsa_exception_fp_ieee_div_zero 0
		.amdhsa_exception_fp_ieee_overflow 0
		.amdhsa_exception_fp_ieee_underflow 0
		.amdhsa_exception_fp_ieee_inexact 0
		.amdhsa_exception_int_div_zero 0
	.end_amdhsa_kernel
	.section	.text._ZL28rocblas_dot_batched_4_kernelIiLi32ELi4ELb0EddPKPKdEviT5_lT_lS4_lS5_liPT4_,"axG",@progbits,_ZL28rocblas_dot_batched_4_kernelIiLi32ELi4ELb0EddPKPKdEviT5_lT_lS4_lS5_liPT4_,comdat
.Lfunc_end94:
	.size	_ZL28rocblas_dot_batched_4_kernelIiLi32ELi4ELb0EddPKPKdEviT5_lT_lS4_lS5_liPT4_, .Lfunc_end94-_ZL28rocblas_dot_batched_4_kernelIiLi32ELi4ELb0EddPKPKdEviT5_lT_lS4_lS5_liPT4_
                                        ; -- End function
	.set _ZL28rocblas_dot_batched_4_kernelIiLi32ELi4ELb0EddPKPKdEviT5_lT_lS4_lS5_liPT4_.num_vgpr, 14
	.set _ZL28rocblas_dot_batched_4_kernelIiLi32ELi4ELb0EddPKPKdEviT5_lT_lS4_lS5_liPT4_.num_agpr, 0
	.set _ZL28rocblas_dot_batched_4_kernelIiLi32ELi4ELb0EddPKPKdEviT5_lT_lS4_lS5_liPT4_.numbered_sgpr, 16
	.set _ZL28rocblas_dot_batched_4_kernelIiLi32ELi4ELb0EddPKPKdEviT5_lT_lS4_lS5_liPT4_.num_named_barrier, 0
	.set _ZL28rocblas_dot_batched_4_kernelIiLi32ELi4ELb0EddPKPKdEviT5_lT_lS4_lS5_liPT4_.private_seg_size, 0
	.set _ZL28rocblas_dot_batched_4_kernelIiLi32ELi4ELb0EddPKPKdEviT5_lT_lS4_lS5_liPT4_.uses_vcc, 1
	.set _ZL28rocblas_dot_batched_4_kernelIiLi32ELi4ELb0EddPKPKdEviT5_lT_lS4_lS5_liPT4_.uses_flat_scratch, 0
	.set _ZL28rocblas_dot_batched_4_kernelIiLi32ELi4ELb0EddPKPKdEviT5_lT_lS4_lS5_liPT4_.has_dyn_sized_stack, 0
	.set _ZL28rocblas_dot_batched_4_kernelIiLi32ELi4ELb0EddPKPKdEviT5_lT_lS4_lS5_liPT4_.has_recursion, 0
	.set _ZL28rocblas_dot_batched_4_kernelIiLi32ELi4ELb0EddPKPKdEviT5_lT_lS4_lS5_liPT4_.has_indirect_call, 0
	.section	.AMDGPU.csdata,"",@progbits
; Kernel info:
; codeLenInByte = 668
; TotalNumSgprs: 18
; NumVgprs: 14
; ScratchSize: 0
; MemoryBound: 0
; FloatMode: 240
; IeeeMode: 1
; LDSByteSize: 0 bytes/workgroup (compile time only)
; SGPRBlocks: 0
; VGPRBlocks: 0
; NumSGPRsForWavesPerEU: 18
; NumVGPRsForWavesPerEU: 14
; NamedBarCnt: 0
; Occupancy: 16
; WaveLimiterHint : 0
; COMPUTE_PGM_RSRC2:SCRATCH_EN: 0
; COMPUTE_PGM_RSRC2:USER_SGPR: 2
; COMPUTE_PGM_RSRC2:TRAP_HANDLER: 0
; COMPUTE_PGM_RSRC2:TGID_X_EN: 1
; COMPUTE_PGM_RSRC2:TGID_Y_EN: 0
; COMPUTE_PGM_RSRC2:TGID_Z_EN: 0
; COMPUTE_PGM_RSRC2:TIDIG_COMP_CNT: 1
	.section	.text._ZL28rocblas_dot_batched_4_kernelIiLi64ELi4ELb0EddPKPKdEviT5_lT_lS4_lS5_liPT4_,"axG",@progbits,_ZL28rocblas_dot_batched_4_kernelIiLi64ELi4ELb0EddPKPKdEviT5_lT_lS4_lS5_liPT4_,comdat
	.globl	_ZL28rocblas_dot_batched_4_kernelIiLi64ELi4ELb0EddPKPKdEviT5_lT_lS4_lS5_liPT4_ ; -- Begin function _ZL28rocblas_dot_batched_4_kernelIiLi64ELi4ELb0EddPKPKdEviT5_lT_lS4_lS5_liPT4_
	.p2align	8
	.type	_ZL28rocblas_dot_batched_4_kernelIiLi64ELi4ELb0EddPKPKdEviT5_lT_lS4_lS5_liPT4_,@function
_ZL28rocblas_dot_batched_4_kernelIiLi64ELi4ELb0EddPKPKdEviT5_lT_lS4_lS5_liPT4_: ; @_ZL28rocblas_dot_batched_4_kernelIiLi64ELi4ELb0EddPKPKdEviT5_lT_lS4_lS5_liPT4_
; %bb.0:
	s_load_b32 s2, s[0:1], 0x48
	s_bfe_u32 s3, ttmp6, 0x4000c
	s_and_b32 s4, ttmp6, 15
	s_add_co_i32 s3, s3, 1
	v_bfe_u32 v1, v0, 10, 10
	s_mul_i32 s3, ttmp9, s3
	s_delay_alu instid0(SALU_CYCLE_1) | instskip(SKIP_1) | instid1(SALU_CYCLE_1)
	s_add_co_i32 s4, s4, s3
	s_getreg_b32 s3, hwreg(HW_REG_IB_STS2, 6, 4)
	s_cmp_eq_u32 s3, 0
	s_cselect_b32 s3, ttmp9, s4
	s_delay_alu instid0(SALU_CYCLE_1) | instskip(SKIP_1) | instid1(VALU_DEP_1)
	v_lshl_add_u32 v2, s3, 2, v1
	s_wait_kmcnt 0x0
	v_cmp_gt_u32_e32 vcc_lo, s2, v2
	s_and_saveexec_b32 s2, vcc_lo
	s_cbranch_execz .LBB95_7
; %bb.1:
	s_load_b32 s6, s[0:1], 0x0
	v_mov_b64_e32 v[4:5], 0
	v_and_b32_e32 v0, 0x3ff, v0
	v_mov_b32_e32 v3, 0
	s_mov_b32 s7, exec_lo
	s_wait_kmcnt 0x0
	s_delay_alu instid0(VALU_DEP_2)
	v_cmpx_gt_i32_e64 s6, v0
	s_cbranch_execz .LBB95_5
; %bb.2:
	s_clause 0x1
	s_load_b128 s[8:11], s[0:1], 0x8
	s_load_b128 s[12:15], s[0:1], 0x28
	v_lshlrev_b64_e32 v[4:5], 3, v[2:3]
	s_clause 0x1
	s_load_b32 s2, s[0:1], 0x18
	s_load_b32 s4, s[0:1], 0x38
	v_mov_b32_e32 v1, v3
	s_wait_kmcnt 0x0
	s_delay_alu instid0(VALU_DEP_2)
	v_add_nc_u64_e32 v[6:7], s[8:9], v[4:5]
	v_add_nc_u64_e32 v[4:5], s[12:13], v[4:5]
	s_ashr_i32 s3, s2, 31
	s_ashr_i32 s5, s4, 31
	s_lshl_b64 s[8:9], s[10:11], 3
	s_lshl_b64 s[10:11], s[14:15], 3
	global_load_b64 v[8:9], v[6:7], off
	global_load_b64 v[10:11], v[4:5], off
	s_wait_xcnt 0x0
	v_mul_u64_e32 v[4:5], s[2:3], v[0:1]
	v_mul_u64_e32 v[6:7], s[4:5], v[0:1]
	v_mov_b32_e32 v1, v0
	s_lshl_b64 s[2:3], s[2:3], 9
	s_lshl_b64 s[4:5], s[4:5], 9
	s_delay_alu instid0(VALU_DEP_3) | instskip(NEXT) | instid1(VALU_DEP_3)
	v_lshl_add_u64 v[4:5], v[4:5], 3, s[8:9]
	v_lshl_add_u64 v[12:13], v[6:7], 3, s[10:11]
	s_mov_b32 s8, 0
	s_wait_loadcnt 0x1
	s_delay_alu instid0(VALU_DEP_2)
	v_add_nc_u64_e32 v[6:7], v[8:9], v[4:5]
	s_wait_loadcnt 0x0
	v_add_nc_u64_e32 v[8:9], v[10:11], v[12:13]
	v_mov_b64_e32 v[4:5], 0
.LBB95_3:                               ; =>This Inner Loop Header: Depth=1
	flat_load_b64 v[10:11], v[6:7]
	flat_load_b64 v[12:13], v[8:9]
	v_add_nc_u32_e32 v1, 64, v1
	s_wait_xcnt 0x1
	v_add_nc_u64_e32 v[6:7], s[2:3], v[6:7]
	s_wait_xcnt 0x0
	v_add_nc_u64_e32 v[8:9], s[4:5], v[8:9]
	v_cmp_le_i32_e32 vcc_lo, s6, v1
	s_or_b32 s8, vcc_lo, s8
	s_wait_loadcnt_dscnt 0x0
	v_fmac_f64_e32 v[4:5], v[10:11], v[12:13]
	s_and_not1_b32 exec_lo, exec_lo, s8
	s_cbranch_execnz .LBB95_3
; %bb.4:
	s_or_b32 exec_lo, exec_lo, s8
.LBB95_5:
	s_delay_alu instid0(SALU_CYCLE_1) | instskip(SKIP_4) | instid1(VALU_DEP_1)
	s_or_b32 exec_lo, exec_lo, s7
	v_mbcnt_lo_u32_b32 v1, -1, 0
	s_load_b64 s[0:1], s[0:1], 0x50
	s_barrier_signal -1
	s_barrier_wait -1
	v_lshlrev_b32_e32 v8, 2, v1
	v_cmp_gt_u32_e32 vcc_lo, 24, v1
	ds_bpermute_b32 v6, v8, v4
	ds_bpermute_b32 v7, v8, v5
	s_wait_dscnt 0x0
	v_dual_add_f64 v[4:5], v[4:5], v[6:7] :: v_dual_bitop2_b32 v7, 64, v8 bitop3:0x54
	ds_bpermute_b32 v6, v7, v4
	ds_bpermute_b32 v7, v7, v5
	s_wait_dscnt 0x0
	v_add_f64_e32 v[4:5], v[4:5], v[6:7]
	v_cndmask_b32_e64 v6, 0, 8, vcc_lo
	v_cmp_gt_u32_e32 vcc_lo, 28, v1
	s_delay_alu instid0(VALU_DEP_2)
	v_add_lshl_u32 v7, v6, v1, 2
	ds_bpermute_b32 v6, v7, v4
	ds_bpermute_b32 v7, v7, v5
	s_wait_dscnt 0x0
	v_add_f64_e32 v[4:5], v[4:5], v[6:7]
	v_cndmask_b32_e64 v6, 0, 4, vcc_lo
	v_cmp_gt_u32_e32 vcc_lo, 30, v1
	s_delay_alu instid0(VALU_DEP_2)
	v_add_lshl_u32 v7, v6, v1, 2
	ds_bpermute_b32 v6, v7, v4
	ds_bpermute_b32 v7, v7, v5
	s_wait_dscnt 0x0
	v_add_f64_e32 v[4:5], v[4:5], v[6:7]
	v_cndmask_b32_e64 v6, 0, 2, vcc_lo
	v_cmp_ne_u32_e32 vcc_lo, 31, v1
	s_delay_alu instid0(VALU_DEP_2) | instskip(SKIP_2) | instid1(VALU_DEP_2)
	v_add_lshl_u32 v7, v6, v1, 2
	v_add_co_ci_u32_e64 v1, null, 0, v1, vcc_lo
	v_cmp_eq_u32_e32 vcc_lo, 0, v0
	v_lshlrev_b32_e32 v1, 2, v1
	ds_bpermute_b32 v6, v7, v4
	ds_bpermute_b32 v7, v7, v5
	s_wait_dscnt 0x0
	v_add_f64_e32 v[4:5], v[4:5], v[6:7]
	ds_bpermute_b32 v6, v1, v4
	ds_bpermute_b32 v7, v1, v5
	s_and_b32 exec_lo, exec_lo, vcc_lo
	s_cbranch_execz .LBB95_7
; %bb.6:
	s_wait_dscnt 0x0
	v_add_f64_e32 v[0:1], v[4:5], v[6:7]
	s_wait_kmcnt 0x0
	v_lshl_add_u64 v[2:3], v[2:3], 3, s[0:1]
	global_store_b64 v[2:3], v[0:1], off
.LBB95_7:
	s_endpgm
	.section	.rodata,"a",@progbits
	.p2align	6, 0x0
	.amdhsa_kernel _ZL28rocblas_dot_batched_4_kernelIiLi64ELi4ELb0EddPKPKdEviT5_lT_lS4_lS5_liPT4_
		.amdhsa_group_segment_fixed_size 0
		.amdhsa_private_segment_fixed_size 0
		.amdhsa_kernarg_size 88
		.amdhsa_user_sgpr_count 2
		.amdhsa_user_sgpr_dispatch_ptr 0
		.amdhsa_user_sgpr_queue_ptr 0
		.amdhsa_user_sgpr_kernarg_segment_ptr 1
		.amdhsa_user_sgpr_dispatch_id 0
		.amdhsa_user_sgpr_kernarg_preload_length 0
		.amdhsa_user_sgpr_kernarg_preload_offset 0
		.amdhsa_user_sgpr_private_segment_size 0
		.amdhsa_wavefront_size32 1
		.amdhsa_uses_dynamic_stack 0
		.amdhsa_enable_private_segment 0
		.amdhsa_system_sgpr_workgroup_id_x 1
		.amdhsa_system_sgpr_workgroup_id_y 0
		.amdhsa_system_sgpr_workgroup_id_z 0
		.amdhsa_system_sgpr_workgroup_info 0
		.amdhsa_system_vgpr_workitem_id 1
		.amdhsa_next_free_vgpr 14
		.amdhsa_next_free_sgpr 16
		.amdhsa_named_barrier_count 0
		.amdhsa_reserve_vcc 1
		.amdhsa_float_round_mode_32 0
		.amdhsa_float_round_mode_16_64 0
		.amdhsa_float_denorm_mode_32 3
		.amdhsa_float_denorm_mode_16_64 3
		.amdhsa_fp16_overflow 0
		.amdhsa_memory_ordered 1
		.amdhsa_forward_progress 1
		.amdhsa_inst_pref_size 6
		.amdhsa_round_robin_scheduling 0
		.amdhsa_exception_fp_ieee_invalid_op 0
		.amdhsa_exception_fp_denorm_src 0
		.amdhsa_exception_fp_ieee_div_zero 0
		.amdhsa_exception_fp_ieee_overflow 0
		.amdhsa_exception_fp_ieee_underflow 0
		.amdhsa_exception_fp_ieee_inexact 0
		.amdhsa_exception_int_div_zero 0
	.end_amdhsa_kernel
	.section	.text._ZL28rocblas_dot_batched_4_kernelIiLi64ELi4ELb0EddPKPKdEviT5_lT_lS4_lS5_liPT4_,"axG",@progbits,_ZL28rocblas_dot_batched_4_kernelIiLi64ELi4ELb0EddPKPKdEviT5_lT_lS4_lS5_liPT4_,comdat
.Lfunc_end95:
	.size	_ZL28rocblas_dot_batched_4_kernelIiLi64ELi4ELb0EddPKPKdEviT5_lT_lS4_lS5_liPT4_, .Lfunc_end95-_ZL28rocblas_dot_batched_4_kernelIiLi64ELi4ELb0EddPKPKdEviT5_lT_lS4_lS5_liPT4_
                                        ; -- End function
	.set _ZL28rocblas_dot_batched_4_kernelIiLi64ELi4ELb0EddPKPKdEviT5_lT_lS4_lS5_liPT4_.num_vgpr, 14
	.set _ZL28rocblas_dot_batched_4_kernelIiLi64ELi4ELb0EddPKPKdEviT5_lT_lS4_lS5_liPT4_.num_agpr, 0
	.set _ZL28rocblas_dot_batched_4_kernelIiLi64ELi4ELb0EddPKPKdEviT5_lT_lS4_lS5_liPT4_.numbered_sgpr, 16
	.set _ZL28rocblas_dot_batched_4_kernelIiLi64ELi4ELb0EddPKPKdEviT5_lT_lS4_lS5_liPT4_.num_named_barrier, 0
	.set _ZL28rocblas_dot_batched_4_kernelIiLi64ELi4ELb0EddPKPKdEviT5_lT_lS4_lS5_liPT4_.private_seg_size, 0
	.set _ZL28rocblas_dot_batched_4_kernelIiLi64ELi4ELb0EddPKPKdEviT5_lT_lS4_lS5_liPT4_.uses_vcc, 1
	.set _ZL28rocblas_dot_batched_4_kernelIiLi64ELi4ELb0EddPKPKdEviT5_lT_lS4_lS5_liPT4_.uses_flat_scratch, 0
	.set _ZL28rocblas_dot_batched_4_kernelIiLi64ELi4ELb0EddPKPKdEviT5_lT_lS4_lS5_liPT4_.has_dyn_sized_stack, 0
	.set _ZL28rocblas_dot_batched_4_kernelIiLi64ELi4ELb0EddPKPKdEviT5_lT_lS4_lS5_liPT4_.has_recursion, 0
	.set _ZL28rocblas_dot_batched_4_kernelIiLi64ELi4ELb0EddPKPKdEviT5_lT_lS4_lS5_liPT4_.has_indirect_call, 0
	.section	.AMDGPU.csdata,"",@progbits
; Kernel info:
; codeLenInByte = 696
; TotalNumSgprs: 18
; NumVgprs: 14
; ScratchSize: 0
; MemoryBound: 0
; FloatMode: 240
; IeeeMode: 1
; LDSByteSize: 0 bytes/workgroup (compile time only)
; SGPRBlocks: 0
; VGPRBlocks: 0
; NumSGPRsForWavesPerEU: 18
; NumVGPRsForWavesPerEU: 14
; NamedBarCnt: 0
; Occupancy: 16
; WaveLimiterHint : 0
; COMPUTE_PGM_RSRC2:SCRATCH_EN: 0
; COMPUTE_PGM_RSRC2:USER_SGPR: 2
; COMPUTE_PGM_RSRC2:TRAP_HANDLER: 0
; COMPUTE_PGM_RSRC2:TGID_X_EN: 1
; COMPUTE_PGM_RSRC2:TGID_Y_EN: 0
; COMPUTE_PGM_RSRC2:TGID_Z_EN: 0
; COMPUTE_PGM_RSRC2:TIDIG_COMP_CNT: 1
	.section	.text._ZL26rocblas_dot_kernel_inc1by2ILb1ELi1024ELi32ELb0EdPKPKddEviT4_llS4_lliPT5_PT3_,"axG",@progbits,_ZL26rocblas_dot_kernel_inc1by2ILb1ELi1024ELi32ELb0EdPKPKddEviT4_llS4_lliPT5_PT3_,comdat
	.globl	_ZL26rocblas_dot_kernel_inc1by2ILb1ELi1024ELi32ELb0EdPKPKddEviT4_llS4_lliPT5_PT3_ ; -- Begin function _ZL26rocblas_dot_kernel_inc1by2ILb1ELi1024ELi32ELb0EdPKPKddEviT4_llS4_lliPT5_PT3_
	.p2align	8
	.type	_ZL26rocblas_dot_kernel_inc1by2ILb1ELi1024ELi32ELb0EdPKPKddEviT4_llS4_lliPT5_PT3_,@function
_ZL26rocblas_dot_kernel_inc1by2ILb1ELi1024ELi32ELb0EdPKPKddEviT4_llS4_lliPT5_PT3_: ; @_ZL26rocblas_dot_kernel_inc1by2ILb1ELi1024ELi32ELb0EdPKPKddEviT4_llS4_lliPT5_PT3_
; %bb.0:
	s_load_b32 s3, s[0:1], 0x38
	s_bfe_u32 s2, ttmp6, 0x40014
	s_lshr_b32 s4, ttmp7, 16
	s_add_co_i32 s2, s2, 1
	s_bfe_u32 s5, ttmp6, 0x40008
	s_mul_i32 s2, s4, s2
	s_getreg_b32 s6, hwreg(HW_REG_IB_STS2, 6, 4)
	s_add_co_i32 s5, s5, s2
	s_cmp_eq_u32 s6, 0
	s_mov_b32 s13, 0
	s_cselect_b32 s12, s4, s5
	s_wait_kmcnt 0x0
	s_cmp_ge_u32 s12, s3
	s_cbranch_scc1 .LBB96_17
; %bb.1:
	v_mbcnt_lo_u32_b32 v2, -1, 0
	s_clause 0x3
	s_load_b64 s[14:15], s[0:1], 0x48
	s_load_b128 s[4:7], s[0:1], 0x20
	s_load_b128 s[8:11], s[0:1], 0x8
	s_load_b32 s16, s[0:1], 0x0
	v_and_b32_e32 v1, 31, v0
	s_wait_xcnt 0x0
	v_cmp_eq_u32_e64 s1, 0, v0
	v_cmp_gt_u32_e64 s0, 24, v2
	v_lshl_or_b32 v11, v2, 2, 64
	v_mov_b32_e32 v17, 0
	v_cmp_gt_u32_e32 vcc_lo, 32, v0
	s_delay_alu instid0(VALU_DEP_4) | instskip(SKIP_1) | instid1(VALU_DEP_2)
	v_cndmask_b32_e64 v3, 0, 8, s0
	v_cmp_gt_u32_e64 s0, 28, v2
	v_add_lshl_u32 v12, v3, v2, 2
	s_delay_alu instid0(VALU_DEP_2)
	v_cndmask_b32_e64 v4, 0, 4, s0
	v_cmp_gt_u32_e64 s0, 30, v2
	v_lshrrev_b32_e32 v3, 2, v0
	s_wait_kmcnt 0x0
	s_lshl_b64 s[10:11], s[10:11], 3
	v_cndmask_b32_e64 v5, 0, 2, s0
	v_cmp_ne_u32_e64 s0, 31, v2
	v_add_lshl_u32 v13, v4, v2, 2
	v_and_b32_e32 v16, 0xf8, v3
	s_lshl_b64 s[6:7], s[6:7], 3
	v_add_lshl_u32 v14, v5, v2, 2
	v_add_co_ci_u32_e64 v6, null, 0, v2, s0
	v_mov_b64_e32 v[2:3], 0
	v_lshlrev_b32_e32 v10, 3, v1
	v_cmp_eq_u32_e64 s0, 0, v1
	s_delay_alu instid0(VALU_DEP_4)
	v_lshlrev_b32_e32 v15, 2, v6
	s_branch .LBB96_3
.LBB96_2:                               ;   in Loop: Header=BB96_3 Depth=1
	s_wait_xcnt 0x0
	s_or_b32 exec_lo, exec_lo, s2
	s_add_co_i32 s12, s12, 0x10000
	s_delay_alu instid0(SALU_CYCLE_1)
	s_cmp_lt_u32 s12, s3
	s_cbranch_scc0 .LBB96_17
.LBB96_3:                               ; =>This Loop Header: Depth=1
                                        ;     Child Loop BB96_5 Depth 2
	s_wait_dscnt 0x0
	v_mov_b64_e32 v[4:5], 0
	s_mov_b32 s17, exec_lo
	v_cmpx_gt_i32_e64 s16, v0
	s_cbranch_execz .LBB96_7
; %bb.4:                                ;   in Loop: Header=BB96_3 Depth=1
	s_lshl_b64 s[18:19], s[12:13], 3
	v_ashrrev_i32_e32 v1, 31, v0
	s_add_nc_u64 s[20:21], s[8:9], s[18:19]
	s_add_nc_u64 s[18:19], s[4:5], s[18:19]
	s_load_b64 s[22:23], s[20:21], 0x0
	s_load_b64 s[24:25], s[18:19], 0x0
	v_lshlrev_b64_e32 v[4:5], 3, v[0:1]
	s_wait_kmcnt 0x0
	s_wait_xcnt 0x0
	s_add_nc_u64 s[18:19], s[22:23], s[10:11]
	s_add_nc_u64 s[20:21], s[24:25], s[6:7]
	s_delay_alu instid0(VALU_DEP_1)
	v_add_nc_u64_e32 v[6:7], s[18:19], v[4:5]
	v_add_nc_u64_e32 v[8:9], s[20:21], v[4:5]
	v_mov_b64_e32 v[4:5], 0
	s_mov_b32 s18, 0
	s_mov_b32 s19, 0
.LBB96_5:                               ;   Parent Loop BB96_3 Depth=1
                                        ; =>  This Inner Loop Header: Depth=2
	flat_load_b64 v[18:19], v[8:9]
	flat_load_b64 v[20:21], v[6:7]
	v_add_nc_u32_e32 v0, 0x400, v0
	s_add_co_i32 s20, s19, 1
	s_cmp_gt_u32 s19, 30
	s_wait_xcnt 0x0
	v_add_nc_u64_e32 v[6:7], 0x2000, v[6:7]
	s_cselect_b32 s19, -1, 0
	v_cmp_le_i32_e64 s2, s16, v0
	v_add_nc_u64_e32 v[8:9], 0x2000, v[8:9]
	s_or_b32 s2, s19, s2
	s_mov_b32 s19, s20
	s_and_b32 s2, exec_lo, s2
	s_delay_alu instid0(SALU_CYCLE_1)
	s_or_b32 s18, s2, s18
	s_wait_loadcnt_dscnt 0x0
	v_fmac_f64_e32 v[4:5], v[18:19], v[20:21]
	s_and_not1_b32 exec_lo, exec_lo, s18
	s_cbranch_execnz .LBB96_5
; %bb.6:                                ;   in Loop: Header=BB96_3 Depth=1
	s_or_b32 exec_lo, exec_lo, s18
.LBB96_7:                               ;   in Loop: Header=BB96_3 Depth=1
	s_delay_alu instid0(SALU_CYCLE_1)
	s_or_b32 exec_lo, exec_lo, s17
	s_and_saveexec_b32 s2, vcc_lo
; %bb.8:                                ;   in Loop: Header=BB96_3 Depth=1
	ds_store_b64 v10, v[2:3]
; %bb.9:                                ;   in Loop: Header=BB96_3 Depth=1
	s_or_b32 exec_lo, exec_lo, s2
	ds_bpermute_b32 v6, v11, v4
	ds_bpermute_b32 v7, v11, v5
	s_wait_dscnt 0x0
	s_barrier_signal -1
	s_barrier_wait -1
	v_add_f64_e32 v[4:5], v[4:5], v[6:7]
	ds_bpermute_b32 v6, v12, v4
	ds_bpermute_b32 v7, v12, v5
	s_wait_dscnt 0x0
	v_add_f64_e32 v[4:5], v[4:5], v[6:7]
	ds_bpermute_b32 v6, v13, v4
	ds_bpermute_b32 v7, v13, v5
	s_wait_dscnt 0x0
	;; [unrolled: 4-line block ×3, first 2 shown]
	v_add_f64_e32 v[4:5], v[4:5], v[6:7]
	ds_bpermute_b32 v6, v15, v4
	ds_bpermute_b32 v7, v15, v5
	s_and_saveexec_b32 s2, s0
	s_cbranch_execz .LBB96_11
; %bb.10:                               ;   in Loop: Header=BB96_3 Depth=1
	s_wait_dscnt 0x0
	v_add_f64_e32 v[4:5], v[4:5], v[6:7]
	ds_store_b64 v16, v[4:5]
.LBB96_11:                              ;   in Loop: Header=BB96_3 Depth=1
	s_or_b32 exec_lo, exec_lo, s2
	v_mov_b64_e32 v[4:5], 0
	s_wait_dscnt 0x0
	s_barrier_signal -1
	s_barrier_wait -1
	s_and_saveexec_b32 s2, vcc_lo
	s_cbranch_execnz .LBB96_14
; %bb.12:                               ;   in Loop: Header=BB96_3 Depth=1
	s_or_b32 exec_lo, exec_lo, s2
	s_and_saveexec_b32 s2, vcc_lo
	s_cbranch_execnz .LBB96_15
.LBB96_13:                              ;   in Loop: Header=BB96_3 Depth=1
	s_or_b32 exec_lo, exec_lo, s2
	s_and_saveexec_b32 s2, s1
	s_cbranch_execz .LBB96_2
	s_branch .LBB96_16
.LBB96_14:                              ;   in Loop: Header=BB96_3 Depth=1
	ds_load_b64 v[4:5], v10
	s_or_b32 exec_lo, exec_lo, s2
	s_and_saveexec_b32 s2, vcc_lo
	s_cbranch_execz .LBB96_13
.LBB96_15:                              ;   in Loop: Header=BB96_3 Depth=1
	s_wait_dscnt 0x0
	ds_bpermute_b32 v6, v11, v4
	ds_bpermute_b32 v7, v11, v5
	s_wait_dscnt 0x0
	v_add_f64_e32 v[4:5], v[4:5], v[6:7]
	ds_bpermute_b32 v6, v12, v4
	ds_bpermute_b32 v7, v12, v5
	s_wait_dscnt 0x0
	v_add_f64_e32 v[4:5], v[4:5], v[6:7]
	;; [unrolled: 4-line block ×5, first 2 shown]
	s_or_b32 exec_lo, exec_lo, s2
	s_and_saveexec_b32 s2, s1
	s_cbranch_execz .LBB96_2
.LBB96_16:                              ;   in Loop: Header=BB96_3 Depth=1
	s_lshl_b64 s[18:19], s[12:13], 3
	s_delay_alu instid0(SALU_CYCLE_1)
	s_add_nc_u64 s[18:19], s[14:15], s[18:19]
	s_wait_dscnt 0x0
	global_store_b64 v17, v[4:5], s[18:19]
	s_branch .LBB96_2
.LBB96_17:
	s_endpgm
	.section	.rodata,"a",@progbits
	.p2align	6, 0x0
	.amdhsa_kernel _ZL26rocblas_dot_kernel_inc1by2ILb1ELi1024ELi32ELb0EdPKPKddEviT4_llS4_lliPT5_PT3_
		.amdhsa_group_segment_fixed_size 256
		.amdhsa_private_segment_fixed_size 0
		.amdhsa_kernarg_size 80
		.amdhsa_user_sgpr_count 2
		.amdhsa_user_sgpr_dispatch_ptr 0
		.amdhsa_user_sgpr_queue_ptr 0
		.amdhsa_user_sgpr_kernarg_segment_ptr 1
		.amdhsa_user_sgpr_dispatch_id 0
		.amdhsa_user_sgpr_kernarg_preload_length 0
		.amdhsa_user_sgpr_kernarg_preload_offset 0
		.amdhsa_user_sgpr_private_segment_size 0
		.amdhsa_wavefront_size32 1
		.amdhsa_uses_dynamic_stack 0
		.amdhsa_enable_private_segment 0
		.amdhsa_system_sgpr_workgroup_id_x 1
		.amdhsa_system_sgpr_workgroup_id_y 0
		.amdhsa_system_sgpr_workgroup_id_z 1
		.amdhsa_system_sgpr_workgroup_info 0
		.amdhsa_system_vgpr_workitem_id 0
		.amdhsa_next_free_vgpr 22
		.amdhsa_next_free_sgpr 26
		.amdhsa_named_barrier_count 0
		.amdhsa_reserve_vcc 1
		.amdhsa_float_round_mode_32 0
		.amdhsa_float_round_mode_16_64 0
		.amdhsa_float_denorm_mode_32 3
		.amdhsa_float_denorm_mode_16_64 3
		.amdhsa_fp16_overflow 0
		.amdhsa_memory_ordered 1
		.amdhsa_forward_progress 1
		.amdhsa_inst_pref_size 8
		.amdhsa_round_robin_scheduling 0
		.amdhsa_exception_fp_ieee_invalid_op 0
		.amdhsa_exception_fp_denorm_src 0
		.amdhsa_exception_fp_ieee_div_zero 0
		.amdhsa_exception_fp_ieee_overflow 0
		.amdhsa_exception_fp_ieee_underflow 0
		.amdhsa_exception_fp_ieee_inexact 0
		.amdhsa_exception_int_div_zero 0
	.end_amdhsa_kernel
	.section	.text._ZL26rocblas_dot_kernel_inc1by2ILb1ELi1024ELi32ELb0EdPKPKddEviT4_llS4_lliPT5_PT3_,"axG",@progbits,_ZL26rocblas_dot_kernel_inc1by2ILb1ELi1024ELi32ELb0EdPKPKddEviT4_llS4_lliPT5_PT3_,comdat
.Lfunc_end96:
	.size	_ZL26rocblas_dot_kernel_inc1by2ILb1ELi1024ELi32ELb0EdPKPKddEviT4_llS4_lliPT5_PT3_, .Lfunc_end96-_ZL26rocblas_dot_kernel_inc1by2ILb1ELi1024ELi32ELb0EdPKPKddEviT4_llS4_lliPT5_PT3_
                                        ; -- End function
	.set _ZL26rocblas_dot_kernel_inc1by2ILb1ELi1024ELi32ELb0EdPKPKddEviT4_llS4_lliPT5_PT3_.num_vgpr, 22
	.set _ZL26rocblas_dot_kernel_inc1by2ILb1ELi1024ELi32ELb0EdPKPKddEviT4_llS4_lliPT5_PT3_.num_agpr, 0
	.set _ZL26rocblas_dot_kernel_inc1by2ILb1ELi1024ELi32ELb0EdPKPKddEviT4_llS4_lliPT5_PT3_.numbered_sgpr, 26
	.set _ZL26rocblas_dot_kernel_inc1by2ILb1ELi1024ELi32ELb0EdPKPKddEviT4_llS4_lliPT5_PT3_.num_named_barrier, 0
	.set _ZL26rocblas_dot_kernel_inc1by2ILb1ELi1024ELi32ELb0EdPKPKddEviT4_llS4_lliPT5_PT3_.private_seg_size, 0
	.set _ZL26rocblas_dot_kernel_inc1by2ILb1ELi1024ELi32ELb0EdPKPKddEviT4_llS4_lliPT5_PT3_.uses_vcc, 1
	.set _ZL26rocblas_dot_kernel_inc1by2ILb1ELi1024ELi32ELb0EdPKPKddEviT4_llS4_lliPT5_PT3_.uses_flat_scratch, 0
	.set _ZL26rocblas_dot_kernel_inc1by2ILb1ELi1024ELi32ELb0EdPKPKddEviT4_llS4_lliPT5_PT3_.has_dyn_sized_stack, 0
	.set _ZL26rocblas_dot_kernel_inc1by2ILb1ELi1024ELi32ELb0EdPKPKddEviT4_llS4_lliPT5_PT3_.has_recursion, 0
	.set _ZL26rocblas_dot_kernel_inc1by2ILb1ELi1024ELi32ELb0EdPKPKddEviT4_llS4_lliPT5_PT3_.has_indirect_call, 0
	.section	.AMDGPU.csdata,"",@progbits
; Kernel info:
; codeLenInByte = 948
; TotalNumSgprs: 28
; NumVgprs: 22
; ScratchSize: 0
; MemoryBound: 0
; FloatMode: 240
; IeeeMode: 1
; LDSByteSize: 256 bytes/workgroup (compile time only)
; SGPRBlocks: 0
; VGPRBlocks: 1
; NumSGPRsForWavesPerEU: 28
; NumVGPRsForWavesPerEU: 22
; NamedBarCnt: 0
; Occupancy: 16
; WaveLimiterHint : 0
; COMPUTE_PGM_RSRC2:SCRATCH_EN: 0
; COMPUTE_PGM_RSRC2:USER_SGPR: 2
; COMPUTE_PGM_RSRC2:TRAP_HANDLER: 0
; COMPUTE_PGM_RSRC2:TGID_X_EN: 1
; COMPUTE_PGM_RSRC2:TGID_Y_EN: 0
; COMPUTE_PGM_RSRC2:TGID_Z_EN: 1
; COMPUTE_PGM_RSRC2:TIDIG_COMP_CNT: 0
	.section	.text._ZL18rocblas_dot_kernelIiLb1ELi1024ELi32ELb0EdPKPKddEviT5_lT_lS4_lS5_liPT6_PT4_,"axG",@progbits,_ZL18rocblas_dot_kernelIiLb1ELi1024ELi32ELb0EdPKPKddEviT5_lT_lS4_lS5_liPT6_PT4_,comdat
	.globl	_ZL18rocblas_dot_kernelIiLb1ELi1024ELi32ELb0EdPKPKddEviT5_lT_lS4_lS5_liPT6_PT4_ ; -- Begin function _ZL18rocblas_dot_kernelIiLb1ELi1024ELi32ELb0EdPKPKddEviT5_lT_lS4_lS5_liPT6_PT4_
	.p2align	8
	.type	_ZL18rocblas_dot_kernelIiLb1ELi1024ELi32ELb0EdPKPKddEviT5_lT_lS4_lS5_liPT6_PT4_,@function
_ZL18rocblas_dot_kernelIiLb1ELi1024ELi32ELb0EdPKPKddEviT5_lT_lS4_lS5_liPT6_PT4_: ; @_ZL18rocblas_dot_kernelIiLb1ELi1024ELi32ELb0EdPKPKddEviT5_lT_lS4_lS5_liPT6_PT4_
; %bb.0:
	s_load_b32 s3, s[0:1], 0x48
	s_bfe_u32 s2, ttmp6, 0x40014
	s_lshr_b32 s4, ttmp7, 16
	s_add_co_i32 s2, s2, 1
	s_bfe_u32 s5, ttmp6, 0x40008
	s_mul_i32 s2, s4, s2
	s_getreg_b32 s6, hwreg(HW_REG_IB_STS2, 6, 4)
	s_add_co_i32 s5, s5, s2
	s_cmp_eq_u32 s6, 0
	s_mov_b32 s17, 0
	s_cselect_b32 s16, s4, s5
	s_wait_kmcnt 0x0
	s_cmp_ge_u32 s16, s3
	s_cbranch_scc1 .LBB97_17
; %bb.1:
	v_mbcnt_lo_u32_b32 v3, -1, 0
	s_clause 0x5
	s_load_b32 s18, s[0:1], 0x18
	s_load_b32 s22, s[0:1], 0x38
	s_load_b96 s[12:14], s[0:1], 0x58
	s_load_b128 s[4:7], s[0:1], 0x28
	s_load_b128 s[8:11], s[0:1], 0x8
	s_load_b32 s26, s[0:1], 0x0
	v_and_b32_e32 v2, 31, v0
	s_wait_xcnt 0x0
	v_cmp_eq_u32_e64 s1, 0, v0
	v_cmp_gt_u32_e64 s0, 24, v3
	v_lshl_or_b32 v10, v3, 2, 64
	v_mov_b32_e32 v16, 0
	v_cmp_gt_u32_e32 vcc_lo, 32, v0
	s_delay_alu instid0(VALU_DEP_4) | instskip(SKIP_1) | instid1(VALU_DEP_2)
	v_cndmask_b32_e64 v4, 0, 8, s0
	v_cmp_gt_u32_e64 s0, 28, v3
	v_add_lshl_u32 v11, v4, v3, 2
	s_delay_alu instid0(VALU_DEP_2)
	v_cndmask_b32_e64 v5, 0, 4, s0
	v_cmp_gt_u32_e64 s0, 30, v3
	v_lshrrev_b32_e32 v4, 2, v0
	s_wait_kmcnt 0x0
	s_ashr_i32 s19, s18, 31
	s_lshl_b32 s14, s14, 10
	v_add_lshl_u32 v12, v5, v3, 2
	v_cndmask_b32_e64 v6, 0, 2, s0
	v_cmp_ne_u32_e64 s0, 31, v3
	s_ashr_i32 s23, s22, 31
	s_ashr_i32 s15, s14, 31
	v_and_b32_e32 v15, 0xf8, v4
	v_add_lshl_u32 v13, v6, v3, 2
	v_add_co_ci_u32_e64 v7, null, 0, v3, s0
	v_lshlrev_b32_e32 v1, 3, v2
	v_cmp_eq_u32_e64 s0, 0, v2
	v_mov_b64_e32 v[2:3], 0
	s_delay_alu instid0(VALU_DEP_4)
	v_lshlrev_b32_e32 v14, 2, v7
	s_mul_u64 s[20:21], s[18:19], s[14:15]
	s_mul_u64 s[24:25], s[22:23], s[14:15]
	s_lshl_b64 s[10:11], s[10:11], 3
	s_lshl_b64 s[18:19], s[18:19], 3
	;; [unrolled: 1-line block ×6, first 2 shown]
	s_branch .LBB97_3
.LBB97_2:                               ;   in Loop: Header=BB97_3 Depth=1
	s_wait_xcnt 0x0
	s_or_b32 exec_lo, exec_lo, s2
	s_add_co_i32 s16, s16, 0x10000
	s_delay_alu instid0(SALU_CYCLE_1)
	s_cmp_lt_u32 s16, s3
	s_cbranch_scc0 .LBB97_17
.LBB97_3:                               ; =>This Loop Header: Depth=1
                                        ;     Child Loop BB97_5 Depth 2
	s_wait_dscnt 0x0
	v_mov_b64_e32 v[4:5], 0
	s_mov_b32 s15, exec_lo
	v_cmpx_gt_i32_e64 s26, v0
	s_cbranch_execz .LBB97_7
; %bb.4:                                ;   in Loop: Header=BB97_3 Depth=1
	s_lshl_b64 s[28:29], s[16:17], 3
	s_mov_b32 s27, 0
	s_add_nc_u64 s[30:31], s[8:9], s[28:29]
	s_add_nc_u64 s[28:29], s[4:5], s[28:29]
	s_load_b64 s[34:35], s[30:31], 0x0
	s_load_b64 s[36:37], s[28:29], 0x0
	s_wait_kmcnt 0x0
	s_wait_xcnt 0x0
	s_add_nc_u64 s[28:29], s[34:35], s[10:11]
	s_add_nc_u64 s[30:31], s[36:37], s[6:7]
	v_mad_nc_u64_u32 v[6:7], s18, v0, s[28:29]
	v_mad_nc_u64_u32 v[8:9], s22, v0, s[30:31]
	s_mov_b32 s28, 0
	s_delay_alu instid0(VALU_DEP_2) | instskip(NEXT) | instid1(VALU_DEP_2)
	v_mad_u32 v4, s19, v0, v7
	v_mad_u32 v5, s23, v0, v9
	v_ashrrev_i32_e32 v9, 31, v0
	s_delay_alu instid0(VALU_DEP_1) | instskip(NEXT) | instid1(VALU_DEP_3)
	v_mad_u32 v7, s18, v9, v4
	v_mad_u32 v9, s22, v9, v5
	v_mov_b64_e32 v[4:5], 0
.LBB97_5:                               ;   Parent Loop BB97_3 Depth=1
                                        ; =>  This Inner Loop Header: Depth=2
	flat_load_b64 v[18:19], v[8:9]
	flat_load_b64 v[20:21], v[6:7]
	v_add_nc_u32_e32 v0, s14, v0
	s_add_co_i32 s29, s28, 1
	s_cmp_gt_u32 s28, 30
	s_wait_xcnt 0x0
	v_add_nc_u64_e32 v[6:7], s[20:21], v[6:7]
	s_cselect_b32 s28, -1, 0
	v_cmp_le_i32_e64 s2, s26, v0
	v_add_nc_u64_e32 v[8:9], s[24:25], v[8:9]
	s_or_b32 s2, s28, s2
	s_mov_b32 s28, s29
	s_and_b32 s2, exec_lo, s2
	s_delay_alu instid0(SALU_CYCLE_1)
	s_or_b32 s27, s2, s27
	s_wait_loadcnt_dscnt 0x0
	v_fmac_f64_e32 v[4:5], v[18:19], v[20:21]
	s_and_not1_b32 exec_lo, exec_lo, s27
	s_cbranch_execnz .LBB97_5
; %bb.6:                                ;   in Loop: Header=BB97_3 Depth=1
	s_or_b32 exec_lo, exec_lo, s27
.LBB97_7:                               ;   in Loop: Header=BB97_3 Depth=1
	s_delay_alu instid0(SALU_CYCLE_1)
	s_or_b32 exec_lo, exec_lo, s15
	s_and_saveexec_b32 s2, vcc_lo
; %bb.8:                                ;   in Loop: Header=BB97_3 Depth=1
	ds_store_b64 v1, v[2:3]
; %bb.9:                                ;   in Loop: Header=BB97_3 Depth=1
	s_or_b32 exec_lo, exec_lo, s2
	ds_bpermute_b32 v6, v10, v4
	ds_bpermute_b32 v7, v10, v5
	s_wait_dscnt 0x0
	s_barrier_signal -1
	s_barrier_wait -1
	v_add_f64_e32 v[4:5], v[4:5], v[6:7]
	ds_bpermute_b32 v6, v11, v4
	ds_bpermute_b32 v7, v11, v5
	s_wait_dscnt 0x0
	v_add_f64_e32 v[4:5], v[4:5], v[6:7]
	ds_bpermute_b32 v6, v12, v4
	ds_bpermute_b32 v7, v12, v5
	s_wait_dscnt 0x0
	;; [unrolled: 4-line block ×3, first 2 shown]
	v_add_f64_e32 v[4:5], v[4:5], v[6:7]
	ds_bpermute_b32 v6, v14, v4
	ds_bpermute_b32 v7, v14, v5
	s_and_saveexec_b32 s2, s0
	s_cbranch_execz .LBB97_11
; %bb.10:                               ;   in Loop: Header=BB97_3 Depth=1
	s_wait_dscnt 0x0
	v_add_f64_e32 v[4:5], v[4:5], v[6:7]
	ds_store_b64 v15, v[4:5]
.LBB97_11:                              ;   in Loop: Header=BB97_3 Depth=1
	s_or_b32 exec_lo, exec_lo, s2
	v_mov_b64_e32 v[4:5], 0
	s_wait_dscnt 0x0
	s_barrier_signal -1
	s_barrier_wait -1
	s_and_saveexec_b32 s2, vcc_lo
	s_cbranch_execnz .LBB97_14
; %bb.12:                               ;   in Loop: Header=BB97_3 Depth=1
	s_or_b32 exec_lo, exec_lo, s2
	s_and_saveexec_b32 s2, vcc_lo
	s_cbranch_execnz .LBB97_15
.LBB97_13:                              ;   in Loop: Header=BB97_3 Depth=1
	s_or_b32 exec_lo, exec_lo, s2
	s_and_saveexec_b32 s2, s1
	s_cbranch_execz .LBB97_2
	s_branch .LBB97_16
.LBB97_14:                              ;   in Loop: Header=BB97_3 Depth=1
	ds_load_b64 v[4:5], v1
	s_or_b32 exec_lo, exec_lo, s2
	s_and_saveexec_b32 s2, vcc_lo
	s_cbranch_execz .LBB97_13
.LBB97_15:                              ;   in Loop: Header=BB97_3 Depth=1
	s_wait_dscnt 0x0
	ds_bpermute_b32 v6, v10, v4
	ds_bpermute_b32 v7, v10, v5
	s_wait_dscnt 0x0
	v_add_f64_e32 v[4:5], v[4:5], v[6:7]
	ds_bpermute_b32 v6, v11, v4
	ds_bpermute_b32 v7, v11, v5
	s_wait_dscnt 0x0
	v_add_f64_e32 v[4:5], v[4:5], v[6:7]
	;; [unrolled: 4-line block ×5, first 2 shown]
	s_or_b32 exec_lo, exec_lo, s2
	s_and_saveexec_b32 s2, s1
	s_cbranch_execz .LBB97_2
.LBB97_16:                              ;   in Loop: Header=BB97_3 Depth=1
	s_lshl_b64 s[28:29], s[16:17], 3
	s_delay_alu instid0(SALU_CYCLE_1)
	s_add_nc_u64 s[28:29], s[12:13], s[28:29]
	s_wait_dscnt 0x0
	global_store_b64 v16, v[4:5], s[28:29]
	s_branch .LBB97_2
.LBB97_17:
	s_endpgm
	.section	.rodata,"a",@progbits
	.p2align	6, 0x0
	.amdhsa_kernel _ZL18rocblas_dot_kernelIiLb1ELi1024ELi32ELb0EdPKPKddEviT5_lT_lS4_lS5_liPT6_PT4_
		.amdhsa_group_segment_fixed_size 256
		.amdhsa_private_segment_fixed_size 0
		.amdhsa_kernarg_size 352
		.amdhsa_user_sgpr_count 2
		.amdhsa_user_sgpr_dispatch_ptr 0
		.amdhsa_user_sgpr_queue_ptr 0
		.amdhsa_user_sgpr_kernarg_segment_ptr 1
		.amdhsa_user_sgpr_dispatch_id 0
		.amdhsa_user_sgpr_kernarg_preload_length 0
		.amdhsa_user_sgpr_kernarg_preload_offset 0
		.amdhsa_user_sgpr_private_segment_size 0
		.amdhsa_wavefront_size32 1
		.amdhsa_uses_dynamic_stack 0
		.amdhsa_enable_private_segment 0
		.amdhsa_system_sgpr_workgroup_id_x 1
		.amdhsa_system_sgpr_workgroup_id_y 0
		.amdhsa_system_sgpr_workgroup_id_z 1
		.amdhsa_system_sgpr_workgroup_info 0
		.amdhsa_system_vgpr_workitem_id 0
		.amdhsa_next_free_vgpr 22
		.amdhsa_next_free_sgpr 38
		.amdhsa_named_barrier_count 0
		.amdhsa_reserve_vcc 1
		.amdhsa_float_round_mode_32 0
		.amdhsa_float_round_mode_16_64 0
		.amdhsa_float_denorm_mode_32 3
		.amdhsa_float_denorm_mode_16_64 3
		.amdhsa_fp16_overflow 0
		.amdhsa_memory_ordered 1
		.amdhsa_forward_progress 1
		.amdhsa_inst_pref_size 9
		.amdhsa_round_robin_scheduling 0
		.amdhsa_exception_fp_ieee_invalid_op 0
		.amdhsa_exception_fp_denorm_src 0
		.amdhsa_exception_fp_ieee_div_zero 0
		.amdhsa_exception_fp_ieee_overflow 0
		.amdhsa_exception_fp_ieee_underflow 0
		.amdhsa_exception_fp_ieee_inexact 0
		.amdhsa_exception_int_div_zero 0
	.end_amdhsa_kernel
	.section	.text._ZL18rocblas_dot_kernelIiLb1ELi1024ELi32ELb0EdPKPKddEviT5_lT_lS4_lS5_liPT6_PT4_,"axG",@progbits,_ZL18rocblas_dot_kernelIiLb1ELi1024ELi32ELb0EdPKPKddEviT5_lT_lS4_lS5_liPT6_PT4_,comdat
.Lfunc_end97:
	.size	_ZL18rocblas_dot_kernelIiLb1ELi1024ELi32ELb0EdPKPKddEviT5_lT_lS4_lS5_liPT6_PT4_, .Lfunc_end97-_ZL18rocblas_dot_kernelIiLb1ELi1024ELi32ELb0EdPKPKddEviT5_lT_lS4_lS5_liPT6_PT4_
                                        ; -- End function
	.set _ZL18rocblas_dot_kernelIiLb1ELi1024ELi32ELb0EdPKPKddEviT5_lT_lS4_lS5_liPT6_PT4_.num_vgpr, 22
	.set _ZL18rocblas_dot_kernelIiLb1ELi1024ELi32ELb0EdPKPKddEviT5_lT_lS4_lS5_liPT6_PT4_.num_agpr, 0
	.set _ZL18rocblas_dot_kernelIiLb1ELi1024ELi32ELb0EdPKPKddEviT5_lT_lS4_lS5_liPT6_PT4_.numbered_sgpr, 38
	.set _ZL18rocblas_dot_kernelIiLb1ELi1024ELi32ELb0EdPKPKddEviT5_lT_lS4_lS5_liPT6_PT4_.num_named_barrier, 0
	.set _ZL18rocblas_dot_kernelIiLb1ELi1024ELi32ELb0EdPKPKddEviT5_lT_lS4_lS5_liPT6_PT4_.private_seg_size, 0
	.set _ZL18rocblas_dot_kernelIiLb1ELi1024ELi32ELb0EdPKPKddEviT5_lT_lS4_lS5_liPT6_PT4_.uses_vcc, 1
	.set _ZL18rocblas_dot_kernelIiLb1ELi1024ELi32ELb0EdPKPKddEviT5_lT_lS4_lS5_liPT6_PT4_.uses_flat_scratch, 0
	.set _ZL18rocblas_dot_kernelIiLb1ELi1024ELi32ELb0EdPKPKddEviT5_lT_lS4_lS5_liPT6_PT4_.has_dyn_sized_stack, 0
	.set _ZL18rocblas_dot_kernelIiLb1ELi1024ELi32ELb0EdPKPKddEviT5_lT_lS4_lS5_liPT6_PT4_.has_recursion, 0
	.set _ZL18rocblas_dot_kernelIiLb1ELi1024ELi32ELb0EdPKPKddEviT5_lT_lS4_lS5_liPT6_PT4_.has_indirect_call, 0
	.section	.AMDGPU.csdata,"",@progbits
; Kernel info:
; codeLenInByte = 1032
; TotalNumSgprs: 40
; NumVgprs: 22
; ScratchSize: 0
; MemoryBound: 0
; FloatMode: 240
; IeeeMode: 1
; LDSByteSize: 256 bytes/workgroup (compile time only)
; SGPRBlocks: 0
; VGPRBlocks: 1
; NumSGPRsForWavesPerEU: 40
; NumVGPRsForWavesPerEU: 22
; NamedBarCnt: 0
; Occupancy: 16
; WaveLimiterHint : 0
; COMPUTE_PGM_RSRC2:SCRATCH_EN: 0
; COMPUTE_PGM_RSRC2:USER_SGPR: 2
; COMPUTE_PGM_RSRC2:TRAP_HANDLER: 0
; COMPUTE_PGM_RSRC2:TGID_X_EN: 1
; COMPUTE_PGM_RSRC2:TGID_Y_EN: 0
; COMPUTE_PGM_RSRC2:TGID_Z_EN: 1
; COMPUTE_PGM_RSRC2:TIDIG_COMP_CNT: 0
	.section	.text._ZL24rocblas_dot_kernel_magsqIiLb1ELi1024ELi32ELb0EdPKPKddEviT5_lT_liPT6_PT4_,"axG",@progbits,_ZL24rocblas_dot_kernel_magsqIiLb1ELi1024ELi32ELb0EdPKPKddEviT5_lT_liPT6_PT4_,comdat
	.globl	_ZL24rocblas_dot_kernel_magsqIiLb1ELi1024ELi32ELb0EdPKPKddEviT5_lT_liPT6_PT4_ ; -- Begin function _ZL24rocblas_dot_kernel_magsqIiLb1ELi1024ELi32ELb0EdPKPKddEviT5_lT_liPT6_PT4_
	.p2align	8
	.type	_ZL24rocblas_dot_kernel_magsqIiLb1ELi1024ELi32ELb0EdPKPKddEviT5_lT_liPT6_PT4_,@function
_ZL24rocblas_dot_kernel_magsqIiLb1ELi1024ELi32ELb0EdPKPKddEviT5_lT_liPT6_PT4_: ; @_ZL24rocblas_dot_kernel_magsqIiLb1ELi1024ELi32ELb0EdPKPKddEviT5_lT_liPT6_PT4_
; %bb.0:
	s_load_b32 s3, s[0:1], 0x28
	s_bfe_u32 s2, ttmp6, 0x40014
	s_lshr_b32 s4, ttmp7, 16
	s_add_co_i32 s2, s2, 1
	s_bfe_u32 s5, ttmp6, 0x40008
	s_mul_i32 s2, s4, s2
	s_getreg_b32 s6, hwreg(HW_REG_IB_STS2, 6, 4)
	s_add_co_i32 s5, s5, s2
	s_cmp_eq_u32 s6, 0
	s_mov_b32 s13, 0
	s_cselect_b32 s12, s4, s5
	s_wait_kmcnt 0x0
	s_cmp_ge_u32 s12, s3
	s_cbranch_scc1 .LBB98_17
; %bb.1:
	v_mbcnt_lo_u32_b32 v3, -1, 0
	s_clause 0x3
	s_load_b32 s14, s[0:1], 0x18
	s_load_b96 s[8:10], s[0:1], 0x38
	s_load_b128 s[4:7], s[0:1], 0x8
	s_load_b32 s18, s[0:1], 0x0
	v_and_b32_e32 v2, 31, v0
	s_wait_xcnt 0x0
	v_cmp_eq_u32_e64 s1, 0, v0
	v_cmp_gt_u32_e64 s0, 24, v3
	v_lshl_or_b32 v8, v3, 2, 64
	v_mov_b32_e32 v14, 0
	v_cmp_gt_u32_e32 vcc_lo, 32, v0
	s_delay_alu instid0(VALU_DEP_4) | instskip(SKIP_1) | instid1(VALU_DEP_2)
	v_cndmask_b32_e64 v4, 0, 8, s0
	v_cmp_gt_u32_e64 s0, 28, v3
	v_add_lshl_u32 v9, v4, v3, 2
	s_delay_alu instid0(VALU_DEP_2)
	v_cndmask_b32_e64 v5, 0, 4, s0
	v_cmp_gt_u32_e64 s0, 30, v3
	v_lshrrev_b32_e32 v4, 2, v0
	s_wait_kmcnt 0x0
	s_ashr_i32 s15, s14, 31
	s_lshl_b32 s10, s10, 10
	v_cndmask_b32_e64 v6, 0, 2, s0
	v_cmp_ne_u32_e64 s0, 31, v3
	v_add_lshl_u32 v10, v5, v3, 2
	s_ashr_i32 s11, s10, 31
	v_and_b32_e32 v13, 0xf8, v4
	v_add_lshl_u32 v11, v6, v3, 2
	v_add_co_ci_u32_e64 v7, null, 0, v3, s0
	v_lshlrev_b32_e32 v1, 3, v2
	v_cmp_eq_u32_e64 s0, 0, v2
	v_mov_b64_e32 v[2:3], 0
	s_delay_alu instid0(VALU_DEP_4)
	v_lshlrev_b32_e32 v12, 2, v7
	s_mul_u64 s[16:17], s[14:15], s[10:11]
	s_lshl_b64 s[6:7], s[6:7], 3
	s_lshl_b64 s[14:15], s[14:15], 3
	;; [unrolled: 1-line block ×3, first 2 shown]
	s_branch .LBB98_3
.LBB98_2:                               ;   in Loop: Header=BB98_3 Depth=1
	s_wait_xcnt 0x0
	s_or_b32 exec_lo, exec_lo, s2
	s_add_co_i32 s12, s12, 0x10000
	s_delay_alu instid0(SALU_CYCLE_1)
	s_cmp_lt_u32 s12, s3
	s_cbranch_scc0 .LBB98_17
.LBB98_3:                               ; =>This Loop Header: Depth=1
                                        ;     Child Loop BB98_5 Depth 2
	s_wait_dscnt 0x0
	v_mov_b64_e32 v[4:5], 0
	s_mov_b32 s11, exec_lo
	v_cmpx_gt_i32_e64 s18, v0
	s_cbranch_execz .LBB98_7
; %bb.4:                                ;   in Loop: Header=BB98_3 Depth=1
	s_lshl_b64 s[20:21], s[12:13], 3
	v_ashrrev_i32_e32 v5, 31, v0
	s_add_nc_u64 s[20:21], s[4:5], s[20:21]
	s_mov_b32 s19, 0
	s_load_b64 s[20:21], s[20:21], 0x0
	s_wait_kmcnt 0x0
	s_wait_xcnt 0x0
	s_add_nc_u64 s[20:21], s[20:21], s[6:7]
	s_delay_alu instid0(SALU_CYCLE_1) | instskip(SKIP_1) | instid1(VALU_DEP_1)
	v_mad_nc_u64_u32 v[6:7], s14, v0, s[20:21]
	s_mov_b32 s20, 0
	v_mad_u32 v4, s15, v0, v7
	s_delay_alu instid0(VALU_DEP_1)
	v_mad_u32 v7, s14, v5, v4
	v_mov_b64_e32 v[4:5], 0
.LBB98_5:                               ;   Parent Loop BB98_3 Depth=1
                                        ; =>  This Inner Loop Header: Depth=2
	flat_load_b64 v[16:17], v[6:7]
	v_add_nc_u32_e32 v0, s10, v0
	s_add_co_i32 s21, s20, 1
	s_cmp_gt_u32 s20, 30
	s_wait_xcnt 0x0
	v_add_nc_u64_e32 v[6:7], s[16:17], v[6:7]
	s_cselect_b32 s20, -1, 0
	v_cmp_le_i32_e64 s2, s18, v0
	s_or_b32 s2, s20, s2
	s_mov_b32 s20, s21
	s_and_b32 s2, exec_lo, s2
	s_delay_alu instid0(SALU_CYCLE_1)
	s_or_b32 s19, s2, s19
	s_wait_loadcnt_dscnt 0x0
	v_fmac_f64_e32 v[4:5], v[16:17], v[16:17]
	s_and_not1_b32 exec_lo, exec_lo, s19
	s_cbranch_execnz .LBB98_5
; %bb.6:                                ;   in Loop: Header=BB98_3 Depth=1
	s_or_b32 exec_lo, exec_lo, s19
.LBB98_7:                               ;   in Loop: Header=BB98_3 Depth=1
	s_delay_alu instid0(SALU_CYCLE_1)
	s_or_b32 exec_lo, exec_lo, s11
	s_and_saveexec_b32 s2, vcc_lo
; %bb.8:                                ;   in Loop: Header=BB98_3 Depth=1
	ds_store_b64 v1, v[2:3]
; %bb.9:                                ;   in Loop: Header=BB98_3 Depth=1
	s_or_b32 exec_lo, exec_lo, s2
	ds_bpermute_b32 v6, v8, v4
	ds_bpermute_b32 v7, v8, v5
	s_wait_dscnt 0x0
	s_barrier_signal -1
	s_barrier_wait -1
	v_add_f64_e32 v[4:5], v[4:5], v[6:7]
	ds_bpermute_b32 v6, v9, v4
	ds_bpermute_b32 v7, v9, v5
	s_wait_dscnt 0x0
	v_add_f64_e32 v[4:5], v[4:5], v[6:7]
	ds_bpermute_b32 v6, v10, v4
	ds_bpermute_b32 v7, v10, v5
	s_wait_dscnt 0x0
	;; [unrolled: 4-line block ×3, first 2 shown]
	v_add_f64_e32 v[4:5], v[4:5], v[6:7]
	ds_bpermute_b32 v6, v12, v4
	ds_bpermute_b32 v7, v12, v5
	s_and_saveexec_b32 s2, s0
	s_cbranch_execz .LBB98_11
; %bb.10:                               ;   in Loop: Header=BB98_3 Depth=1
	s_wait_dscnt 0x0
	v_add_f64_e32 v[4:5], v[4:5], v[6:7]
	ds_store_b64 v13, v[4:5]
.LBB98_11:                              ;   in Loop: Header=BB98_3 Depth=1
	s_or_b32 exec_lo, exec_lo, s2
	v_mov_b64_e32 v[4:5], 0
	s_wait_dscnt 0x0
	s_barrier_signal -1
	s_barrier_wait -1
	s_and_saveexec_b32 s2, vcc_lo
	s_cbranch_execnz .LBB98_14
; %bb.12:                               ;   in Loop: Header=BB98_3 Depth=1
	s_or_b32 exec_lo, exec_lo, s2
	s_and_saveexec_b32 s2, vcc_lo
	s_cbranch_execnz .LBB98_15
.LBB98_13:                              ;   in Loop: Header=BB98_3 Depth=1
	s_or_b32 exec_lo, exec_lo, s2
	s_and_saveexec_b32 s2, s1
	s_cbranch_execz .LBB98_2
	s_branch .LBB98_16
.LBB98_14:                              ;   in Loop: Header=BB98_3 Depth=1
	ds_load_b64 v[4:5], v1
	s_or_b32 exec_lo, exec_lo, s2
	s_and_saveexec_b32 s2, vcc_lo
	s_cbranch_execz .LBB98_13
.LBB98_15:                              ;   in Loop: Header=BB98_3 Depth=1
	s_wait_dscnt 0x0
	ds_bpermute_b32 v6, v8, v4
	ds_bpermute_b32 v7, v8, v5
	s_wait_dscnt 0x0
	v_add_f64_e32 v[4:5], v[4:5], v[6:7]
	ds_bpermute_b32 v6, v9, v4
	ds_bpermute_b32 v7, v9, v5
	s_wait_dscnt 0x0
	v_add_f64_e32 v[4:5], v[4:5], v[6:7]
	;; [unrolled: 4-line block ×5, first 2 shown]
	s_or_b32 exec_lo, exec_lo, s2
	s_and_saveexec_b32 s2, s1
	s_cbranch_execz .LBB98_2
.LBB98_16:                              ;   in Loop: Header=BB98_3 Depth=1
	s_lshl_b64 s[20:21], s[12:13], 3
	s_delay_alu instid0(SALU_CYCLE_1)
	s_add_nc_u64 s[20:21], s[8:9], s[20:21]
	s_wait_dscnt 0x0
	global_store_b64 v14, v[4:5], s[20:21]
	s_branch .LBB98_2
.LBB98_17:
	s_endpgm
	.section	.rodata,"a",@progbits
	.p2align	6, 0x0
	.amdhsa_kernel _ZL24rocblas_dot_kernel_magsqIiLb1ELi1024ELi32ELb0EdPKPKddEviT5_lT_liPT6_PT4_
		.amdhsa_group_segment_fixed_size 256
		.amdhsa_private_segment_fixed_size 0
		.amdhsa_kernarg_size 320
		.amdhsa_user_sgpr_count 2
		.amdhsa_user_sgpr_dispatch_ptr 0
		.amdhsa_user_sgpr_queue_ptr 0
		.amdhsa_user_sgpr_kernarg_segment_ptr 1
		.amdhsa_user_sgpr_dispatch_id 0
		.amdhsa_user_sgpr_kernarg_preload_length 0
		.amdhsa_user_sgpr_kernarg_preload_offset 0
		.amdhsa_user_sgpr_private_segment_size 0
		.amdhsa_wavefront_size32 1
		.amdhsa_uses_dynamic_stack 0
		.amdhsa_enable_private_segment 0
		.amdhsa_system_sgpr_workgroup_id_x 1
		.amdhsa_system_sgpr_workgroup_id_y 0
		.amdhsa_system_sgpr_workgroup_id_z 1
		.amdhsa_system_sgpr_workgroup_info 0
		.amdhsa_system_vgpr_workitem_id 0
		.amdhsa_next_free_vgpr 18
		.amdhsa_next_free_sgpr 22
		.amdhsa_named_barrier_count 0
		.amdhsa_reserve_vcc 1
		.amdhsa_float_round_mode_32 0
		.amdhsa_float_round_mode_16_64 0
		.amdhsa_float_denorm_mode_32 3
		.amdhsa_float_denorm_mode_16_64 3
		.amdhsa_fp16_overflow 0
		.amdhsa_memory_ordered 1
		.amdhsa_forward_progress 1
		.amdhsa_inst_pref_size 8
		.amdhsa_round_robin_scheduling 0
		.amdhsa_exception_fp_ieee_invalid_op 0
		.amdhsa_exception_fp_denorm_src 0
		.amdhsa_exception_fp_ieee_div_zero 0
		.amdhsa_exception_fp_ieee_overflow 0
		.amdhsa_exception_fp_ieee_underflow 0
		.amdhsa_exception_fp_ieee_inexact 0
		.amdhsa_exception_int_div_zero 0
	.end_amdhsa_kernel
	.section	.text._ZL24rocblas_dot_kernel_magsqIiLb1ELi1024ELi32ELb0EdPKPKddEviT5_lT_liPT6_PT4_,"axG",@progbits,_ZL24rocblas_dot_kernel_magsqIiLb1ELi1024ELi32ELb0EdPKPKddEviT5_lT_liPT6_PT4_,comdat
.Lfunc_end98:
	.size	_ZL24rocblas_dot_kernel_magsqIiLb1ELi1024ELi32ELb0EdPKPKddEviT5_lT_liPT6_PT4_, .Lfunc_end98-_ZL24rocblas_dot_kernel_magsqIiLb1ELi1024ELi32ELb0EdPKPKddEviT5_lT_liPT6_PT4_
                                        ; -- End function
	.set _ZL24rocblas_dot_kernel_magsqIiLb1ELi1024ELi32ELb0EdPKPKddEviT5_lT_liPT6_PT4_.num_vgpr, 18
	.set _ZL24rocblas_dot_kernel_magsqIiLb1ELi1024ELi32ELb0EdPKPKddEviT5_lT_liPT6_PT4_.num_agpr, 0
	.set _ZL24rocblas_dot_kernel_magsqIiLb1ELi1024ELi32ELb0EdPKPKddEviT5_lT_liPT6_PT4_.numbered_sgpr, 22
	.set _ZL24rocblas_dot_kernel_magsqIiLb1ELi1024ELi32ELb0EdPKPKddEviT5_lT_liPT6_PT4_.num_named_barrier, 0
	.set _ZL24rocblas_dot_kernel_magsqIiLb1ELi1024ELi32ELb0EdPKPKddEviT5_lT_liPT6_PT4_.private_seg_size, 0
	.set _ZL24rocblas_dot_kernel_magsqIiLb1ELi1024ELi32ELb0EdPKPKddEviT5_lT_liPT6_PT4_.uses_vcc, 1
	.set _ZL24rocblas_dot_kernel_magsqIiLb1ELi1024ELi32ELb0EdPKPKddEviT5_lT_liPT6_PT4_.uses_flat_scratch, 0
	.set _ZL24rocblas_dot_kernel_magsqIiLb1ELi1024ELi32ELb0EdPKPKddEviT5_lT_liPT6_PT4_.has_dyn_sized_stack, 0
	.set _ZL24rocblas_dot_kernel_magsqIiLb1ELi1024ELi32ELb0EdPKPKddEviT5_lT_liPT6_PT4_.has_recursion, 0
	.set _ZL24rocblas_dot_kernel_magsqIiLb1ELi1024ELi32ELb0EdPKPKddEviT5_lT_liPT6_PT4_.has_indirect_call, 0
	.section	.AMDGPU.csdata,"",@progbits
; Kernel info:
; codeLenInByte = 940
; TotalNumSgprs: 24
; NumVgprs: 18
; ScratchSize: 0
; MemoryBound: 0
; FloatMode: 240
; IeeeMode: 1
; LDSByteSize: 256 bytes/workgroup (compile time only)
; SGPRBlocks: 0
; VGPRBlocks: 1
; NumSGPRsForWavesPerEU: 24
; NumVGPRsForWavesPerEU: 18
; NamedBarCnt: 0
; Occupancy: 16
; WaveLimiterHint : 0
; COMPUTE_PGM_RSRC2:SCRATCH_EN: 0
; COMPUTE_PGM_RSRC2:USER_SGPR: 2
; COMPUTE_PGM_RSRC2:TRAP_HANDLER: 0
; COMPUTE_PGM_RSRC2:TGID_X_EN: 1
; COMPUTE_PGM_RSRC2:TGID_Y_EN: 0
; COMPUTE_PGM_RSRC2:TGID_Z_EN: 1
; COMPUTE_PGM_RSRC2:TIDIG_COMP_CNT: 0
	.section	.text._ZL23rocblas_dot_kernel_inc1ILb0ELi512ELi2ELb0EdPKPKddEviT4_llS4_lliPT5_PT3_,"axG",@progbits,_ZL23rocblas_dot_kernel_inc1ILb0ELi512ELi2ELb0EdPKPKddEviT4_llS4_lliPT5_PT3_,comdat
	.globl	_ZL23rocblas_dot_kernel_inc1ILb0ELi512ELi2ELb0EdPKPKddEviT4_llS4_lliPT5_PT3_ ; -- Begin function _ZL23rocblas_dot_kernel_inc1ILb0ELi512ELi2ELb0EdPKPKddEviT4_llS4_lliPT5_PT3_
	.p2align	8
	.type	_ZL23rocblas_dot_kernel_inc1ILb0ELi512ELi2ELb0EdPKPKddEviT4_llS4_lliPT5_PT3_,@function
_ZL23rocblas_dot_kernel_inc1ILb0ELi512ELi2ELb0EdPKPKddEviT4_llS4_lliPT5_PT3_: ; @_ZL23rocblas_dot_kernel_inc1ILb0ELi512ELi2ELb0EdPKPKddEviT4_llS4_lliPT5_PT3_
; %bb.0:
	s_load_b32 s28, s[0:1], 0x38
	s_bfe_u32 s2, ttmp6, 0x40014
	s_lshr_b32 s3, ttmp7, 16
	s_add_co_i32 s2, s2, 1
	s_bfe_u32 s5, ttmp6, 0x40008
	s_mul_i32 s4, s3, s2
	s_getreg_b32 s2, hwreg(HW_REG_IB_STS2, 6, 4)
	s_add_co_i32 s5, s5, s4
	s_cmp_eq_u32 s2, 0
	s_mov_b32 s17, 0
	s_cselect_b32 s16, s3, s5
	s_wait_kmcnt 0x0
	s_cmp_ge_u32 s16, s28
	s_cbranch_scc1 .LBB99_20
; %bb.1:
	v_mbcnt_lo_u32_b32 v3, -1, 0
	s_clause 0x4
	s_load_b32 s18, s[0:1], 0x50
	s_load_b128 s[4:7], s[0:1], 0x40
	s_load_b128 s[8:11], s[0:1], 0x20
	;; [unrolled: 1-line block ×3, first 2 shown]
	s_load_b32 s29, s[0:1], 0x0
	s_bfe_u32 s3, ttmp6, 0x4000c
	s_wait_xcnt 0x0
	s_and_b32 s1, ttmp6, 15
	s_add_co_i32 s3, s3, 1
	v_cmp_gt_u32_e32 vcc_lo, 24, v3
	s_mul_i32 s3, ttmp9, s3
	v_and_b32_e32 v1, 31, v0
	s_add_co_i32 s1, s1, s3
	s_cmp_eq_u32 s2, 0
	v_cndmask_b32_e64 v4, 0, 8, vcc_lo
	v_cmp_gt_u32_e32 vcc_lo, 28, v3
	s_cselect_b32 s22, ttmp9, s1
	v_cmp_gt_u32_e64 s0, 32, v0
	v_lshl_or_b32 v2, s22, 9, v0
	v_add_lshl_u32 v10, v4, v3, 2
	v_cndmask_b32_e64 v5, 0, 4, vcc_lo
	v_cmp_gt_u32_e32 vcc_lo, 30, v3
	v_lshrrev_b32_e32 v4, 2, v0
	s_wait_kmcnt 0x0
	s_cmp_lg_u32 s18, 1
	v_cmp_eq_u32_e64 s1, 0, v1
	v_cmp_gt_u32_e64 s2, 16, v0
	v_cndmask_b32_e64 v6, 0, 2, vcc_lo
	v_cmp_ne_u32_e32 vcc_lo, 31, v3
	v_cmp_eq_u32_e64 s3, 0, v0
	s_cselect_b32 s30, -1, 0
	s_lshl_b32 s20, s18, 9
	s_mov_b32 s23, s17
	v_add_co_ci_u32_e64 v7, null, 0, v3, vcc_lo
	v_lshlrev_b32_e32 v8, 3, v1
	v_mov_b64_e32 v[0:1], 0
	v_lshl_or_b32 v9, v3, 2, 64
	v_add_lshl_u32 v11, v5, v3, 2
	v_add_lshl_u32 v12, v6, v3, 2
	v_lshlrev_b32_e32 v13, 2, v7
	v_and_b32_e32 v14, 0x78, v4
	v_mov_b32_e32 v15, 0
	s_lshl_b64 s[22:23], s[22:23], 3
	s_ashr_i32 s21, s20, 31
	s_mov_b32 s19, s17
	s_add_nc_u64 s[4:5], s[4:5], s[22:23]
	s_lshl_b64 s[14:15], s[14:15], 3
	s_lshl_b64 s[10:11], s[10:11], 3
	;; [unrolled: 1-line block ×3, first 2 shown]
	s_branch .LBB99_3
.LBB99_2:                               ;   in Loop: Header=BB99_3 Depth=1
	s_wait_xcnt 0x0
	s_or_b32 exec_lo, exec_lo, s21
	s_add_co_i32 s16, s16, 0x10000
	s_delay_alu instid0(SALU_CYCLE_1)
	s_cmp_lt_u32 s16, s28
	s_cbranch_scc0 .LBB99_20
.LBB99_3:                               ; =>This Inner Loop Header: Depth=1
	s_wait_dscnt 0x0
	v_mov_b64_e32 v[4:5], 0
	s_mov_b32 s21, exec_lo
	v_cmpx_gt_i32_e64 s29, v2
	s_cbranch_execz .LBB99_7
; %bb.4:                                ;   in Loop: Header=BB99_3 Depth=1
	s_lshl_b64 s[24:25], s[16:17], 3
	s_mov_b32 s31, exec_lo
	s_add_nc_u64 s[26:27], s[8:9], s[24:25]
	s_add_nc_u64 s[24:25], s[12:13], s[24:25]
	s_load_b64 s[34:35], s[26:27], 0x0
	s_load_b64 s[36:37], s[24:25], 0x0
	s_wait_kmcnt 0x0
	s_wait_xcnt 0x0
	s_add_nc_u64 s[26:27], s[34:35], s[10:11]
	s_add_nc_u64 s[24:25], s[36:37], s[14:15]
	s_clause 0x1
	flat_load_b64 v[4:5], v2, s[26:27] scale_offset
	flat_load_b64 v[6:7], v2, s[24:25] scale_offset
	s_wait_loadcnt_dscnt 0x0
	v_fma_f64 v[4:5], v[4:5], v[6:7], 0
	v_add_nc_u32_e32 v6, s20, v2
	s_wait_xcnt 0x0
	s_delay_alu instid0(VALU_DEP_1)
	v_cmpx_gt_i32_e64 s29, v6
	s_cbranch_execz .LBB99_6
; %bb.5:                                ;   in Loop: Header=BB99_3 Depth=1
	v_ashrrev_i32_e32 v3, 31, v2
	v_add_nc_u32_e32 v6, s20, v6
	s_delay_alu instid0(VALU_DEP_2) | instskip(NEXT) | instid1(VALU_DEP_1)
	v_lshlrev_b64_e32 v[2:3], 3, v[2:3]
	v_add_nc_u64_e32 v[16:17], s[26:27], v[2:3]
	v_add_nc_u64_e32 v[2:3], s[24:25], v[2:3]
	s_delay_alu instid0(VALU_DEP_2) | instskip(NEXT) | instid1(VALU_DEP_2)
	v_add_nc_u64_e32 v[16:17], s[22:23], v[16:17]
	v_add_nc_u64_e32 v[2:3], s[22:23], v[2:3]
	flat_load_b64 v[18:19], v[16:17]
	flat_load_b64 v[20:21], v[2:3]
	s_wait_loadcnt_dscnt 0x0
	v_fmac_f64_e32 v[4:5], v[18:19], v[20:21]
.LBB99_6:                               ;   in Loop: Header=BB99_3 Depth=1
	s_wait_xcnt 0x0
	s_or_b32 exec_lo, exec_lo, s31
	v_mov_b32_e32 v2, v6
.LBB99_7:                               ;   in Loop: Header=BB99_3 Depth=1
	s_or_b32 exec_lo, exec_lo, s21
	s_and_saveexec_b32 s21, s0
; %bb.8:                                ;   in Loop: Header=BB99_3 Depth=1
	ds_store_b64 v8, v[0:1]
; %bb.9:                                ;   in Loop: Header=BB99_3 Depth=1
	s_or_b32 exec_lo, exec_lo, s21
	ds_bpermute_b32 v6, v9, v4
	ds_bpermute_b32 v7, v9, v5
	s_wait_dscnt 0x0
	s_barrier_signal -1
	s_barrier_wait -1
	v_add_f64_e32 v[4:5], v[4:5], v[6:7]
	ds_bpermute_b32 v6, v10, v4
	ds_bpermute_b32 v7, v10, v5
	s_wait_dscnt 0x0
	v_add_f64_e32 v[4:5], v[4:5], v[6:7]
	ds_bpermute_b32 v6, v11, v4
	ds_bpermute_b32 v7, v11, v5
	s_wait_dscnt 0x0
	;; [unrolled: 4-line block ×3, first 2 shown]
	v_add_f64_e32 v[4:5], v[4:5], v[6:7]
	ds_bpermute_b32 v6, v13, v4
	ds_bpermute_b32 v7, v13, v5
	s_and_saveexec_b32 s21, s1
	s_cbranch_execz .LBB99_11
; %bb.10:                               ;   in Loop: Header=BB99_3 Depth=1
	s_wait_dscnt 0x0
	v_add_f64_e32 v[4:5], v[4:5], v[6:7]
	ds_store_b64 v14, v[4:5]
.LBB99_11:                              ;   in Loop: Header=BB99_3 Depth=1
	s_or_b32 exec_lo, exec_lo, s21
	v_mov_b64_e32 v[4:5], 0
	s_wait_dscnt 0x0
	s_barrier_signal -1
	s_barrier_wait -1
	s_and_saveexec_b32 s21, s2
	s_cbranch_execnz .LBB99_14
; %bb.12:                               ;   in Loop: Header=BB99_3 Depth=1
	s_or_b32 exec_lo, exec_lo, s21
	s_and_saveexec_b32 s21, s0
	s_cbranch_execnz .LBB99_15
.LBB99_13:                              ;   in Loop: Header=BB99_3 Depth=1
	s_or_b32 exec_lo, exec_lo, s21
	s_and_saveexec_b32 s21, s3
	s_cbranch_execz .LBB99_2
	s_branch .LBB99_16
.LBB99_14:                              ;   in Loop: Header=BB99_3 Depth=1
	ds_load_b64 v[4:5], v8
	s_or_b32 exec_lo, exec_lo, s21
	s_and_saveexec_b32 s21, s0
	s_cbranch_execz .LBB99_13
.LBB99_15:                              ;   in Loop: Header=BB99_3 Depth=1
	s_wait_dscnt 0x0
	ds_bpermute_b32 v6, v10, v4
	ds_bpermute_b32 v7, v10, v5
	s_wait_dscnt 0x0
	v_add_f64_e32 v[4:5], v[4:5], v[6:7]
	ds_bpermute_b32 v6, v11, v4
	ds_bpermute_b32 v7, v11, v5
	s_wait_dscnt 0x0
	v_add_f64_e32 v[4:5], v[4:5], v[6:7]
	;; [unrolled: 4-line block ×4, first 2 shown]
	s_or_b32 exec_lo, exec_lo, s21
	s_and_saveexec_b32 s21, s3
	s_cbranch_execz .LBB99_2
.LBB99_16:                              ;   in Loop: Header=BB99_3 Depth=1
	s_and_b32 vcc_lo, exec_lo, s30
	s_mov_b32 s24, -1
	s_cbranch_vccz .LBB99_18
; %bb.17:                               ;   in Loop: Header=BB99_3 Depth=1
	s_mul_u64 s[24:25], s[18:19], s[16:17]
	s_delay_alu instid0(SALU_CYCLE_1) | instskip(NEXT) | instid1(SALU_CYCLE_1)
	s_lshl_b64 s[24:25], s[24:25], 3
	s_add_nc_u64 s[26:27], s[4:5], s[24:25]
	s_mov_b32 s24, 0
	s_wait_dscnt 0x0
	global_store_b64 v15, v[4:5], s[26:27]
.LBB99_18:                              ;   in Loop: Header=BB99_3 Depth=1
	s_and_not1_b32 vcc_lo, exec_lo, s24
	s_cbranch_vccnz .LBB99_2
; %bb.19:                               ;   in Loop: Header=BB99_3 Depth=1
	s_lshl_b64 s[24:25], s[16:17], 3
	s_delay_alu instid0(SALU_CYCLE_1)
	s_add_nc_u64 s[24:25], s[6:7], s[24:25]
	s_wait_dscnt 0x0
	global_store_b64 v15, v[4:5], s[24:25]
	s_branch .LBB99_2
.LBB99_20:
	s_endpgm
	.section	.rodata,"a",@progbits
	.p2align	6, 0x0
	.amdhsa_kernel _ZL23rocblas_dot_kernel_inc1ILb0ELi512ELi2ELb0EdPKPKddEviT4_llS4_lliPT5_PT3_
		.amdhsa_group_segment_fixed_size 256
		.amdhsa_private_segment_fixed_size 0
		.amdhsa_kernarg_size 336
		.amdhsa_user_sgpr_count 2
		.amdhsa_user_sgpr_dispatch_ptr 0
		.amdhsa_user_sgpr_queue_ptr 0
		.amdhsa_user_sgpr_kernarg_segment_ptr 1
		.amdhsa_user_sgpr_dispatch_id 0
		.amdhsa_user_sgpr_kernarg_preload_length 0
		.amdhsa_user_sgpr_kernarg_preload_offset 0
		.amdhsa_user_sgpr_private_segment_size 0
		.amdhsa_wavefront_size32 1
		.amdhsa_uses_dynamic_stack 0
		.amdhsa_enable_private_segment 0
		.amdhsa_system_sgpr_workgroup_id_x 1
		.amdhsa_system_sgpr_workgroup_id_y 0
		.amdhsa_system_sgpr_workgroup_id_z 1
		.amdhsa_system_sgpr_workgroup_info 0
		.amdhsa_system_vgpr_workitem_id 0
		.amdhsa_next_free_vgpr 22
		.amdhsa_next_free_sgpr 38
		.amdhsa_named_barrier_count 0
		.amdhsa_reserve_vcc 1
		.amdhsa_float_round_mode_32 0
		.amdhsa_float_round_mode_16_64 0
		.amdhsa_float_denorm_mode_32 3
		.amdhsa_float_denorm_mode_16_64 3
		.amdhsa_fp16_overflow 0
		.amdhsa_memory_ordered 1
		.amdhsa_forward_progress 1
		.amdhsa_inst_pref_size 9
		.amdhsa_round_robin_scheduling 0
		.amdhsa_exception_fp_ieee_invalid_op 0
		.amdhsa_exception_fp_denorm_src 0
		.amdhsa_exception_fp_ieee_div_zero 0
		.amdhsa_exception_fp_ieee_overflow 0
		.amdhsa_exception_fp_ieee_underflow 0
		.amdhsa_exception_fp_ieee_inexact 0
		.amdhsa_exception_int_div_zero 0
	.end_amdhsa_kernel
	.section	.text._ZL23rocblas_dot_kernel_inc1ILb0ELi512ELi2ELb0EdPKPKddEviT4_llS4_lliPT5_PT3_,"axG",@progbits,_ZL23rocblas_dot_kernel_inc1ILb0ELi512ELi2ELb0EdPKPKddEviT4_llS4_lliPT5_PT3_,comdat
.Lfunc_end99:
	.size	_ZL23rocblas_dot_kernel_inc1ILb0ELi512ELi2ELb0EdPKPKddEviT4_llS4_lliPT5_PT3_, .Lfunc_end99-_ZL23rocblas_dot_kernel_inc1ILb0ELi512ELi2ELb0EdPKPKddEviT4_llS4_lliPT5_PT3_
                                        ; -- End function
	.set _ZL23rocblas_dot_kernel_inc1ILb0ELi512ELi2ELb0EdPKPKddEviT4_llS4_lliPT5_PT3_.num_vgpr, 22
	.set _ZL23rocblas_dot_kernel_inc1ILb0ELi512ELi2ELb0EdPKPKddEviT4_llS4_lliPT5_PT3_.num_agpr, 0
	.set _ZL23rocblas_dot_kernel_inc1ILb0ELi512ELi2ELb0EdPKPKddEviT4_llS4_lliPT5_PT3_.numbered_sgpr, 38
	.set _ZL23rocblas_dot_kernel_inc1ILb0ELi512ELi2ELb0EdPKPKddEviT4_llS4_lliPT5_PT3_.num_named_barrier, 0
	.set _ZL23rocblas_dot_kernel_inc1ILb0ELi512ELi2ELb0EdPKPKddEviT4_llS4_lliPT5_PT3_.private_seg_size, 0
	.set _ZL23rocblas_dot_kernel_inc1ILb0ELi512ELi2ELb0EdPKPKddEviT4_llS4_lliPT5_PT3_.uses_vcc, 1
	.set _ZL23rocblas_dot_kernel_inc1ILb0ELi512ELi2ELb0EdPKPKddEviT4_llS4_lliPT5_PT3_.uses_flat_scratch, 1
	.set _ZL23rocblas_dot_kernel_inc1ILb0ELi512ELi2ELb0EdPKPKddEviT4_llS4_lliPT5_PT3_.has_dyn_sized_stack, 0
	.set _ZL23rocblas_dot_kernel_inc1ILb0ELi512ELi2ELb0EdPKPKddEviT4_llS4_lliPT5_PT3_.has_recursion, 0
	.set _ZL23rocblas_dot_kernel_inc1ILb0ELi512ELi2ELb0EdPKPKddEviT4_llS4_lliPT5_PT3_.has_indirect_call, 0
	.section	.AMDGPU.csdata,"",@progbits
; Kernel info:
; codeLenInByte = 1048
; TotalNumSgprs: 40
; NumVgprs: 22
; ScratchSize: 0
; MemoryBound: 0
; FloatMode: 240
; IeeeMode: 1
; LDSByteSize: 256 bytes/workgroup (compile time only)
; SGPRBlocks: 0
; VGPRBlocks: 1
; NumSGPRsForWavesPerEU: 40
; NumVGPRsForWavesPerEU: 22
; NamedBarCnt: 0
; Occupancy: 16
; WaveLimiterHint : 1
; COMPUTE_PGM_RSRC2:SCRATCH_EN: 0
; COMPUTE_PGM_RSRC2:USER_SGPR: 2
; COMPUTE_PGM_RSRC2:TRAP_HANDLER: 0
; COMPUTE_PGM_RSRC2:TGID_X_EN: 1
; COMPUTE_PGM_RSRC2:TGID_Y_EN: 0
; COMPUTE_PGM_RSRC2:TGID_Z_EN: 1
; COMPUTE_PGM_RSRC2:TIDIG_COMP_CNT: 0
	.section	.text._ZL18rocblas_dot_kernelIiLb0ELi512ELi2ELb0EdPKPKddEviT5_lT_lS4_lS5_liPT6_PT4_,"axG",@progbits,_ZL18rocblas_dot_kernelIiLb0ELi512ELi2ELb0EdPKPKddEviT5_lT_lS4_lS5_liPT6_PT4_,comdat
	.globl	_ZL18rocblas_dot_kernelIiLb0ELi512ELi2ELb0EdPKPKddEviT5_lT_lS4_lS5_liPT6_PT4_ ; -- Begin function _ZL18rocblas_dot_kernelIiLb0ELi512ELi2ELb0EdPKPKddEviT5_lT_lS4_lS5_liPT6_PT4_
	.p2align	8
	.type	_ZL18rocblas_dot_kernelIiLb0ELi512ELi2ELb0EdPKPKddEviT5_lT_lS4_lS5_liPT6_PT4_,@function
_ZL18rocblas_dot_kernelIiLb0ELi512ELi2ELb0EdPKPKddEviT5_lT_lS4_lS5_liPT6_PT4_: ; @_ZL18rocblas_dot_kernelIiLb0ELi512ELi2ELb0EdPKPKddEviT5_lT_lS4_lS5_liPT6_PT4_
; %bb.0:
	s_load_b32 s28, s[0:1], 0x48
	s_bfe_u32 s2, ttmp6, 0x40014
	s_lshr_b32 s3, ttmp7, 16
	s_add_co_i32 s2, s2, 1
	s_bfe_u32 s5, ttmp6, 0x40008
	s_mul_i32 s4, s3, s2
	s_getreg_b32 s2, hwreg(HW_REG_IB_STS2, 6, 4)
	s_add_co_i32 s5, s5, s4
	s_cmp_eq_u32 s2, 0
	s_mov_b32 s17, 0
	s_cselect_b32 s16, s3, s5
	s_wait_kmcnt 0x0
	s_cmp_ge_u32 s16, s28
	s_cbranch_scc1 .LBB100_20
; %bb.1:
	v_mbcnt_lo_u32_b32 v3, -1, 0
	s_clause 0x6
	s_load_b32 s18, s[0:1], 0x18
	s_load_b32 s20, s[0:1], 0x38
	;; [unrolled: 1-line block ×3, first 2 shown]
	s_load_b128 s[4:7], s[0:1], 0x50
	s_load_b128 s[8:11], s[0:1], 0x28
	;; [unrolled: 1-line block ×3, first 2 shown]
	s_load_b32 s29, s[0:1], 0x0
	s_bfe_u32 s3, ttmp6, 0x4000c
	s_wait_xcnt 0x0
	s_and_b32 s1, ttmp6, 15
	s_add_co_i32 s3, s3, 1
	v_cmp_gt_u32_e32 vcc_lo, 24, v3
	s_mul_i32 s3, ttmp9, s3
	v_and_b32_e32 v1, 31, v0
	s_add_co_i32 s1, s1, s3
	v_cmp_gt_u32_e64 s0, 32, v0
	v_cndmask_b32_e64 v4, 0, 8, vcc_lo
	v_cmp_gt_u32_e32 vcc_lo, 28, v3
	v_cmp_eq_u32_e64 s3, 0, v0
	s_mov_b32 s25, s17
	v_lshl_or_b32 v9, v3, 2, 64
	s_wait_kmcnt 0x0
	s_ashr_i32 s19, s18, 31
	v_cndmask_b32_e64 v5, 0, 4, vcc_lo
	v_cmp_gt_u32_e32 vcc_lo, 30, v3
	s_ashr_i32 s21, s20, 31
	s_cmp_eq_u32 s2, 0
	v_add_lshl_u32 v10, v4, v3, 2
	v_lshrrev_b32_e32 v4, 2, v0
	v_cndmask_b32_e64 v6, 0, 2, vcc_lo
	v_cmp_ne_u32_e32 vcc_lo, 31, v3
	s_cselect_b32 s24, ttmp9, s1
	v_cmp_eq_u32_e64 s1, 0, v1
	v_lshl_or_b32 v2, s24, 9, v0
	v_cmp_gt_u32_e64 s2, 16, v0
	v_add_co_ci_u32_e64 v7, null, 0, v3, vcc_lo
	v_lshlrev_b32_e32 v8, 3, v1
	v_mov_b64_e32 v[0:1], 0
	s_cmp_lg_u32 s22, 1
	v_add_lshl_u32 v11, v5, v3, 2
	v_add_lshl_u32 v12, v6, v3, 2
	v_lshlrev_b32_e32 v13, 2, v7
	v_and_b32_e32 v14, 0x78, v4
	v_mov_b32_e32 v15, 0
	s_cselect_b32 s30, -1, 0
	s_lshl_b64 s[24:25], s[24:25], 3
	s_mov_b32 s23, s17
	s_lshl_b32 s31, s22, 9
	s_add_nc_u64 s[4:5], s[4:5], s[24:25]
	s_lshl_b64 s[14:15], s[14:15], 3
	s_lshl_b64 s[10:11], s[10:11], 3
	s_branch .LBB100_3
.LBB100_2:                              ;   in Loop: Header=BB100_3 Depth=1
	s_wait_xcnt 0x0
	s_or_b32 exec_lo, exec_lo, s24
	s_add_co_i32 s16, s16, 0x10000
	s_delay_alu instid0(SALU_CYCLE_1)
	s_cmp_lt_u32 s16, s28
	s_cbranch_scc0 .LBB100_20
.LBB100_3:                              ; =>This Inner Loop Header: Depth=1
	s_wait_dscnt 0x0
	v_mov_b64_e32 v[4:5], 0
	s_mov_b32 s33, exec_lo
	v_cmpx_gt_i32_e64 s29, v2
	s_cbranch_execz .LBB100_7
; %bb.4:                                ;   in Loop: Header=BB100_3 Depth=1
	v_ashrrev_i32_e32 v3, 31, v2
	s_lshl_b64 s[24:25], s[16:17], 3
	s_delay_alu instid0(SALU_CYCLE_1) | instskip(SKIP_1) | instid1(VALU_DEP_1)
	s_add_nc_u64 s[26:27], s[8:9], s[24:25]
	s_add_nc_u64 s[24:25], s[12:13], s[24:25]
	v_mul_u64_e32 v[4:5], s[20:21], v[2:3]
	v_mul_u64_e32 v[6:7], s[18:19], v[2:3]
	s_load_b64 s[34:35], s[26:27], 0x0
	s_load_b64 s[36:37], s[24:25], 0x0
	v_add_nc_u32_e32 v2, s31, v2
	s_wait_kmcnt 0x0
	s_wait_xcnt 0x0
	s_add_nc_u64 s[26:27], s[34:35], s[10:11]
	s_add_nc_u64 s[24:25], s[36:37], s[14:15]
	s_mov_b32 s34, exec_lo
	s_delay_alu instid0(VALU_DEP_3) | instskip(NEXT) | instid1(VALU_DEP_3)
	v_lshl_add_u64 v[4:5], v[4:5], 3, s[26:27]
	v_lshl_add_u64 v[6:7], v[6:7], 3, s[24:25]
	flat_load_b64 v[16:17], v[4:5]
	flat_load_b64 v[18:19], v[6:7]
	s_wait_loadcnt_dscnt 0x0
	s_wait_xcnt 0x1
	v_fma_f64 v[4:5], v[16:17], v[18:19], 0
	s_wait_xcnt 0x0
	v_cmpx_gt_i32_e64 s29, v2
	s_cbranch_execz .LBB100_6
; %bb.5:                                ;   in Loop: Header=BB100_3 Depth=1
	v_ashrrev_i32_e32 v3, 31, v2
	s_delay_alu instid0(VALU_DEP_1) | instskip(SKIP_2) | instid1(VALU_DEP_3)
	v_mul_u64_e32 v[6:7], s[20:21], v[2:3]
	v_mul_u64_e32 v[16:17], s[18:19], v[2:3]
	v_add_nc_u32_e32 v2, s31, v2
	v_lshl_add_u64 v[6:7], v[6:7], 3, s[26:27]
	s_delay_alu instid0(VALU_DEP_3)
	v_lshl_add_u64 v[16:17], v[16:17], 3, s[24:25]
	flat_load_b64 v[18:19], v[6:7]
	flat_load_b64 v[20:21], v[16:17]
	s_wait_loadcnt_dscnt 0x0
	v_fmac_f64_e32 v[4:5], v[18:19], v[20:21]
.LBB100_6:                              ;   in Loop: Header=BB100_3 Depth=1
	s_wait_xcnt 0x0
	s_or_b32 exec_lo, exec_lo, s34
.LBB100_7:                              ;   in Loop: Header=BB100_3 Depth=1
	s_delay_alu instid0(SALU_CYCLE_1)
	s_or_b32 exec_lo, exec_lo, s33
	s_and_saveexec_b32 s24, s0
; %bb.8:                                ;   in Loop: Header=BB100_3 Depth=1
	ds_store_b64 v8, v[0:1]
; %bb.9:                                ;   in Loop: Header=BB100_3 Depth=1
	s_or_b32 exec_lo, exec_lo, s24
	ds_bpermute_b32 v6, v9, v4
	ds_bpermute_b32 v7, v9, v5
	s_wait_dscnt 0x0
	s_barrier_signal -1
	s_barrier_wait -1
	v_add_f64_e32 v[4:5], v[4:5], v[6:7]
	ds_bpermute_b32 v6, v10, v4
	ds_bpermute_b32 v7, v10, v5
	s_wait_dscnt 0x0
	v_add_f64_e32 v[4:5], v[4:5], v[6:7]
	ds_bpermute_b32 v6, v11, v4
	ds_bpermute_b32 v7, v11, v5
	s_wait_dscnt 0x0
	;; [unrolled: 4-line block ×3, first 2 shown]
	v_add_f64_e32 v[4:5], v[4:5], v[6:7]
	ds_bpermute_b32 v6, v13, v4
	ds_bpermute_b32 v7, v13, v5
	s_and_saveexec_b32 s24, s1
	s_cbranch_execz .LBB100_11
; %bb.10:                               ;   in Loop: Header=BB100_3 Depth=1
	s_wait_dscnt 0x0
	v_add_f64_e32 v[4:5], v[4:5], v[6:7]
	ds_store_b64 v14, v[4:5]
.LBB100_11:                             ;   in Loop: Header=BB100_3 Depth=1
	s_or_b32 exec_lo, exec_lo, s24
	v_mov_b64_e32 v[4:5], 0
	s_wait_dscnt 0x0
	s_barrier_signal -1
	s_barrier_wait -1
	s_and_saveexec_b32 s24, s2
	s_cbranch_execnz .LBB100_14
; %bb.12:                               ;   in Loop: Header=BB100_3 Depth=1
	s_or_b32 exec_lo, exec_lo, s24
	s_and_saveexec_b32 s24, s0
	s_cbranch_execnz .LBB100_15
.LBB100_13:                             ;   in Loop: Header=BB100_3 Depth=1
	s_or_b32 exec_lo, exec_lo, s24
	s_and_saveexec_b32 s24, s3
	s_cbranch_execz .LBB100_2
	s_branch .LBB100_16
.LBB100_14:                             ;   in Loop: Header=BB100_3 Depth=1
	ds_load_b64 v[4:5], v8
	s_or_b32 exec_lo, exec_lo, s24
	s_and_saveexec_b32 s24, s0
	s_cbranch_execz .LBB100_13
.LBB100_15:                             ;   in Loop: Header=BB100_3 Depth=1
	s_wait_dscnt 0x0
	ds_bpermute_b32 v6, v10, v4
	ds_bpermute_b32 v7, v10, v5
	s_wait_dscnt 0x0
	v_add_f64_e32 v[4:5], v[4:5], v[6:7]
	ds_bpermute_b32 v6, v11, v4
	ds_bpermute_b32 v7, v11, v5
	s_wait_dscnt 0x0
	v_add_f64_e32 v[4:5], v[4:5], v[6:7]
	ds_bpermute_b32 v6, v12, v4
	ds_bpermute_b32 v7, v12, v5
	s_wait_dscnt 0x0
	v_add_f64_e32 v[4:5], v[4:5], v[6:7]
	ds_bpermute_b32 v6, v13, v4
	ds_bpermute_b32 v7, v13, v5
	s_wait_dscnt 0x0
	v_add_f64_e32 v[4:5], v[4:5], v[6:7]
	s_or_b32 exec_lo, exec_lo, s24
	s_and_saveexec_b32 s24, s3
	s_cbranch_execz .LBB100_2
.LBB100_16:                             ;   in Loop: Header=BB100_3 Depth=1
	s_and_b32 vcc_lo, exec_lo, s30
	s_mov_b32 s25, -1
	s_cbranch_vccz .LBB100_18
; %bb.17:                               ;   in Loop: Header=BB100_3 Depth=1
	s_mul_u64 s[26:27], s[22:23], s[16:17]
	s_mov_b32 s25, 0
	s_lshl_b64 s[26:27], s[26:27], 3
	s_delay_alu instid0(SALU_CYCLE_1)
	s_add_nc_u64 s[26:27], s[4:5], s[26:27]
	s_wait_dscnt 0x0
	global_store_b64 v15, v[4:5], s[26:27]
.LBB100_18:                             ;   in Loop: Header=BB100_3 Depth=1
	s_and_not1_b32 vcc_lo, exec_lo, s25
	s_cbranch_vccnz .LBB100_2
; %bb.19:                               ;   in Loop: Header=BB100_3 Depth=1
	s_wait_xcnt 0x0
	s_lshl_b64 s[26:27], s[16:17], 3
	s_delay_alu instid0(SALU_CYCLE_1)
	s_add_nc_u64 s[26:27], s[6:7], s[26:27]
	s_wait_dscnt 0x0
	global_store_b64 v15, v[4:5], s[26:27]
	s_branch .LBB100_2
.LBB100_20:
	s_endpgm
	.section	.rodata,"a",@progbits
	.p2align	6, 0x0
	.amdhsa_kernel _ZL18rocblas_dot_kernelIiLb0ELi512ELi2ELb0EdPKPKddEviT5_lT_lS4_lS5_liPT6_PT4_
		.amdhsa_group_segment_fixed_size 256
		.amdhsa_private_segment_fixed_size 0
		.amdhsa_kernarg_size 352
		.amdhsa_user_sgpr_count 2
		.amdhsa_user_sgpr_dispatch_ptr 0
		.amdhsa_user_sgpr_queue_ptr 0
		.amdhsa_user_sgpr_kernarg_segment_ptr 1
		.amdhsa_user_sgpr_dispatch_id 0
		.amdhsa_user_sgpr_kernarg_preload_length 0
		.amdhsa_user_sgpr_kernarg_preload_offset 0
		.amdhsa_user_sgpr_private_segment_size 0
		.amdhsa_wavefront_size32 1
		.amdhsa_uses_dynamic_stack 0
		.amdhsa_enable_private_segment 0
		.amdhsa_system_sgpr_workgroup_id_x 1
		.amdhsa_system_sgpr_workgroup_id_y 0
		.amdhsa_system_sgpr_workgroup_id_z 1
		.amdhsa_system_sgpr_workgroup_info 0
		.amdhsa_system_vgpr_workitem_id 0
		.amdhsa_next_free_vgpr 22
		.amdhsa_next_free_sgpr 38
		.amdhsa_named_barrier_count 0
		.amdhsa_reserve_vcc 1
		.amdhsa_float_round_mode_32 0
		.amdhsa_float_round_mode_16_64 0
		.amdhsa_float_denorm_mode_32 3
		.amdhsa_float_denorm_mode_16_64 3
		.amdhsa_fp16_overflow 0
		.amdhsa_memory_ordered 1
		.amdhsa_forward_progress 1
		.amdhsa_inst_pref_size 9
		.amdhsa_round_robin_scheduling 0
		.amdhsa_exception_fp_ieee_invalid_op 0
		.amdhsa_exception_fp_denorm_src 0
		.amdhsa_exception_fp_ieee_div_zero 0
		.amdhsa_exception_fp_ieee_overflow 0
		.amdhsa_exception_fp_ieee_underflow 0
		.amdhsa_exception_fp_ieee_inexact 0
		.amdhsa_exception_int_div_zero 0
	.end_amdhsa_kernel
	.section	.text._ZL18rocblas_dot_kernelIiLb0ELi512ELi2ELb0EdPKPKddEviT5_lT_lS4_lS5_liPT6_PT4_,"axG",@progbits,_ZL18rocblas_dot_kernelIiLb0ELi512ELi2ELb0EdPKPKddEviT5_lT_lS4_lS5_liPT6_PT4_,comdat
.Lfunc_end100:
	.size	_ZL18rocblas_dot_kernelIiLb0ELi512ELi2ELb0EdPKPKddEviT5_lT_lS4_lS5_liPT6_PT4_, .Lfunc_end100-_ZL18rocblas_dot_kernelIiLb0ELi512ELi2ELb0EdPKPKddEviT5_lT_lS4_lS5_liPT6_PT4_
                                        ; -- End function
	.set _ZL18rocblas_dot_kernelIiLb0ELi512ELi2ELb0EdPKPKddEviT5_lT_lS4_lS5_liPT6_PT4_.num_vgpr, 22
	.set _ZL18rocblas_dot_kernelIiLb0ELi512ELi2ELb0EdPKPKddEviT5_lT_lS4_lS5_liPT6_PT4_.num_agpr, 0
	.set _ZL18rocblas_dot_kernelIiLb0ELi512ELi2ELb0EdPKPKddEviT5_lT_lS4_lS5_liPT6_PT4_.numbered_sgpr, 38
	.set _ZL18rocblas_dot_kernelIiLb0ELi512ELi2ELb0EdPKPKddEviT5_lT_lS4_lS5_liPT6_PT4_.num_named_barrier, 0
	.set _ZL18rocblas_dot_kernelIiLb0ELi512ELi2ELb0EdPKPKddEviT5_lT_lS4_lS5_liPT6_PT4_.private_seg_size, 0
	.set _ZL18rocblas_dot_kernelIiLb0ELi512ELi2ELb0EdPKPKddEviT5_lT_lS4_lS5_liPT6_PT4_.uses_vcc, 1
	.set _ZL18rocblas_dot_kernelIiLb0ELi512ELi2ELb0EdPKPKddEviT5_lT_lS4_lS5_liPT6_PT4_.uses_flat_scratch, 0
	.set _ZL18rocblas_dot_kernelIiLb0ELi512ELi2ELb0EdPKPKddEviT5_lT_lS4_lS5_liPT6_PT4_.has_dyn_sized_stack, 0
	.set _ZL18rocblas_dot_kernelIiLb0ELi512ELi2ELb0EdPKPKddEviT5_lT_lS4_lS5_liPT6_PT4_.has_recursion, 0
	.set _ZL18rocblas_dot_kernelIiLb0ELi512ELi2ELb0EdPKPKddEviT5_lT_lS4_lS5_liPT6_PT4_.has_indirect_call, 0
	.section	.AMDGPU.csdata,"",@progbits
; Kernel info:
; codeLenInByte = 1104
; TotalNumSgprs: 40
; NumVgprs: 22
; ScratchSize: 0
; MemoryBound: 0
; FloatMode: 240
; IeeeMode: 1
; LDSByteSize: 256 bytes/workgroup (compile time only)
; SGPRBlocks: 0
; VGPRBlocks: 1
; NumSGPRsForWavesPerEU: 40
; NumVGPRsForWavesPerEU: 22
; NamedBarCnt: 0
; Occupancy: 16
; WaveLimiterHint : 1
; COMPUTE_PGM_RSRC2:SCRATCH_EN: 0
; COMPUTE_PGM_RSRC2:USER_SGPR: 2
; COMPUTE_PGM_RSRC2:TRAP_HANDLER: 0
; COMPUTE_PGM_RSRC2:TGID_X_EN: 1
; COMPUTE_PGM_RSRC2:TGID_Y_EN: 0
; COMPUTE_PGM_RSRC2:TGID_Z_EN: 1
; COMPUTE_PGM_RSRC2:TIDIG_COMP_CNT: 0
	.section	.text._ZL24rocblas_dot_kernel_magsqIiLb0ELi512ELi2ELb0EdPKPKddEviT5_lT_liPT6_PT4_,"axG",@progbits,_ZL24rocblas_dot_kernel_magsqIiLb0ELi512ELi2ELb0EdPKPKddEviT5_lT_liPT6_PT4_,comdat
	.globl	_ZL24rocblas_dot_kernel_magsqIiLb0ELi512ELi2ELb0EdPKPKddEviT5_lT_liPT6_PT4_ ; -- Begin function _ZL24rocblas_dot_kernel_magsqIiLb0ELi512ELi2ELb0EdPKPKddEviT5_lT_liPT6_PT4_
	.p2align	8
	.type	_ZL24rocblas_dot_kernel_magsqIiLb0ELi512ELi2ELb0EdPKPKddEviT5_lT_liPT6_PT4_,@function
_ZL24rocblas_dot_kernel_magsqIiLb0ELi512ELi2ELb0EdPKPKddEviT5_lT_liPT6_PT4_: ; @_ZL24rocblas_dot_kernel_magsqIiLb0ELi512ELi2ELb0EdPKPKddEviT5_lT_liPT6_PT4_
; %bb.0:
	s_load_b32 s20, s[0:1], 0x28
	s_bfe_u32 s2, ttmp6, 0x40014
	s_lshr_b32 s3, ttmp7, 16
	s_add_co_i32 s2, s2, 1
	s_bfe_u32 s5, ttmp6, 0x40008
	s_mul_i32 s4, s3, s2
	s_getreg_b32 s2, hwreg(HW_REG_IB_STS2, 6, 4)
	s_add_co_i32 s5, s5, s4
	s_cmp_eq_u32 s2, 0
	s_mov_b32 s13, 0
	s_cselect_b32 s12, s3, s5
	s_wait_kmcnt 0x0
	s_cmp_ge_u32 s12, s20
	s_cbranch_scc1 .LBB101_20
; %bb.1:
	v_mbcnt_lo_u32_b32 v3, -1, 0
	s_clause 0x4
	s_load_b32 s14, s[0:1], 0x18
	s_load_b128 s[4:7], s[0:1], 0x30
	s_load_b32 s16, s[0:1], 0x40
	s_load_b128 s[8:11], s[0:1], 0x8
	s_load_b32 s21, s[0:1], 0x0
	s_wait_xcnt 0x0
	s_bfe_u32 s0, ttmp6, 0x4000c
	s_and_b32 s1, ttmp6, 15
	s_add_co_i32 s3, s0, 1
	v_cmp_gt_u32_e32 vcc_lo, 24, v3
	s_mul_i32 s3, ttmp9, s3
	v_and_b32_e32 v1, 31, v0
	s_add_co_i32 s1, s1, s3
	v_cmp_gt_u32_e64 s0, 32, v0
	v_cndmask_b32_e64 v4, 0, 8, vcc_lo
	v_cmp_gt_u32_e32 vcc_lo, 28, v3
	v_cmp_eq_u32_e64 s3, 0, v0
	s_mov_b32 s19, s13
	v_lshl_or_b32 v9, v3, 2, 64
	v_add_lshl_u32 v10, v4, v3, 2
	v_cndmask_b32_e64 v5, 0, 4, vcc_lo
	v_cmp_gt_u32_e32 vcc_lo, 30, v3
	s_wait_kmcnt 0x0
	s_ashr_i32 s15, s14, 31
	s_cmp_eq_u32 s2, 0
	v_lshrrev_b32_e32 v4, 2, v0
	s_cselect_b32 s18, ttmp9, s1
	v_cndmask_b32_e64 v6, 0, 2, vcc_lo
	v_cmp_ne_u32_e32 vcc_lo, 31, v3
	v_lshl_or_b32 v2, s18, 9, v0
	v_cmp_eq_u32_e64 s1, 0, v1
	v_cmp_gt_u32_e64 s2, 16, v0
	s_cmp_lg_u32 s16, 1
	v_add_co_ci_u32_e64 v7, null, 0, v3, vcc_lo
	v_lshlrev_b32_e32 v8, 3, v1
	v_mov_b64_e32 v[0:1], 0
	v_add_lshl_u32 v11, v5, v3, 2
	v_add_lshl_u32 v12, v6, v3, 2
	v_lshlrev_b32_e32 v13, 2, v7
	v_and_b32_e32 v14, 0x78, v4
	v_mov_b32_e32 v15, 0
	s_cselect_b32 s22, -1, 0
	s_lshl_b64 s[18:19], s[18:19], 3
	s_mov_b32 s17, s13
	s_lshl_b32 s23, s16, 9
	s_add_nc_u64 s[4:5], s[4:5], s[18:19]
	s_lshl_b64 s[10:11], s[10:11], 3
	s_branch .LBB101_3
.LBB101_2:                              ;   in Loop: Header=BB101_3 Depth=1
	s_wait_xcnt 0x0
	s_or_b32 exec_lo, exec_lo, s18
	s_add_co_i32 s12, s12, 0x10000
	s_delay_alu instid0(SALU_CYCLE_1)
	s_cmp_lt_u32 s12, s20
	s_cbranch_scc0 .LBB101_20
.LBB101_3:                              ; =>This Inner Loop Header: Depth=1
	s_wait_dscnt 0x0
	v_mov_b64_e32 v[4:5], 0
	s_mov_b32 s24, exec_lo
	v_cmpx_gt_i32_e64 s21, v2
	s_cbranch_execz .LBB101_7
; %bb.4:                                ;   in Loop: Header=BB101_3 Depth=1
	v_ashrrev_i32_e32 v3, 31, v2
	s_lshl_b64 s[18:19], s[12:13], 3
	s_mov_b32 s25, exec_lo
	s_add_nc_u64 s[18:19], s[8:9], s[18:19]
	s_load_b64 s[18:19], s[18:19], 0x0
	v_mul_u64_e32 v[4:5], s[14:15], v[2:3]
	v_add_nc_u32_e32 v2, s23, v2
	s_wait_kmcnt 0x0
	s_wait_xcnt 0x0
	s_add_nc_u64 s[18:19], s[18:19], s[10:11]
	s_delay_alu instid0(VALU_DEP_2) | instid1(SALU_CYCLE_1)
	v_lshl_add_u64 v[4:5], v[4:5], 3, s[18:19]
	flat_load_b64 v[4:5], v[4:5]
	s_wait_loadcnt_dscnt 0x0
	s_wait_xcnt 0x0
	v_mul_f64_e32 v[4:5], v[4:5], v[4:5]
	v_cmpx_gt_i32_e64 s21, v2
	s_cbranch_execz .LBB101_6
; %bb.5:                                ;   in Loop: Header=BB101_3 Depth=1
	v_ashrrev_i32_e32 v3, 31, v2
	s_delay_alu instid0(VALU_DEP_1) | instskip(SKIP_1) | instid1(VALU_DEP_2)
	v_mul_u64_e32 v[6:7], s[14:15], v[2:3]
	v_add_nc_u32_e32 v2, s23, v2
	v_lshl_add_u64 v[6:7], v[6:7], 3, s[18:19]
	flat_load_b64 v[6:7], v[6:7]
	s_wait_loadcnt_dscnt 0x0
	v_fmac_f64_e32 v[4:5], v[6:7], v[6:7]
.LBB101_6:                              ;   in Loop: Header=BB101_3 Depth=1
	s_wait_xcnt 0x0
	s_or_b32 exec_lo, exec_lo, s25
.LBB101_7:                              ;   in Loop: Header=BB101_3 Depth=1
	s_delay_alu instid0(SALU_CYCLE_1)
	s_or_b32 exec_lo, exec_lo, s24
	s_and_saveexec_b32 s18, s0
; %bb.8:                                ;   in Loop: Header=BB101_3 Depth=1
	ds_store_b64 v8, v[0:1]
; %bb.9:                                ;   in Loop: Header=BB101_3 Depth=1
	s_or_b32 exec_lo, exec_lo, s18
	ds_bpermute_b32 v6, v9, v4
	ds_bpermute_b32 v7, v9, v5
	s_wait_dscnt 0x0
	s_barrier_signal -1
	s_barrier_wait -1
	v_add_f64_e32 v[4:5], v[4:5], v[6:7]
	ds_bpermute_b32 v6, v10, v4
	ds_bpermute_b32 v7, v10, v5
	s_wait_dscnt 0x0
	v_add_f64_e32 v[4:5], v[4:5], v[6:7]
	ds_bpermute_b32 v6, v11, v4
	ds_bpermute_b32 v7, v11, v5
	s_wait_dscnt 0x0
	;; [unrolled: 4-line block ×3, first 2 shown]
	v_add_f64_e32 v[4:5], v[4:5], v[6:7]
	ds_bpermute_b32 v6, v13, v4
	ds_bpermute_b32 v7, v13, v5
	s_and_saveexec_b32 s18, s1
	s_cbranch_execz .LBB101_11
; %bb.10:                               ;   in Loop: Header=BB101_3 Depth=1
	s_wait_dscnt 0x0
	v_add_f64_e32 v[4:5], v[4:5], v[6:7]
	ds_store_b64 v14, v[4:5]
.LBB101_11:                             ;   in Loop: Header=BB101_3 Depth=1
	s_or_b32 exec_lo, exec_lo, s18
	v_mov_b64_e32 v[4:5], 0
	s_wait_dscnt 0x0
	s_barrier_signal -1
	s_barrier_wait -1
	s_and_saveexec_b32 s18, s2
	s_cbranch_execnz .LBB101_14
; %bb.12:                               ;   in Loop: Header=BB101_3 Depth=1
	s_or_b32 exec_lo, exec_lo, s18
	s_and_saveexec_b32 s18, s0
	s_cbranch_execnz .LBB101_15
.LBB101_13:                             ;   in Loop: Header=BB101_3 Depth=1
	s_or_b32 exec_lo, exec_lo, s18
	s_and_saveexec_b32 s18, s3
	s_cbranch_execz .LBB101_2
	s_branch .LBB101_16
.LBB101_14:                             ;   in Loop: Header=BB101_3 Depth=1
	ds_load_b64 v[4:5], v8
	s_or_b32 exec_lo, exec_lo, s18
	s_and_saveexec_b32 s18, s0
	s_cbranch_execz .LBB101_13
.LBB101_15:                             ;   in Loop: Header=BB101_3 Depth=1
	s_wait_dscnt 0x0
	ds_bpermute_b32 v6, v10, v4
	ds_bpermute_b32 v7, v10, v5
	s_wait_dscnt 0x0
	v_add_f64_e32 v[4:5], v[4:5], v[6:7]
	ds_bpermute_b32 v6, v11, v4
	ds_bpermute_b32 v7, v11, v5
	s_wait_dscnt 0x0
	v_add_f64_e32 v[4:5], v[4:5], v[6:7]
	;; [unrolled: 4-line block ×4, first 2 shown]
	s_or_b32 exec_lo, exec_lo, s18
	s_and_saveexec_b32 s18, s3
	s_cbranch_execz .LBB101_2
.LBB101_16:                             ;   in Loop: Header=BB101_3 Depth=1
	s_and_b32 vcc_lo, exec_lo, s22
	s_mov_b32 s19, -1
	s_cbranch_vccz .LBB101_18
; %bb.17:                               ;   in Loop: Header=BB101_3 Depth=1
	s_mul_u64 s[24:25], s[16:17], s[12:13]
	s_mov_b32 s19, 0
	s_lshl_b64 s[24:25], s[24:25], 3
	s_delay_alu instid0(SALU_CYCLE_1)
	s_add_nc_u64 s[24:25], s[4:5], s[24:25]
	s_wait_dscnt 0x0
	global_store_b64 v15, v[4:5], s[24:25]
.LBB101_18:                             ;   in Loop: Header=BB101_3 Depth=1
	s_and_not1_b32 vcc_lo, exec_lo, s19
	s_cbranch_vccnz .LBB101_2
; %bb.19:                               ;   in Loop: Header=BB101_3 Depth=1
	s_wait_xcnt 0x0
	s_lshl_b64 s[24:25], s[12:13], 3
	s_delay_alu instid0(SALU_CYCLE_1)
	s_add_nc_u64 s[24:25], s[6:7], s[24:25]
	s_wait_dscnt 0x0
	global_store_b64 v15, v[4:5], s[24:25]
	s_branch .LBB101_2
.LBB101_20:
	s_endpgm
	.section	.rodata,"a",@progbits
	.p2align	6, 0x0
	.amdhsa_kernel _ZL24rocblas_dot_kernel_magsqIiLb0ELi512ELi2ELb0EdPKPKddEviT5_lT_liPT6_PT4_
		.amdhsa_group_segment_fixed_size 256
		.amdhsa_private_segment_fixed_size 0
		.amdhsa_kernarg_size 320
		.amdhsa_user_sgpr_count 2
		.amdhsa_user_sgpr_dispatch_ptr 0
		.amdhsa_user_sgpr_queue_ptr 0
		.amdhsa_user_sgpr_kernarg_segment_ptr 1
		.amdhsa_user_sgpr_dispatch_id 0
		.amdhsa_user_sgpr_kernarg_preload_length 0
		.amdhsa_user_sgpr_kernarg_preload_offset 0
		.amdhsa_user_sgpr_private_segment_size 0
		.amdhsa_wavefront_size32 1
		.amdhsa_uses_dynamic_stack 0
		.amdhsa_enable_private_segment 0
		.amdhsa_system_sgpr_workgroup_id_x 1
		.amdhsa_system_sgpr_workgroup_id_y 0
		.amdhsa_system_sgpr_workgroup_id_z 1
		.amdhsa_system_sgpr_workgroup_info 0
		.amdhsa_system_vgpr_workitem_id 0
		.amdhsa_next_free_vgpr 16
		.amdhsa_next_free_sgpr 26
		.amdhsa_named_barrier_count 0
		.amdhsa_reserve_vcc 1
		.amdhsa_float_round_mode_32 0
		.amdhsa_float_round_mode_16_64 0
		.amdhsa_float_denorm_mode_32 3
		.amdhsa_float_denorm_mode_16_64 3
		.amdhsa_fp16_overflow 0
		.amdhsa_memory_ordered 1
		.amdhsa_forward_progress 1
		.amdhsa_inst_pref_size 8
		.amdhsa_round_robin_scheduling 0
		.amdhsa_exception_fp_ieee_invalid_op 0
		.amdhsa_exception_fp_denorm_src 0
		.amdhsa_exception_fp_ieee_div_zero 0
		.amdhsa_exception_fp_ieee_overflow 0
		.amdhsa_exception_fp_ieee_underflow 0
		.amdhsa_exception_fp_ieee_inexact 0
		.amdhsa_exception_int_div_zero 0
	.end_amdhsa_kernel
	.section	.text._ZL24rocblas_dot_kernel_magsqIiLb0ELi512ELi2ELb0EdPKPKddEviT5_lT_liPT6_PT4_,"axG",@progbits,_ZL24rocblas_dot_kernel_magsqIiLb0ELi512ELi2ELb0EdPKPKddEviT5_lT_liPT6_PT4_,comdat
.Lfunc_end101:
	.size	_ZL24rocblas_dot_kernel_magsqIiLb0ELi512ELi2ELb0EdPKPKddEviT5_lT_liPT6_PT4_, .Lfunc_end101-_ZL24rocblas_dot_kernel_magsqIiLb0ELi512ELi2ELb0EdPKPKddEviT5_lT_liPT6_PT4_
                                        ; -- End function
	.set _ZL24rocblas_dot_kernel_magsqIiLb0ELi512ELi2ELb0EdPKPKddEviT5_lT_liPT6_PT4_.num_vgpr, 16
	.set _ZL24rocblas_dot_kernel_magsqIiLb0ELi512ELi2ELb0EdPKPKddEviT5_lT_liPT6_PT4_.num_agpr, 0
	.set _ZL24rocblas_dot_kernel_magsqIiLb0ELi512ELi2ELb0EdPKPKddEviT5_lT_liPT6_PT4_.numbered_sgpr, 26
	.set _ZL24rocblas_dot_kernel_magsqIiLb0ELi512ELi2ELb0EdPKPKddEviT5_lT_liPT6_PT4_.num_named_barrier, 0
	.set _ZL24rocblas_dot_kernel_magsqIiLb0ELi512ELi2ELb0EdPKPKddEviT5_lT_liPT6_PT4_.private_seg_size, 0
	.set _ZL24rocblas_dot_kernel_magsqIiLb0ELi512ELi2ELb0EdPKPKddEviT5_lT_liPT6_PT4_.uses_vcc, 1
	.set _ZL24rocblas_dot_kernel_magsqIiLb0ELi512ELi2ELb0EdPKPKddEviT5_lT_liPT6_PT4_.uses_flat_scratch, 0
	.set _ZL24rocblas_dot_kernel_magsqIiLb0ELi512ELi2ELb0EdPKPKddEviT5_lT_liPT6_PT4_.has_dyn_sized_stack, 0
	.set _ZL24rocblas_dot_kernel_magsqIiLb0ELi512ELi2ELb0EdPKPKddEviT5_lT_liPT6_PT4_.has_recursion, 0
	.set _ZL24rocblas_dot_kernel_magsqIiLb0ELi512ELi2ELb0EdPKPKddEviT5_lT_liPT6_PT4_.has_indirect_call, 0
	.section	.AMDGPU.csdata,"",@progbits
; Kernel info:
; codeLenInByte = 1000
; TotalNumSgprs: 28
; NumVgprs: 16
; ScratchSize: 0
; MemoryBound: 0
; FloatMode: 240
; IeeeMode: 1
; LDSByteSize: 256 bytes/workgroup (compile time only)
; SGPRBlocks: 0
; VGPRBlocks: 0
; NumSGPRsForWavesPerEU: 28
; NumVGPRsForWavesPerEU: 16
; NamedBarCnt: 0
; Occupancy: 16
; WaveLimiterHint : 1
; COMPUTE_PGM_RSRC2:SCRATCH_EN: 0
; COMPUTE_PGM_RSRC2:USER_SGPR: 2
; COMPUTE_PGM_RSRC2:TRAP_HANDLER: 0
; COMPUTE_PGM_RSRC2:TGID_X_EN: 1
; COMPUTE_PGM_RSRC2:TGID_Y_EN: 0
; COMPUTE_PGM_RSRC2:TGID_Z_EN: 1
; COMPUTE_PGM_RSRC2:TIDIG_COMP_CNT: 0
	.section	.text._ZL28rocblas_dot_batched_4_kernelIiLi32ELi4ELb0E19rocblas_complex_numIfES1_PKPKS1_EviT5_lT_lS6_lS7_liPT4_,"axG",@progbits,_ZL28rocblas_dot_batched_4_kernelIiLi32ELi4ELb0E19rocblas_complex_numIfES1_PKPKS1_EviT5_lT_lS6_lS7_liPT4_,comdat
	.globl	_ZL28rocblas_dot_batched_4_kernelIiLi32ELi4ELb0E19rocblas_complex_numIfES1_PKPKS1_EviT5_lT_lS6_lS7_liPT4_ ; -- Begin function _ZL28rocblas_dot_batched_4_kernelIiLi32ELi4ELb0E19rocblas_complex_numIfES1_PKPKS1_EviT5_lT_lS6_lS7_liPT4_
	.p2align	8
	.type	_ZL28rocblas_dot_batched_4_kernelIiLi32ELi4ELb0E19rocblas_complex_numIfES1_PKPKS1_EviT5_lT_lS6_lS7_liPT4_,@function
_ZL28rocblas_dot_batched_4_kernelIiLi32ELi4ELb0E19rocblas_complex_numIfES1_PKPKS1_EviT5_lT_lS6_lS7_liPT4_: ; @_ZL28rocblas_dot_batched_4_kernelIiLi32ELi4ELb0E19rocblas_complex_numIfES1_PKPKS1_EviT5_lT_lS6_lS7_liPT4_
; %bb.0:
	s_load_b32 s2, s[0:1], 0x48
	s_bfe_u32 s3, ttmp6, 0x4000c
	s_and_b32 s4, ttmp6, 15
	s_add_co_i32 s3, s3, 1
	v_bfe_u32 v1, v0, 10, 10
	s_mul_i32 s3, ttmp9, s3
	s_delay_alu instid0(SALU_CYCLE_1) | instskip(SKIP_1) | instid1(SALU_CYCLE_1)
	s_add_co_i32 s4, s4, s3
	s_getreg_b32 s3, hwreg(HW_REG_IB_STS2, 6, 4)
	s_cmp_eq_u32 s3, 0
	s_cselect_b32 s3, ttmp9, s4
	s_delay_alu instid0(SALU_CYCLE_1) | instskip(SKIP_1) | instid1(VALU_DEP_1)
	v_lshl_add_u32 v2, s3, 2, v1
	s_wait_kmcnt 0x0
	v_cmp_gt_u32_e32 vcc_lo, s2, v2
	s_and_saveexec_b32 s2, vcc_lo
	s_cbranch_execz .LBB102_7
; %bb.1:
	s_load_b32 s6, s[0:1], 0x0
	v_mov_b32_e32 v3, 0
	v_and_b32_e32 v0, 0x3ff, v0
	s_mov_b32 s7, exec_lo
	s_delay_alu instid0(VALU_DEP_2) | instskip(SKIP_1) | instid1(VALU_DEP_2)
	v_dual_mov_b32 v5, v3 :: v_dual_mov_b32 v4, v3
	s_wait_kmcnt 0x0
	v_cmpx_gt_i32_e64 s6, v0
	s_cbranch_execz .LBB102_5
; %bb.2:
	s_clause 0x1
	s_load_b128 s[8:11], s[0:1], 0x28
	s_load_b128 s[12:15], s[0:1], 0x8
	v_lshlrev_b64_e32 v[4:5], 3, v[2:3]
	s_clause 0x1
	s_load_b32 s4, s[0:1], 0x38
	s_load_b32 s2, s[0:1], 0x18
	v_mov_b32_e32 v1, 0
	s_wait_kmcnt 0x0
	s_delay_alu instid0(VALU_DEP_2)
	v_add_nc_u64_e32 v[6:7], s[8:9], v[4:5]
	v_add_nc_u64_e32 v[4:5], s[12:13], v[4:5]
	s_lshl_b64 s[8:9], s[10:11], 3
	s_ashr_i32 s5, s4, 31
	s_ashr_i32 s3, s2, 31
	global_load_b64 v[8:9], v[6:7], off
	global_load_b64 v[10:11], v[4:5], off
	s_wait_xcnt 0x0
	v_mul_u64_e32 v[4:5], s[4:5], v[0:1]
	v_mul_u64_e32 v[6:7], s[2:3], v[0:1]
	s_lshl_b64 s[2:3], s[2:3], 8
	s_lshl_b64 s[4:5], s[4:5], 8
	s_delay_alu instid0(VALU_DEP_2)
	v_lshl_add_u64 v[4:5], v[4:5], 3, s[8:9]
	s_lshl_b64 s[8:9], s[14:15], 3
	s_delay_alu instid0(VALU_DEP_2) | instid1(SALU_CYCLE_1)
	v_lshl_add_u64 v[6:7], v[6:7], 3, s[8:9]
	s_mov_b32 s8, 0
	s_wait_loadcnt 0x1
	v_add_nc_u64_e32 v[4:5], v[8:9], v[4:5]
	s_wait_loadcnt 0x0
	v_add_nc_u64_e32 v[6:7], v[10:11], v[6:7]
	v_mov_b32_e32 v10, v0
	s_delay_alu instid0(VALU_DEP_3)
	v_add_nc_u64_e32 v[8:9], 4, v[4:5]
	v_dual_mov_b32 v4, v1 :: v_dual_mov_b32 v5, v1
.LBB102_3:                              ; =>This Inner Loop Header: Depth=1
	flat_load_b64 v[12:13], v[8:9] offset:-4
	flat_load_b64 v[14:15], v[6:7]
	s_wait_xcnt 0x0
	v_add_nc_u64_e32 v[6:7], s[2:3], v[6:7]
	v_add_nc_u64_e32 v[8:9], s[4:5], v[8:9]
	s_wait_loadcnt_dscnt 0x0
	v_pk_mul_f32 v[16:17], v[14:15], v[12:13] op_sel:[1,1] op_sel_hi:[0,1]
	s_delay_alu instid0(VALU_DEP_1) | instskip(SKIP_2) | instid1(VALU_DEP_3)
	v_pk_fma_f32 v[18:19], v[14:15], v[12:13], v[16:17] op_sel_hi:[1,0,1]
	v_add_nc_u32_e32 v10, 32, v10
	v_pk_fma_f32 v[12:13], v[14:15], v[12:13], v[16:17] neg_lo:[0,0,1] neg_hi:[0,0,1]
	v_mov_b32_e32 v13, v19
	s_delay_alu instid0(VALU_DEP_3) | instskip(NEXT) | instid1(VALU_DEP_2)
	v_cmp_le_i32_e32 vcc_lo, s6, v10
	v_pk_add_f32 v[4:5], v[4:5], v[12:13]
	s_or_b32 s8, vcc_lo, s8
	s_delay_alu instid0(SALU_CYCLE_1)
	s_and_not1_b32 exec_lo, exec_lo, s8
	s_cbranch_execnz .LBB102_3
; %bb.4:
	s_or_b32 exec_lo, exec_lo, s8
.LBB102_5:
	s_delay_alu instid0(SALU_CYCLE_1) | instskip(SKIP_4) | instid1(VALU_DEP_1)
	s_or_b32 exec_lo, exec_lo, s7
	v_mbcnt_lo_u32_b32 v1, -1, 0
	s_load_b64 s[0:1], s[0:1], 0x50
	s_barrier_signal -1
	s_barrier_wait -1
	v_lshl_or_b32 v7, v1, 2, 64
	v_cmp_gt_u32_e32 vcc_lo, 24, v1
	ds_bpermute_b32 v6, v7, v4
	ds_bpermute_b32 v7, v7, v5
	v_cndmask_b32_e64 v8, 0, 8, vcc_lo
	v_cmp_gt_u32_e32 vcc_lo, 28, v1
	s_delay_alu instid0(VALU_DEP_2)
	v_add_lshl_u32 v8, v8, v1, 2
	s_wait_dscnt 0x0
	v_pk_add_f32 v[4:5], v[4:5], v[6:7]
	ds_bpermute_b32 v6, v8, v4
	ds_bpermute_b32 v7, v8, v5
	v_cndmask_b32_e64 v8, 0, 4, vcc_lo
	v_cmp_gt_u32_e32 vcc_lo, 30, v1
	s_delay_alu instid0(VALU_DEP_2)
	v_add_lshl_u32 v8, v8, v1, 2
	s_wait_dscnt 0x0
	v_pk_add_f32 v[4:5], v[4:5], v[6:7]
	ds_bpermute_b32 v6, v8, v4
	ds_bpermute_b32 v7, v8, v5
	v_cndmask_b32_e64 v8, 0, 2, vcc_lo
	v_cmp_ne_u32_e32 vcc_lo, 31, v1
	s_delay_alu instid0(VALU_DEP_2) | instskip(SKIP_2) | instid1(VALU_DEP_2)
	v_add_lshl_u32 v8, v8, v1, 2
	v_add_co_ci_u32_e64 v1, null, 0, v1, vcc_lo
	v_cmp_eq_u32_e32 vcc_lo, 0, v0
	v_lshlrev_b32_e32 v1, 2, v1
	s_wait_dscnt 0x0
	v_pk_add_f32 v[4:5], v[4:5], v[6:7]
	ds_bpermute_b32 v6, v8, v4
	ds_bpermute_b32 v7, v8, v5
	s_wait_dscnt 0x0
	v_pk_add_f32 v[4:5], v[4:5], v[6:7]
	ds_bpermute_b32 v6, v1, v4
	ds_bpermute_b32 v7, v1, v5
	s_and_b32 exec_lo, exec_lo, vcc_lo
	s_cbranch_execz .LBB102_7
; %bb.6:
	s_wait_kmcnt 0x0
	v_lshl_add_u64 v[0:1], v[2:3], 3, s[0:1]
	s_wait_dscnt 0x0
	v_pk_add_f32 v[2:3], v[4:5], v[6:7]
	global_store_b64 v[0:1], v[2:3], off
.LBB102_7:
	s_endpgm
	.section	.rodata,"a",@progbits
	.p2align	6, 0x0
	.amdhsa_kernel _ZL28rocblas_dot_batched_4_kernelIiLi32ELi4ELb0E19rocblas_complex_numIfES1_PKPKS1_EviT5_lT_lS6_lS7_liPT4_
		.amdhsa_group_segment_fixed_size 0
		.amdhsa_private_segment_fixed_size 0
		.amdhsa_kernarg_size 88
		.amdhsa_user_sgpr_count 2
		.amdhsa_user_sgpr_dispatch_ptr 0
		.amdhsa_user_sgpr_queue_ptr 0
		.amdhsa_user_sgpr_kernarg_segment_ptr 1
		.amdhsa_user_sgpr_dispatch_id 0
		.amdhsa_user_sgpr_kernarg_preload_length 0
		.amdhsa_user_sgpr_kernarg_preload_offset 0
		.amdhsa_user_sgpr_private_segment_size 0
		.amdhsa_wavefront_size32 1
		.amdhsa_uses_dynamic_stack 0
		.amdhsa_enable_private_segment 0
		.amdhsa_system_sgpr_workgroup_id_x 1
		.amdhsa_system_sgpr_workgroup_id_y 0
		.amdhsa_system_sgpr_workgroup_id_z 0
		.amdhsa_system_sgpr_workgroup_info 0
		.amdhsa_system_vgpr_workitem_id 1
		.amdhsa_next_free_vgpr 20
		.amdhsa_next_free_sgpr 16
		.amdhsa_named_barrier_count 0
		.amdhsa_reserve_vcc 1
		.amdhsa_float_round_mode_32 0
		.amdhsa_float_round_mode_16_64 0
		.amdhsa_float_denorm_mode_32 3
		.amdhsa_float_denorm_mode_16_64 3
		.amdhsa_fp16_overflow 0
		.amdhsa_memory_ordered 1
		.amdhsa_forward_progress 1
		.amdhsa_inst_pref_size 6
		.amdhsa_round_robin_scheduling 0
		.amdhsa_exception_fp_ieee_invalid_op 0
		.amdhsa_exception_fp_denorm_src 0
		.amdhsa_exception_fp_ieee_div_zero 0
		.amdhsa_exception_fp_ieee_overflow 0
		.amdhsa_exception_fp_ieee_underflow 0
		.amdhsa_exception_fp_ieee_inexact 0
		.amdhsa_exception_int_div_zero 0
	.end_amdhsa_kernel
	.section	.text._ZL28rocblas_dot_batched_4_kernelIiLi32ELi4ELb0E19rocblas_complex_numIfES1_PKPKS1_EviT5_lT_lS6_lS7_liPT4_,"axG",@progbits,_ZL28rocblas_dot_batched_4_kernelIiLi32ELi4ELb0E19rocblas_complex_numIfES1_PKPKS1_EviT5_lT_lS6_lS7_liPT4_,comdat
.Lfunc_end102:
	.size	_ZL28rocblas_dot_batched_4_kernelIiLi32ELi4ELb0E19rocblas_complex_numIfES1_PKPKS1_EviT5_lT_lS6_lS7_liPT4_, .Lfunc_end102-_ZL28rocblas_dot_batched_4_kernelIiLi32ELi4ELb0E19rocblas_complex_numIfES1_PKPKS1_EviT5_lT_lS6_lS7_liPT4_
                                        ; -- End function
	.set _ZL28rocblas_dot_batched_4_kernelIiLi32ELi4ELb0E19rocblas_complex_numIfES1_PKPKS1_EviT5_lT_lS6_lS7_liPT4_.num_vgpr, 20
	.set _ZL28rocblas_dot_batched_4_kernelIiLi32ELi4ELb0E19rocblas_complex_numIfES1_PKPKS1_EviT5_lT_lS6_lS7_liPT4_.num_agpr, 0
	.set _ZL28rocblas_dot_batched_4_kernelIiLi32ELi4ELb0E19rocblas_complex_numIfES1_PKPKS1_EviT5_lT_lS6_lS7_liPT4_.numbered_sgpr, 16
	.set _ZL28rocblas_dot_batched_4_kernelIiLi32ELi4ELb0E19rocblas_complex_numIfES1_PKPKS1_EviT5_lT_lS6_lS7_liPT4_.num_named_barrier, 0
	.set _ZL28rocblas_dot_batched_4_kernelIiLi32ELi4ELb0E19rocblas_complex_numIfES1_PKPKS1_EviT5_lT_lS6_lS7_liPT4_.private_seg_size, 0
	.set _ZL28rocblas_dot_batched_4_kernelIiLi32ELi4ELb0E19rocblas_complex_numIfES1_PKPKS1_EviT5_lT_lS6_lS7_liPT4_.uses_vcc, 1
	.set _ZL28rocblas_dot_batched_4_kernelIiLi32ELi4ELb0E19rocblas_complex_numIfES1_PKPKS1_EviT5_lT_lS6_lS7_liPT4_.uses_flat_scratch, 0
	.set _ZL28rocblas_dot_batched_4_kernelIiLi32ELi4ELb0E19rocblas_complex_numIfES1_PKPKS1_EviT5_lT_lS6_lS7_liPT4_.has_dyn_sized_stack, 0
	.set _ZL28rocblas_dot_batched_4_kernelIiLi32ELi4ELb0E19rocblas_complex_numIfES1_PKPKS1_EviT5_lT_lS6_lS7_liPT4_.has_recursion, 0
	.set _ZL28rocblas_dot_batched_4_kernelIiLi32ELi4ELb0E19rocblas_complex_numIfES1_PKPKS1_EviT5_lT_lS6_lS7_liPT4_.has_indirect_call, 0
	.section	.AMDGPU.csdata,"",@progbits
; Kernel info:
; codeLenInByte = 744
; TotalNumSgprs: 18
; NumVgprs: 20
; ScratchSize: 0
; MemoryBound: 0
; FloatMode: 240
; IeeeMode: 1
; LDSByteSize: 0 bytes/workgroup (compile time only)
; SGPRBlocks: 0
; VGPRBlocks: 1
; NumSGPRsForWavesPerEU: 18
; NumVGPRsForWavesPerEU: 20
; NamedBarCnt: 0
; Occupancy: 16
; WaveLimiterHint : 0
; COMPUTE_PGM_RSRC2:SCRATCH_EN: 0
; COMPUTE_PGM_RSRC2:USER_SGPR: 2
; COMPUTE_PGM_RSRC2:TRAP_HANDLER: 0
; COMPUTE_PGM_RSRC2:TGID_X_EN: 1
; COMPUTE_PGM_RSRC2:TGID_Y_EN: 0
; COMPUTE_PGM_RSRC2:TGID_Z_EN: 0
; COMPUTE_PGM_RSRC2:TIDIG_COMP_CNT: 1
	.section	.text._ZL28rocblas_dot_batched_4_kernelIiLi64ELi4ELb0E19rocblas_complex_numIfES1_PKPKS1_EviT5_lT_lS6_lS7_liPT4_,"axG",@progbits,_ZL28rocblas_dot_batched_4_kernelIiLi64ELi4ELb0E19rocblas_complex_numIfES1_PKPKS1_EviT5_lT_lS6_lS7_liPT4_,comdat
	.globl	_ZL28rocblas_dot_batched_4_kernelIiLi64ELi4ELb0E19rocblas_complex_numIfES1_PKPKS1_EviT5_lT_lS6_lS7_liPT4_ ; -- Begin function _ZL28rocblas_dot_batched_4_kernelIiLi64ELi4ELb0E19rocblas_complex_numIfES1_PKPKS1_EviT5_lT_lS6_lS7_liPT4_
	.p2align	8
	.type	_ZL28rocblas_dot_batched_4_kernelIiLi64ELi4ELb0E19rocblas_complex_numIfES1_PKPKS1_EviT5_lT_lS6_lS7_liPT4_,@function
_ZL28rocblas_dot_batched_4_kernelIiLi64ELi4ELb0E19rocblas_complex_numIfES1_PKPKS1_EviT5_lT_lS6_lS7_liPT4_: ; @_ZL28rocblas_dot_batched_4_kernelIiLi64ELi4ELb0E19rocblas_complex_numIfES1_PKPKS1_EviT5_lT_lS6_lS7_liPT4_
; %bb.0:
	s_load_b32 s2, s[0:1], 0x48
	s_bfe_u32 s3, ttmp6, 0x4000c
	s_and_b32 s4, ttmp6, 15
	s_add_co_i32 s3, s3, 1
	v_bfe_u32 v1, v0, 10, 10
	s_mul_i32 s3, ttmp9, s3
	s_delay_alu instid0(SALU_CYCLE_1) | instskip(SKIP_1) | instid1(SALU_CYCLE_1)
	s_add_co_i32 s4, s4, s3
	s_getreg_b32 s3, hwreg(HW_REG_IB_STS2, 6, 4)
	s_cmp_eq_u32 s3, 0
	s_cselect_b32 s3, ttmp9, s4
	s_delay_alu instid0(SALU_CYCLE_1) | instskip(SKIP_1) | instid1(VALU_DEP_1)
	v_lshl_add_u32 v2, s3, 2, v1
	s_wait_kmcnt 0x0
	v_cmp_gt_u32_e32 vcc_lo, s2, v2
	s_and_saveexec_b32 s2, vcc_lo
	s_cbranch_execz .LBB103_7
; %bb.1:
	s_load_b32 s6, s[0:1], 0x0
	v_mov_b32_e32 v3, 0
	v_and_b32_e32 v0, 0x3ff, v0
	s_mov_b32 s7, exec_lo
	s_delay_alu instid0(VALU_DEP_2) | instskip(SKIP_1) | instid1(VALU_DEP_2)
	v_dual_mov_b32 v5, v3 :: v_dual_mov_b32 v4, v3
	s_wait_kmcnt 0x0
	v_cmpx_gt_i32_e64 s6, v0
	s_cbranch_execz .LBB103_5
; %bb.2:
	s_clause 0x1
	s_load_b128 s[8:11], s[0:1], 0x28
	s_load_b128 s[12:15], s[0:1], 0x8
	v_lshlrev_b64_e32 v[4:5], 3, v[2:3]
	s_clause 0x1
	s_load_b32 s4, s[0:1], 0x38
	s_load_b32 s2, s[0:1], 0x18
	v_mov_b32_e32 v1, 0
	s_wait_kmcnt 0x0
	s_delay_alu instid0(VALU_DEP_2)
	v_add_nc_u64_e32 v[6:7], s[8:9], v[4:5]
	v_add_nc_u64_e32 v[4:5], s[12:13], v[4:5]
	s_lshl_b64 s[8:9], s[10:11], 3
	s_ashr_i32 s5, s4, 31
	s_ashr_i32 s3, s2, 31
	global_load_b64 v[8:9], v[6:7], off
	global_load_b64 v[10:11], v[4:5], off
	s_wait_xcnt 0x0
	v_mul_u64_e32 v[4:5], s[4:5], v[0:1]
	v_mul_u64_e32 v[6:7], s[2:3], v[0:1]
	s_lshl_b64 s[2:3], s[2:3], 9
	s_lshl_b64 s[4:5], s[4:5], 9
	s_delay_alu instid0(VALU_DEP_2)
	v_lshl_add_u64 v[4:5], v[4:5], 3, s[8:9]
	s_lshl_b64 s[8:9], s[14:15], 3
	s_delay_alu instid0(VALU_DEP_2) | instid1(SALU_CYCLE_1)
	v_lshl_add_u64 v[6:7], v[6:7], 3, s[8:9]
	s_mov_b32 s8, 0
	s_wait_loadcnt 0x1
	v_add_nc_u64_e32 v[4:5], v[8:9], v[4:5]
	s_wait_loadcnt 0x0
	v_add_nc_u64_e32 v[6:7], v[10:11], v[6:7]
	v_mov_b32_e32 v10, v0
	s_delay_alu instid0(VALU_DEP_3)
	v_add_nc_u64_e32 v[8:9], 4, v[4:5]
	v_dual_mov_b32 v4, v1 :: v_dual_mov_b32 v5, v1
.LBB103_3:                              ; =>This Inner Loop Header: Depth=1
	flat_load_b64 v[12:13], v[8:9] offset:-4
	flat_load_b64 v[14:15], v[6:7]
	s_wait_xcnt 0x0
	v_add_nc_u64_e32 v[6:7], s[2:3], v[6:7]
	v_add_nc_u64_e32 v[8:9], s[4:5], v[8:9]
	s_wait_loadcnt_dscnt 0x0
	v_pk_mul_f32 v[16:17], v[14:15], v[12:13] op_sel:[1,1] op_sel_hi:[0,1]
	s_delay_alu instid0(VALU_DEP_1) | instskip(SKIP_2) | instid1(VALU_DEP_3)
	v_pk_fma_f32 v[18:19], v[14:15], v[12:13], v[16:17] op_sel_hi:[1,0,1]
	v_add_nc_u32_e32 v10, 64, v10
	v_pk_fma_f32 v[12:13], v[14:15], v[12:13], v[16:17] neg_lo:[0,0,1] neg_hi:[0,0,1]
	v_mov_b32_e32 v13, v19
	s_delay_alu instid0(VALU_DEP_3) | instskip(NEXT) | instid1(VALU_DEP_2)
	v_cmp_le_i32_e32 vcc_lo, s6, v10
	v_pk_add_f32 v[4:5], v[4:5], v[12:13]
	s_or_b32 s8, vcc_lo, s8
	s_delay_alu instid0(SALU_CYCLE_1)
	s_and_not1_b32 exec_lo, exec_lo, s8
	s_cbranch_execnz .LBB103_3
; %bb.4:
	s_or_b32 exec_lo, exec_lo, s8
.LBB103_5:
	s_delay_alu instid0(SALU_CYCLE_1) | instskip(SKIP_4) | instid1(VALU_DEP_1)
	s_or_b32 exec_lo, exec_lo, s7
	v_mbcnt_lo_u32_b32 v1, -1, 0
	s_load_b64 s[0:1], s[0:1], 0x50
	s_barrier_signal -1
	s_barrier_wait -1
	v_lshlrev_b32_e32 v8, 2, v1
	v_cmp_gt_u32_e32 vcc_lo, 24, v1
	ds_bpermute_b32 v6, v8, v4
	ds_bpermute_b32 v7, v8, v5
	v_or_b32_e32 v8, 64, v8
	s_wait_dscnt 0x0
	v_pk_add_f32 v[4:5], v[4:5], v[6:7]
	ds_bpermute_b32 v6, v8, v4
	ds_bpermute_b32 v7, v8, v5
	v_cndmask_b32_e64 v8, 0, 8, vcc_lo
	v_cmp_gt_u32_e32 vcc_lo, 28, v1
	s_delay_alu instid0(VALU_DEP_2)
	v_add_lshl_u32 v8, v8, v1, 2
	s_wait_dscnt 0x0
	v_pk_add_f32 v[4:5], v[4:5], v[6:7]
	ds_bpermute_b32 v6, v8, v4
	ds_bpermute_b32 v7, v8, v5
	v_cndmask_b32_e64 v8, 0, 4, vcc_lo
	v_cmp_gt_u32_e32 vcc_lo, 30, v1
	s_delay_alu instid0(VALU_DEP_2)
	v_add_lshl_u32 v8, v8, v1, 2
	s_wait_dscnt 0x0
	v_pk_add_f32 v[4:5], v[4:5], v[6:7]
	ds_bpermute_b32 v6, v8, v4
	ds_bpermute_b32 v7, v8, v5
	v_cndmask_b32_e64 v8, 0, 2, vcc_lo
	v_cmp_ne_u32_e32 vcc_lo, 31, v1
	s_delay_alu instid0(VALU_DEP_2) | instskip(SKIP_2) | instid1(VALU_DEP_2)
	v_add_lshl_u32 v8, v8, v1, 2
	v_add_co_ci_u32_e64 v1, null, 0, v1, vcc_lo
	v_cmp_eq_u32_e32 vcc_lo, 0, v0
	v_lshlrev_b32_e32 v1, 2, v1
	s_wait_dscnt 0x0
	v_pk_add_f32 v[4:5], v[4:5], v[6:7]
	ds_bpermute_b32 v6, v8, v4
	ds_bpermute_b32 v7, v8, v5
	s_wait_dscnt 0x0
	v_pk_add_f32 v[4:5], v[4:5], v[6:7]
	ds_bpermute_b32 v6, v1, v4
	ds_bpermute_b32 v7, v1, v5
	s_and_b32 exec_lo, exec_lo, vcc_lo
	s_cbranch_execz .LBB103_7
; %bb.6:
	s_wait_kmcnt 0x0
	v_lshl_add_u64 v[0:1], v[2:3], 3, s[0:1]
	s_wait_dscnt 0x0
	v_pk_add_f32 v[2:3], v[4:5], v[6:7]
	global_store_b64 v[0:1], v[2:3], off
.LBB103_7:
	s_endpgm
	.section	.rodata,"a",@progbits
	.p2align	6, 0x0
	.amdhsa_kernel _ZL28rocblas_dot_batched_4_kernelIiLi64ELi4ELb0E19rocblas_complex_numIfES1_PKPKS1_EviT5_lT_lS6_lS7_liPT4_
		.amdhsa_group_segment_fixed_size 0
		.amdhsa_private_segment_fixed_size 0
		.amdhsa_kernarg_size 88
		.amdhsa_user_sgpr_count 2
		.amdhsa_user_sgpr_dispatch_ptr 0
		.amdhsa_user_sgpr_queue_ptr 0
		.amdhsa_user_sgpr_kernarg_segment_ptr 1
		.amdhsa_user_sgpr_dispatch_id 0
		.amdhsa_user_sgpr_kernarg_preload_length 0
		.amdhsa_user_sgpr_kernarg_preload_offset 0
		.amdhsa_user_sgpr_private_segment_size 0
		.amdhsa_wavefront_size32 1
		.amdhsa_uses_dynamic_stack 0
		.amdhsa_enable_private_segment 0
		.amdhsa_system_sgpr_workgroup_id_x 1
		.amdhsa_system_sgpr_workgroup_id_y 0
		.amdhsa_system_sgpr_workgroup_id_z 0
		.amdhsa_system_sgpr_workgroup_info 0
		.amdhsa_system_vgpr_workitem_id 1
		.amdhsa_next_free_vgpr 20
		.amdhsa_next_free_sgpr 16
		.amdhsa_named_barrier_count 0
		.amdhsa_reserve_vcc 1
		.amdhsa_float_round_mode_32 0
		.amdhsa_float_round_mode_16_64 0
		.amdhsa_float_denorm_mode_32 3
		.amdhsa_float_denorm_mode_16_64 3
		.amdhsa_fp16_overflow 0
		.amdhsa_memory_ordered 1
		.amdhsa_forward_progress 1
		.amdhsa_inst_pref_size 7
		.amdhsa_round_robin_scheduling 0
		.amdhsa_exception_fp_ieee_invalid_op 0
		.amdhsa_exception_fp_denorm_src 0
		.amdhsa_exception_fp_ieee_div_zero 0
		.amdhsa_exception_fp_ieee_overflow 0
		.amdhsa_exception_fp_ieee_underflow 0
		.amdhsa_exception_fp_ieee_inexact 0
		.amdhsa_exception_int_div_zero 0
	.end_amdhsa_kernel
	.section	.text._ZL28rocblas_dot_batched_4_kernelIiLi64ELi4ELb0E19rocblas_complex_numIfES1_PKPKS1_EviT5_lT_lS6_lS7_liPT4_,"axG",@progbits,_ZL28rocblas_dot_batched_4_kernelIiLi64ELi4ELb0E19rocblas_complex_numIfES1_PKPKS1_EviT5_lT_lS6_lS7_liPT4_,comdat
.Lfunc_end103:
	.size	_ZL28rocblas_dot_batched_4_kernelIiLi64ELi4ELb0E19rocblas_complex_numIfES1_PKPKS1_EviT5_lT_lS6_lS7_liPT4_, .Lfunc_end103-_ZL28rocblas_dot_batched_4_kernelIiLi64ELi4ELb0E19rocblas_complex_numIfES1_PKPKS1_EviT5_lT_lS6_lS7_liPT4_
                                        ; -- End function
	.set _ZL28rocblas_dot_batched_4_kernelIiLi64ELi4ELb0E19rocblas_complex_numIfES1_PKPKS1_EviT5_lT_lS6_lS7_liPT4_.num_vgpr, 20
	.set _ZL28rocblas_dot_batched_4_kernelIiLi64ELi4ELb0E19rocblas_complex_numIfES1_PKPKS1_EviT5_lT_lS6_lS7_liPT4_.num_agpr, 0
	.set _ZL28rocblas_dot_batched_4_kernelIiLi64ELi4ELb0E19rocblas_complex_numIfES1_PKPKS1_EviT5_lT_lS6_lS7_liPT4_.numbered_sgpr, 16
	.set _ZL28rocblas_dot_batched_4_kernelIiLi64ELi4ELb0E19rocblas_complex_numIfES1_PKPKS1_EviT5_lT_lS6_lS7_liPT4_.num_named_barrier, 0
	.set _ZL28rocblas_dot_batched_4_kernelIiLi64ELi4ELb0E19rocblas_complex_numIfES1_PKPKS1_EviT5_lT_lS6_lS7_liPT4_.private_seg_size, 0
	.set _ZL28rocblas_dot_batched_4_kernelIiLi64ELi4ELb0E19rocblas_complex_numIfES1_PKPKS1_EviT5_lT_lS6_lS7_liPT4_.uses_vcc, 1
	.set _ZL28rocblas_dot_batched_4_kernelIiLi64ELi4ELb0E19rocblas_complex_numIfES1_PKPKS1_EviT5_lT_lS6_lS7_liPT4_.uses_flat_scratch, 0
	.set _ZL28rocblas_dot_batched_4_kernelIiLi64ELi4ELb0E19rocblas_complex_numIfES1_PKPKS1_EviT5_lT_lS6_lS7_liPT4_.has_dyn_sized_stack, 0
	.set _ZL28rocblas_dot_batched_4_kernelIiLi64ELi4ELb0E19rocblas_complex_numIfES1_PKPKS1_EviT5_lT_lS6_lS7_liPT4_.has_recursion, 0
	.set _ZL28rocblas_dot_batched_4_kernelIiLi64ELi4ELb0E19rocblas_complex_numIfES1_PKPKS1_EviT5_lT_lS6_lS7_liPT4_.has_indirect_call, 0
	.section	.AMDGPU.csdata,"",@progbits
; Kernel info:
; codeLenInByte = 772
; TotalNumSgprs: 18
; NumVgprs: 20
; ScratchSize: 0
; MemoryBound: 0
; FloatMode: 240
; IeeeMode: 1
; LDSByteSize: 0 bytes/workgroup (compile time only)
; SGPRBlocks: 0
; VGPRBlocks: 1
; NumSGPRsForWavesPerEU: 18
; NumVGPRsForWavesPerEU: 20
; NamedBarCnt: 0
; Occupancy: 16
; WaveLimiterHint : 0
; COMPUTE_PGM_RSRC2:SCRATCH_EN: 0
; COMPUTE_PGM_RSRC2:USER_SGPR: 2
; COMPUTE_PGM_RSRC2:TRAP_HANDLER: 0
; COMPUTE_PGM_RSRC2:TGID_X_EN: 1
; COMPUTE_PGM_RSRC2:TGID_Y_EN: 0
; COMPUTE_PGM_RSRC2:TGID_Z_EN: 0
; COMPUTE_PGM_RSRC2:TIDIG_COMP_CNT: 1
	.section	.text._ZL26rocblas_dot_kernel_inc1by2ILb1ELi1024ELi32ELb0E19rocblas_complex_numIfEPKPKS1_S1_EviT4_llS6_lliPT5_PT3_,"axG",@progbits,_ZL26rocblas_dot_kernel_inc1by2ILb1ELi1024ELi32ELb0E19rocblas_complex_numIfEPKPKS1_S1_EviT4_llS6_lliPT5_PT3_,comdat
	.globl	_ZL26rocblas_dot_kernel_inc1by2ILb1ELi1024ELi32ELb0E19rocblas_complex_numIfEPKPKS1_S1_EviT4_llS6_lliPT5_PT3_ ; -- Begin function _ZL26rocblas_dot_kernel_inc1by2ILb1ELi1024ELi32ELb0E19rocblas_complex_numIfEPKPKS1_S1_EviT4_llS6_lliPT5_PT3_
	.p2align	8
	.type	_ZL26rocblas_dot_kernel_inc1by2ILb1ELi1024ELi32ELb0E19rocblas_complex_numIfEPKPKS1_S1_EviT4_llS6_lliPT5_PT3_,@function
_ZL26rocblas_dot_kernel_inc1by2ILb1ELi1024ELi32ELb0E19rocblas_complex_numIfEPKPKS1_S1_EviT4_llS6_lliPT5_PT3_: ; @_ZL26rocblas_dot_kernel_inc1by2ILb1ELi1024ELi32ELb0E19rocblas_complex_numIfEPKPKS1_S1_EviT4_llS6_lliPT5_PT3_
; %bb.0:
	s_load_b32 s3, s[0:1], 0x38
	s_bfe_u32 s2, ttmp6, 0x40014
	s_lshr_b32 s4, ttmp7, 16
	s_add_co_i32 s2, s2, 1
	s_bfe_u32 s5, ttmp6, 0x40008
	s_mul_i32 s2, s4, s2
	s_getreg_b32 s6, hwreg(HW_REG_IB_STS2, 6, 4)
	s_add_co_i32 s5, s5, s2
	s_cmp_eq_u32 s6, 0
	s_mov_b32 s13, 0
	s_cselect_b32 s12, s4, s5
	s_wait_kmcnt 0x0
	s_cmp_ge_u32 s12, s3
	s_cbranch_scc1 .LBB104_17
; %bb.1:
	v_mbcnt_lo_u32_b32 v2, -1, 0
	s_clause 0x3
	s_load_b64 s[14:15], s[0:1], 0x48
	s_load_b128 s[4:7], s[0:1], 0x20
	s_load_b128 s[8:11], s[0:1], 0x8
	s_load_b32 s16, s[0:1], 0x0
	v_and_b32_e32 v1, 31, v0
	s_wait_xcnt 0x0
	v_cmp_eq_u32_e64 s1, 0, v0
	v_cmp_gt_u32_e64 s0, 24, v2
	v_lshl_or_b32 v11, v2, 2, 64
	v_mov_b32_e32 v17, 0
	v_cmp_gt_u32_e32 vcc_lo, 32, v0
	s_delay_alu instid0(VALU_DEP_4) | instskip(SKIP_1) | instid1(VALU_DEP_2)
	v_cndmask_b32_e64 v3, 0, 8, s0
	v_cmp_gt_u32_e64 s0, 28, v2
	v_add_lshl_u32 v12, v3, v2, 2
	s_delay_alu instid0(VALU_DEP_2)
	v_cndmask_b32_e64 v4, 0, 4, s0
	v_cmp_gt_u32_e64 s0, 30, v2
	v_lshrrev_b32_e32 v3, 2, v0
	s_wait_kmcnt 0x0
	s_lshl_b64 s[10:11], s[10:11], 3
	v_cndmask_b32_e64 v5, 0, 2, s0
	v_cmp_ne_u32_e64 s0, 31, v2
	v_add_lshl_u32 v13, v4, v2, 2
	v_and_b32_e32 v16, 0xf8, v3
	s_lshl_b64 s[6:7], s[6:7], 3
	v_add_lshl_u32 v14, v5, v2, 2
	v_add_co_ci_u32_e64 v6, null, 0, v2, s0
	v_mov_b64_e32 v[2:3], 0
	v_lshlrev_b32_e32 v10, 3, v1
	v_cmp_eq_u32_e64 s0, 0, v1
	s_delay_alu instid0(VALU_DEP_4)
	v_lshlrev_b32_e32 v15, 2, v6
	s_branch .LBB104_3
.LBB104_2:                              ;   in Loop: Header=BB104_3 Depth=1
	s_wait_xcnt 0x0
	s_or_b32 exec_lo, exec_lo, s2
	s_add_co_i32 s12, s12, 0x10000
	s_delay_alu instid0(SALU_CYCLE_1)
	s_cmp_lt_u32 s12, s3
	s_cbranch_scc0 .LBB104_17
.LBB104_3:                              ; =>This Loop Header: Depth=1
                                        ;     Child Loop BB104_5 Depth 2
	s_wait_dscnt 0x0
	v_dual_mov_b32 v5, 0 :: v_dual_mov_b32 v4, 0
	s_mov_b32 s17, exec_lo
	v_cmpx_gt_i32_e64 s16, v0
	s_cbranch_execz .LBB104_7
; %bb.4:                                ;   in Loop: Header=BB104_3 Depth=1
	s_lshl_b64 s[18:19], s[12:13], 3
	v_dual_mov_b32 v4, 0 :: v_dual_ashrrev_i32 v1, 31, v0
	s_add_nc_u64 s[20:21], s[8:9], s[18:19]
	s_add_nc_u64 s[18:19], s[4:5], s[18:19]
	s_load_b64 s[22:23], s[20:21], 0x0
	s_load_b64 s[24:25], s[18:19], 0x0
	v_lshlrev_b64_e32 v[8:9], 3, v[0:1]
	v_mov_b32_e32 v5, v4
	s_mov_b32 s2, 0
	s_wait_kmcnt 0x0
	s_wait_xcnt 0x0
	s_add_nc_u64 s[18:19], s[22:23], s[10:11]
	s_add_nc_u64 s[20:21], s[24:25], s[6:7]
	v_add_nc_u64_e32 v[6:7], s[18:19], v[8:9]
	v_add_nc_u64_e32 v[8:9], s[20:21], v[8:9]
	s_mov_b32 s18, 0
.LBB104_5:                              ;   Parent Loop BB104_3 Depth=1
                                        ; =>  This Inner Loop Header: Depth=2
	flat_load_b64 v[18:19], v[8:9]
	flat_load_b64 v[20:21], v[6:7]
	s_add_co_i32 s19, s2, 1
	s_cmp_gt_u32 s2, 30
	s_wait_xcnt 0x0
	v_add_nc_u64_e32 v[6:7], 0x2000, v[6:7]
	s_cselect_b32 s20, -1, 0
	v_add_nc_u64_e32 v[8:9], 0x2000, v[8:9]
	s_wait_loadcnt_dscnt 0x0
	v_pk_mul_f32 v[22:23], v[20:21], v[18:19] op_sel:[1,1] op_sel_hi:[0,1]
	s_delay_alu instid0(VALU_DEP_1) | instskip(SKIP_2) | instid1(VALU_DEP_3)
	v_pk_fma_f32 v[24:25], v[20:21], v[18:19], v[22:23] op_sel_hi:[1,0,1]
	v_add_nc_u32_e32 v0, 0x400, v0
	v_pk_fma_f32 v[18:19], v[20:21], v[18:19], v[22:23] neg_lo:[0,0,1] neg_hi:[0,0,1]
	v_mov_b32_e32 v19, v25
	s_delay_alu instid0(VALU_DEP_3) | instskip(NEXT) | instid1(VALU_DEP_2)
	v_cmp_le_i32_e64 s2, s16, v0
	v_pk_add_f32 v[4:5], v[4:5], v[18:19]
	s_or_b32 s2, s20, s2
	s_delay_alu instid0(SALU_CYCLE_1) | instskip(NEXT) | instid1(SALU_CYCLE_1)
	s_and_b32 s2, exec_lo, s2
	s_or_b32 s18, s2, s18
	s_mov_b32 s2, s19
	s_and_not1_b32 exec_lo, exec_lo, s18
	s_cbranch_execnz .LBB104_5
; %bb.6:                                ;   in Loop: Header=BB104_3 Depth=1
	s_or_b32 exec_lo, exec_lo, s18
.LBB104_7:                              ;   in Loop: Header=BB104_3 Depth=1
	s_delay_alu instid0(SALU_CYCLE_1)
	s_or_b32 exec_lo, exec_lo, s17
	s_and_saveexec_b32 s2, vcc_lo
; %bb.8:                                ;   in Loop: Header=BB104_3 Depth=1
	ds_store_b64 v10, v[2:3]
; %bb.9:                                ;   in Loop: Header=BB104_3 Depth=1
	s_or_b32 exec_lo, exec_lo, s2
	ds_bpermute_b32 v6, v11, v4
	ds_bpermute_b32 v7, v11, v5
	s_wait_dscnt 0x0
	s_barrier_signal -1
	s_barrier_wait -1
	v_pk_add_f32 v[4:5], v[4:5], v[6:7]
	ds_bpermute_b32 v6, v12, v4
	ds_bpermute_b32 v7, v12, v5
	s_wait_dscnt 0x0
	v_pk_add_f32 v[4:5], v[4:5], v[6:7]
	ds_bpermute_b32 v6, v13, v4
	ds_bpermute_b32 v7, v13, v5
	s_wait_dscnt 0x0
	v_pk_add_f32 v[4:5], v[4:5], v[6:7]
	ds_bpermute_b32 v6, v14, v4
	ds_bpermute_b32 v7, v14, v5
	s_wait_dscnt 0x0
	v_pk_add_f32 v[4:5], v[4:5], v[6:7]
	ds_bpermute_b32 v6, v15, v4
	ds_bpermute_b32 v7, v15, v5
	s_and_saveexec_b32 s2, s0
	s_cbranch_execz .LBB104_11
; %bb.10:                               ;   in Loop: Header=BB104_3 Depth=1
	s_wait_dscnt 0x0
	v_pk_add_f32 v[4:5], v[4:5], v[6:7]
	ds_store_b64 v16, v[4:5]
.LBB104_11:                             ;   in Loop: Header=BB104_3 Depth=1
	s_or_b32 exec_lo, exec_lo, s2
	v_mov_b64_e32 v[4:5], 0
	s_wait_dscnt 0x0
	s_barrier_signal -1
	s_barrier_wait -1
	s_and_saveexec_b32 s2, vcc_lo
	s_cbranch_execnz .LBB104_14
; %bb.12:                               ;   in Loop: Header=BB104_3 Depth=1
	s_or_b32 exec_lo, exec_lo, s2
	s_and_saveexec_b32 s2, vcc_lo
	s_cbranch_execnz .LBB104_15
.LBB104_13:                             ;   in Loop: Header=BB104_3 Depth=1
	s_or_b32 exec_lo, exec_lo, s2
	s_and_saveexec_b32 s2, s1
	s_cbranch_execz .LBB104_2
	s_branch .LBB104_16
.LBB104_14:                             ;   in Loop: Header=BB104_3 Depth=1
	ds_load_b64 v[4:5], v10
	s_or_b32 exec_lo, exec_lo, s2
	s_and_saveexec_b32 s2, vcc_lo
	s_cbranch_execz .LBB104_13
.LBB104_15:                             ;   in Loop: Header=BB104_3 Depth=1
	s_wait_dscnt 0x0
	ds_bpermute_b32 v6, v11, v4
	ds_bpermute_b32 v7, v11, v5
	s_wait_dscnt 0x0
	v_pk_add_f32 v[4:5], v[4:5], v[6:7]
	ds_bpermute_b32 v6, v12, v4
	ds_bpermute_b32 v7, v12, v5
	s_wait_dscnt 0x0
	v_pk_add_f32 v[4:5], v[4:5], v[6:7]
	ds_bpermute_b32 v6, v13, v4
	ds_bpermute_b32 v7, v13, v5
	s_wait_dscnt 0x0
	v_pk_add_f32 v[4:5], v[4:5], v[6:7]
	ds_bpermute_b32 v6, v14, v4
	ds_bpermute_b32 v7, v14, v5
	s_wait_dscnt 0x0
	v_pk_add_f32 v[4:5], v[4:5], v[6:7]
	ds_bpermute_b32 v6, v15, v4
	ds_bpermute_b32 v7, v15, v5
	s_wait_dscnt 0x0
	v_pk_add_f32 v[4:5], v[4:5], v[6:7]
	s_or_b32 exec_lo, exec_lo, s2
	s_and_saveexec_b32 s2, s1
	s_cbranch_execz .LBB104_2
.LBB104_16:                             ;   in Loop: Header=BB104_3 Depth=1
	s_lshl_b64 s[18:19], s[12:13], 3
	s_delay_alu instid0(SALU_CYCLE_1)
	s_add_nc_u64 s[18:19], s[14:15], s[18:19]
	s_wait_dscnt 0x0
	global_store_b64 v17, v[4:5], s[18:19]
	s_branch .LBB104_2
.LBB104_17:
	s_endpgm
	.section	.rodata,"a",@progbits
	.p2align	6, 0x0
	.amdhsa_kernel _ZL26rocblas_dot_kernel_inc1by2ILb1ELi1024ELi32ELb0E19rocblas_complex_numIfEPKPKS1_S1_EviT4_llS6_lliPT5_PT3_
		.amdhsa_group_segment_fixed_size 256
		.amdhsa_private_segment_fixed_size 0
		.amdhsa_kernarg_size 80
		.amdhsa_user_sgpr_count 2
		.amdhsa_user_sgpr_dispatch_ptr 0
		.amdhsa_user_sgpr_queue_ptr 0
		.amdhsa_user_sgpr_kernarg_segment_ptr 1
		.amdhsa_user_sgpr_dispatch_id 0
		.amdhsa_user_sgpr_kernarg_preload_length 0
		.amdhsa_user_sgpr_kernarg_preload_offset 0
		.amdhsa_user_sgpr_private_segment_size 0
		.amdhsa_wavefront_size32 1
		.amdhsa_uses_dynamic_stack 0
		.amdhsa_enable_private_segment 0
		.amdhsa_system_sgpr_workgroup_id_x 1
		.amdhsa_system_sgpr_workgroup_id_y 0
		.amdhsa_system_sgpr_workgroup_id_z 1
		.amdhsa_system_sgpr_workgroup_info 0
		.amdhsa_system_vgpr_workitem_id 0
		.amdhsa_next_free_vgpr 26
		.amdhsa_next_free_sgpr 26
		.amdhsa_named_barrier_count 0
		.amdhsa_reserve_vcc 1
		.amdhsa_float_round_mode_32 0
		.amdhsa_float_round_mode_16_64 0
		.amdhsa_float_denorm_mode_32 3
		.amdhsa_float_denorm_mode_16_64 3
		.amdhsa_fp16_overflow 0
		.amdhsa_memory_ordered 1
		.amdhsa_forward_progress 1
		.amdhsa_inst_pref_size 9
		.amdhsa_round_robin_scheduling 0
		.amdhsa_exception_fp_ieee_invalid_op 0
		.amdhsa_exception_fp_denorm_src 0
		.amdhsa_exception_fp_ieee_div_zero 0
		.amdhsa_exception_fp_ieee_overflow 0
		.amdhsa_exception_fp_ieee_underflow 0
		.amdhsa_exception_fp_ieee_inexact 0
		.amdhsa_exception_int_div_zero 0
	.end_amdhsa_kernel
	.section	.text._ZL26rocblas_dot_kernel_inc1by2ILb1ELi1024ELi32ELb0E19rocblas_complex_numIfEPKPKS1_S1_EviT4_llS6_lliPT5_PT3_,"axG",@progbits,_ZL26rocblas_dot_kernel_inc1by2ILb1ELi1024ELi32ELb0E19rocblas_complex_numIfEPKPKS1_S1_EviT4_llS6_lliPT5_PT3_,comdat
.Lfunc_end104:
	.size	_ZL26rocblas_dot_kernel_inc1by2ILb1ELi1024ELi32ELb0E19rocblas_complex_numIfEPKPKS1_S1_EviT4_llS6_lliPT5_PT3_, .Lfunc_end104-_ZL26rocblas_dot_kernel_inc1by2ILb1ELi1024ELi32ELb0E19rocblas_complex_numIfEPKPKS1_S1_EviT4_llS6_lliPT5_PT3_
                                        ; -- End function
	.set _ZL26rocblas_dot_kernel_inc1by2ILb1ELi1024ELi32ELb0E19rocblas_complex_numIfEPKPKS1_S1_EviT4_llS6_lliPT5_PT3_.num_vgpr, 26
	.set _ZL26rocblas_dot_kernel_inc1by2ILb1ELi1024ELi32ELb0E19rocblas_complex_numIfEPKPKS1_S1_EviT4_llS6_lliPT5_PT3_.num_agpr, 0
	.set _ZL26rocblas_dot_kernel_inc1by2ILb1ELi1024ELi32ELb0E19rocblas_complex_numIfEPKPKS1_S1_EviT4_llS6_lliPT5_PT3_.numbered_sgpr, 26
	.set _ZL26rocblas_dot_kernel_inc1by2ILb1ELi1024ELi32ELb0E19rocblas_complex_numIfEPKPKS1_S1_EviT4_llS6_lliPT5_PT3_.num_named_barrier, 0
	.set _ZL26rocblas_dot_kernel_inc1by2ILb1ELi1024ELi32ELb0E19rocblas_complex_numIfEPKPKS1_S1_EviT4_llS6_lliPT5_PT3_.private_seg_size, 0
	.set _ZL26rocblas_dot_kernel_inc1by2ILb1ELi1024ELi32ELb0E19rocblas_complex_numIfEPKPKS1_S1_EviT4_llS6_lliPT5_PT3_.uses_vcc, 1
	.set _ZL26rocblas_dot_kernel_inc1by2ILb1ELi1024ELi32ELb0E19rocblas_complex_numIfEPKPKS1_S1_EviT4_llS6_lliPT5_PT3_.uses_flat_scratch, 0
	.set _ZL26rocblas_dot_kernel_inc1by2ILb1ELi1024ELi32ELb0E19rocblas_complex_numIfEPKPKS1_S1_EviT4_llS6_lliPT5_PT3_.has_dyn_sized_stack, 0
	.set _ZL26rocblas_dot_kernel_inc1by2ILb1ELi1024ELi32ELb0E19rocblas_complex_numIfEPKPKS1_S1_EviT4_llS6_lliPT5_PT3_.has_recursion, 0
	.set _ZL26rocblas_dot_kernel_inc1by2ILb1ELi1024ELi32ELb0E19rocblas_complex_numIfEPKPKS1_S1_EviT4_llS6_lliPT5_PT3_.has_indirect_call, 0
	.section	.AMDGPU.csdata,"",@progbits
; Kernel info:
; codeLenInByte = 1032
; TotalNumSgprs: 28
; NumVgprs: 26
; ScratchSize: 0
; MemoryBound: 0
; FloatMode: 240
; IeeeMode: 1
; LDSByteSize: 256 bytes/workgroup (compile time only)
; SGPRBlocks: 0
; VGPRBlocks: 1
; NumSGPRsForWavesPerEU: 28
; NumVGPRsForWavesPerEU: 26
; NamedBarCnt: 0
; Occupancy: 16
; WaveLimiterHint : 0
; COMPUTE_PGM_RSRC2:SCRATCH_EN: 0
; COMPUTE_PGM_RSRC2:USER_SGPR: 2
; COMPUTE_PGM_RSRC2:TRAP_HANDLER: 0
; COMPUTE_PGM_RSRC2:TGID_X_EN: 1
; COMPUTE_PGM_RSRC2:TGID_Y_EN: 0
; COMPUTE_PGM_RSRC2:TGID_Z_EN: 1
; COMPUTE_PGM_RSRC2:TIDIG_COMP_CNT: 0
	.section	.text._ZL18rocblas_dot_kernelIiLb1ELi1024ELi32ELb0E19rocblas_complex_numIfEPKPKS1_S1_EviT5_lT_lS6_lS7_liPT6_PT4_,"axG",@progbits,_ZL18rocblas_dot_kernelIiLb1ELi1024ELi32ELb0E19rocblas_complex_numIfEPKPKS1_S1_EviT5_lT_lS6_lS7_liPT6_PT4_,comdat
	.globl	_ZL18rocblas_dot_kernelIiLb1ELi1024ELi32ELb0E19rocblas_complex_numIfEPKPKS1_S1_EviT5_lT_lS6_lS7_liPT6_PT4_ ; -- Begin function _ZL18rocblas_dot_kernelIiLb1ELi1024ELi32ELb0E19rocblas_complex_numIfEPKPKS1_S1_EviT5_lT_lS6_lS7_liPT6_PT4_
	.p2align	8
	.type	_ZL18rocblas_dot_kernelIiLb1ELi1024ELi32ELb0E19rocblas_complex_numIfEPKPKS1_S1_EviT5_lT_lS6_lS7_liPT6_PT4_,@function
_ZL18rocblas_dot_kernelIiLb1ELi1024ELi32ELb0E19rocblas_complex_numIfEPKPKS1_S1_EviT5_lT_lS6_lS7_liPT6_PT4_: ; @_ZL18rocblas_dot_kernelIiLb1ELi1024ELi32ELb0E19rocblas_complex_numIfEPKPKS1_S1_EviT5_lT_lS6_lS7_liPT6_PT4_
; %bb.0:
	s_load_b32 s3, s[0:1], 0x48
	s_bfe_u32 s2, ttmp6, 0x40014
	s_lshr_b32 s4, ttmp7, 16
	s_add_co_i32 s2, s2, 1
	s_bfe_u32 s5, ttmp6, 0x40008
	s_mul_i32 s2, s4, s2
	s_getreg_b32 s6, hwreg(HW_REG_IB_STS2, 6, 4)
	s_add_co_i32 s5, s5, s2
	s_cmp_eq_u32 s6, 0
	s_mov_b32 s17, 0
	s_cselect_b32 s16, s4, s5
	s_wait_kmcnt 0x0
	s_cmp_ge_u32 s16, s3
	s_cbranch_scc1 .LBB105_17
; %bb.1:
	v_mbcnt_lo_u32_b32 v3, -1, 0
	s_clause 0x5
	s_load_b32 s18, s[0:1], 0x18
	s_load_b32 s22, s[0:1], 0x38
	s_load_b96 s[12:14], s[0:1], 0x58
	s_load_b128 s[4:7], s[0:1], 0x28
	s_load_b128 s[8:11], s[0:1], 0x8
	s_load_b32 s26, s[0:1], 0x0
	v_and_b32_e32 v2, 31, v0
	s_wait_xcnt 0x0
	v_cmp_eq_u32_e64 s1, 0, v0
	v_cmp_gt_u32_e64 s0, 24, v3
	v_lshl_or_b32 v10, v3, 2, 64
	v_mov_b32_e32 v16, 0
	v_cmp_gt_u32_e32 vcc_lo, 32, v0
	s_delay_alu instid0(VALU_DEP_4) | instskip(SKIP_1) | instid1(VALU_DEP_2)
	v_cndmask_b32_e64 v4, 0, 8, s0
	v_cmp_gt_u32_e64 s0, 28, v3
	v_add_lshl_u32 v11, v4, v3, 2
	s_delay_alu instid0(VALU_DEP_2)
	v_cndmask_b32_e64 v5, 0, 4, s0
	v_cmp_gt_u32_e64 s0, 30, v3
	v_lshrrev_b32_e32 v4, 2, v0
	s_wait_kmcnt 0x0
	s_ashr_i32 s19, s18, 31
	s_lshl_b32 s14, s14, 10
	v_add_lshl_u32 v12, v5, v3, 2
	v_cndmask_b32_e64 v6, 0, 2, s0
	v_cmp_ne_u32_e64 s0, 31, v3
	s_ashr_i32 s23, s22, 31
	s_ashr_i32 s15, s14, 31
	v_and_b32_e32 v15, 0xf8, v4
	v_add_lshl_u32 v13, v6, v3, 2
	v_add_co_ci_u32_e64 v7, null, 0, v3, s0
	v_lshlrev_b32_e32 v1, 3, v2
	v_cmp_eq_u32_e64 s0, 0, v2
	v_mov_b64_e32 v[2:3], 0
	s_delay_alu instid0(VALU_DEP_4)
	v_lshlrev_b32_e32 v14, 2, v7
	s_mul_u64 s[20:21], s[18:19], s[14:15]
	s_mul_u64 s[24:25], s[22:23], s[14:15]
	s_lshl_b64 s[10:11], s[10:11], 3
	s_lshl_b64 s[18:19], s[18:19], 3
	;; [unrolled: 1-line block ×6, first 2 shown]
	s_branch .LBB105_3
.LBB105_2:                              ;   in Loop: Header=BB105_3 Depth=1
	s_wait_xcnt 0x0
	s_or_b32 exec_lo, exec_lo, s2
	s_add_co_i32 s16, s16, 0x10000
	s_delay_alu instid0(SALU_CYCLE_1)
	s_cmp_lt_u32 s16, s3
	s_cbranch_scc0 .LBB105_17
.LBB105_3:                              ; =>This Loop Header: Depth=1
                                        ;     Child Loop BB105_5 Depth 2
	s_wait_dscnt 0x0
	v_dual_mov_b32 v5, 0 :: v_dual_mov_b32 v4, 0
	s_mov_b32 s15, exec_lo
	v_cmpx_gt_i32_e64 s26, v0
	s_cbranch_execz .LBB105_7
; %bb.4:                                ;   in Loop: Header=BB105_3 Depth=1
	s_lshl_b64 s[28:29], s[16:17], 3
	s_mov_b32 s27, 0
	s_add_nc_u64 s[30:31], s[8:9], s[28:29]
	s_add_nc_u64 s[28:29], s[4:5], s[28:29]
	s_load_b64 s[34:35], s[30:31], 0x0
	s_load_b64 s[36:37], s[28:29], 0x0
	s_mov_b32 s2, 0
	s_wait_kmcnt 0x0
	s_wait_xcnt 0x0
	s_add_nc_u64 s[28:29], s[34:35], s[10:11]
	s_add_nc_u64 s[30:31], s[36:37], s[6:7]
	v_mad_nc_u64_u32 v[6:7], s18, v0, s[28:29]
	v_mad_nc_u64_u32 v[8:9], s22, v0, s[30:31]
	s_delay_alu instid0(VALU_DEP_2) | instskip(NEXT) | instid1(VALU_DEP_2)
	v_mad_u32 v4, s19, v0, v7
	v_mad_u32 v5, s23, v0, v9
	v_ashrrev_i32_e32 v9, 31, v0
	s_delay_alu instid0(VALU_DEP_1) | instskip(SKIP_1) | instid1(VALU_DEP_4)
	v_mad_u32 v7, s18, v9, v4
	v_mov_b32_e32 v4, 0
	v_mad_u32 v9, s22, v9, v5
	s_delay_alu instid0(VALU_DEP_2)
	v_mov_b32_e32 v5, v4
.LBB105_5:                              ;   Parent Loop BB105_3 Depth=1
                                        ; =>  This Inner Loop Header: Depth=2
	flat_load_b64 v[18:19], v[8:9]
	flat_load_b64 v[20:21], v[6:7]
	s_add_co_i32 s28, s2, 1
	s_cmp_gt_u32 s2, 30
	s_wait_xcnt 0x0
	v_add_nc_u64_e32 v[6:7], s[20:21], v[6:7]
	s_cselect_b32 s29, -1, 0
	v_add_nc_u64_e32 v[8:9], s[24:25], v[8:9]
	s_wait_loadcnt_dscnt 0x0
	v_pk_mul_f32 v[22:23], v[20:21], v[18:19] op_sel:[1,1] op_sel_hi:[0,1]
	s_delay_alu instid0(VALU_DEP_1) | instskip(SKIP_2) | instid1(VALU_DEP_3)
	v_pk_fma_f32 v[24:25], v[20:21], v[18:19], v[22:23] op_sel_hi:[1,0,1]
	v_add_nc_u32_e32 v0, s14, v0
	v_pk_fma_f32 v[18:19], v[20:21], v[18:19], v[22:23] neg_lo:[0,0,1] neg_hi:[0,0,1]
	v_mov_b32_e32 v19, v25
	s_delay_alu instid0(VALU_DEP_3) | instskip(NEXT) | instid1(VALU_DEP_2)
	v_cmp_le_i32_e64 s2, s26, v0
	v_pk_add_f32 v[4:5], v[4:5], v[18:19]
	s_or_b32 s2, s29, s2
	s_delay_alu instid0(SALU_CYCLE_1) | instskip(NEXT) | instid1(SALU_CYCLE_1)
	s_and_b32 s2, exec_lo, s2
	s_or_b32 s27, s2, s27
	s_mov_b32 s2, s28
	s_and_not1_b32 exec_lo, exec_lo, s27
	s_cbranch_execnz .LBB105_5
; %bb.6:                                ;   in Loop: Header=BB105_3 Depth=1
	s_or_b32 exec_lo, exec_lo, s27
.LBB105_7:                              ;   in Loop: Header=BB105_3 Depth=1
	s_delay_alu instid0(SALU_CYCLE_1)
	s_or_b32 exec_lo, exec_lo, s15
	s_and_saveexec_b32 s2, vcc_lo
; %bb.8:                                ;   in Loop: Header=BB105_3 Depth=1
	ds_store_b64 v1, v[2:3]
; %bb.9:                                ;   in Loop: Header=BB105_3 Depth=1
	s_or_b32 exec_lo, exec_lo, s2
	ds_bpermute_b32 v6, v10, v4
	ds_bpermute_b32 v7, v10, v5
	s_wait_dscnt 0x0
	s_barrier_signal -1
	s_barrier_wait -1
	v_pk_add_f32 v[4:5], v[4:5], v[6:7]
	ds_bpermute_b32 v6, v11, v4
	ds_bpermute_b32 v7, v11, v5
	s_wait_dscnt 0x0
	v_pk_add_f32 v[4:5], v[4:5], v[6:7]
	ds_bpermute_b32 v6, v12, v4
	ds_bpermute_b32 v7, v12, v5
	s_wait_dscnt 0x0
	;; [unrolled: 4-line block ×3, first 2 shown]
	v_pk_add_f32 v[4:5], v[4:5], v[6:7]
	ds_bpermute_b32 v6, v14, v4
	ds_bpermute_b32 v7, v14, v5
	s_and_saveexec_b32 s2, s0
	s_cbranch_execz .LBB105_11
; %bb.10:                               ;   in Loop: Header=BB105_3 Depth=1
	s_wait_dscnt 0x0
	v_pk_add_f32 v[4:5], v[4:5], v[6:7]
	ds_store_b64 v15, v[4:5]
.LBB105_11:                             ;   in Loop: Header=BB105_3 Depth=1
	s_or_b32 exec_lo, exec_lo, s2
	v_mov_b64_e32 v[4:5], 0
	s_wait_dscnt 0x0
	s_barrier_signal -1
	s_barrier_wait -1
	s_and_saveexec_b32 s2, vcc_lo
	s_cbranch_execnz .LBB105_14
; %bb.12:                               ;   in Loop: Header=BB105_3 Depth=1
	s_or_b32 exec_lo, exec_lo, s2
	s_and_saveexec_b32 s2, vcc_lo
	s_cbranch_execnz .LBB105_15
.LBB105_13:                             ;   in Loop: Header=BB105_3 Depth=1
	s_or_b32 exec_lo, exec_lo, s2
	s_and_saveexec_b32 s2, s1
	s_cbranch_execz .LBB105_2
	s_branch .LBB105_16
.LBB105_14:                             ;   in Loop: Header=BB105_3 Depth=1
	ds_load_b64 v[4:5], v1
	s_or_b32 exec_lo, exec_lo, s2
	s_and_saveexec_b32 s2, vcc_lo
	s_cbranch_execz .LBB105_13
.LBB105_15:                             ;   in Loop: Header=BB105_3 Depth=1
	s_wait_dscnt 0x0
	ds_bpermute_b32 v6, v10, v4
	ds_bpermute_b32 v7, v10, v5
	s_wait_dscnt 0x0
	v_pk_add_f32 v[4:5], v[4:5], v[6:7]
	ds_bpermute_b32 v6, v11, v4
	ds_bpermute_b32 v7, v11, v5
	s_wait_dscnt 0x0
	v_pk_add_f32 v[4:5], v[4:5], v[6:7]
	;; [unrolled: 4-line block ×5, first 2 shown]
	s_or_b32 exec_lo, exec_lo, s2
	s_and_saveexec_b32 s2, s1
	s_cbranch_execz .LBB105_2
.LBB105_16:                             ;   in Loop: Header=BB105_3 Depth=1
	s_lshl_b64 s[28:29], s[16:17], 3
	s_delay_alu instid0(SALU_CYCLE_1)
	s_add_nc_u64 s[28:29], s[12:13], s[28:29]
	s_wait_dscnt 0x0
	global_store_b64 v16, v[4:5], s[28:29]
	s_branch .LBB105_2
.LBB105_17:
	s_endpgm
	.section	.rodata,"a",@progbits
	.p2align	6, 0x0
	.amdhsa_kernel _ZL18rocblas_dot_kernelIiLb1ELi1024ELi32ELb0E19rocblas_complex_numIfEPKPKS1_S1_EviT5_lT_lS6_lS7_liPT6_PT4_
		.amdhsa_group_segment_fixed_size 256
		.amdhsa_private_segment_fixed_size 0
		.amdhsa_kernarg_size 352
		.amdhsa_user_sgpr_count 2
		.amdhsa_user_sgpr_dispatch_ptr 0
		.amdhsa_user_sgpr_queue_ptr 0
		.amdhsa_user_sgpr_kernarg_segment_ptr 1
		.amdhsa_user_sgpr_dispatch_id 0
		.amdhsa_user_sgpr_kernarg_preload_length 0
		.amdhsa_user_sgpr_kernarg_preload_offset 0
		.amdhsa_user_sgpr_private_segment_size 0
		.amdhsa_wavefront_size32 1
		.amdhsa_uses_dynamic_stack 0
		.amdhsa_enable_private_segment 0
		.amdhsa_system_sgpr_workgroup_id_x 1
		.amdhsa_system_sgpr_workgroup_id_y 0
		.amdhsa_system_sgpr_workgroup_id_z 1
		.amdhsa_system_sgpr_workgroup_info 0
		.amdhsa_system_vgpr_workitem_id 0
		.amdhsa_next_free_vgpr 26
		.amdhsa_next_free_sgpr 38
		.amdhsa_named_barrier_count 0
		.amdhsa_reserve_vcc 1
		.amdhsa_float_round_mode_32 0
		.amdhsa_float_round_mode_16_64 0
		.amdhsa_float_denorm_mode_32 3
		.amdhsa_float_denorm_mode_16_64 3
		.amdhsa_fp16_overflow 0
		.amdhsa_memory_ordered 1
		.amdhsa_forward_progress 1
		.amdhsa_inst_pref_size 9
		.amdhsa_round_robin_scheduling 0
		.amdhsa_exception_fp_ieee_invalid_op 0
		.amdhsa_exception_fp_denorm_src 0
		.amdhsa_exception_fp_ieee_div_zero 0
		.amdhsa_exception_fp_ieee_overflow 0
		.amdhsa_exception_fp_ieee_underflow 0
		.amdhsa_exception_fp_ieee_inexact 0
		.amdhsa_exception_int_div_zero 0
	.end_amdhsa_kernel
	.section	.text._ZL18rocblas_dot_kernelIiLb1ELi1024ELi32ELb0E19rocblas_complex_numIfEPKPKS1_S1_EviT5_lT_lS6_lS7_liPT6_PT4_,"axG",@progbits,_ZL18rocblas_dot_kernelIiLb1ELi1024ELi32ELb0E19rocblas_complex_numIfEPKPKS1_S1_EviT5_lT_lS6_lS7_liPT6_PT4_,comdat
.Lfunc_end105:
	.size	_ZL18rocblas_dot_kernelIiLb1ELi1024ELi32ELb0E19rocblas_complex_numIfEPKPKS1_S1_EviT5_lT_lS6_lS7_liPT6_PT4_, .Lfunc_end105-_ZL18rocblas_dot_kernelIiLb1ELi1024ELi32ELb0E19rocblas_complex_numIfEPKPKS1_S1_EviT5_lT_lS6_lS7_liPT6_PT4_
                                        ; -- End function
	.set _ZL18rocblas_dot_kernelIiLb1ELi1024ELi32ELb0E19rocblas_complex_numIfEPKPKS1_S1_EviT5_lT_lS6_lS7_liPT6_PT4_.num_vgpr, 26
	.set _ZL18rocblas_dot_kernelIiLb1ELi1024ELi32ELb0E19rocblas_complex_numIfEPKPKS1_S1_EviT5_lT_lS6_lS7_liPT6_PT4_.num_agpr, 0
	.set _ZL18rocblas_dot_kernelIiLb1ELi1024ELi32ELb0E19rocblas_complex_numIfEPKPKS1_S1_EviT5_lT_lS6_lS7_liPT6_PT4_.numbered_sgpr, 38
	.set _ZL18rocblas_dot_kernelIiLb1ELi1024ELi32ELb0E19rocblas_complex_numIfEPKPKS1_S1_EviT5_lT_lS6_lS7_liPT6_PT4_.num_named_barrier, 0
	.set _ZL18rocblas_dot_kernelIiLb1ELi1024ELi32ELb0E19rocblas_complex_numIfEPKPKS1_S1_EviT5_lT_lS6_lS7_liPT6_PT4_.private_seg_size, 0
	.set _ZL18rocblas_dot_kernelIiLb1ELi1024ELi32ELb0E19rocblas_complex_numIfEPKPKS1_S1_EviT5_lT_lS6_lS7_liPT6_PT4_.uses_vcc, 1
	.set _ZL18rocblas_dot_kernelIiLb1ELi1024ELi32ELb0E19rocblas_complex_numIfEPKPKS1_S1_EviT5_lT_lS6_lS7_liPT6_PT4_.uses_flat_scratch, 0
	.set _ZL18rocblas_dot_kernelIiLb1ELi1024ELi32ELb0E19rocblas_complex_numIfEPKPKS1_S1_EviT5_lT_lS6_lS7_liPT6_PT4_.has_dyn_sized_stack, 0
	.set _ZL18rocblas_dot_kernelIiLb1ELi1024ELi32ELb0E19rocblas_complex_numIfEPKPKS1_S1_EviT5_lT_lS6_lS7_liPT6_PT4_.has_recursion, 0
	.set _ZL18rocblas_dot_kernelIiLb1ELi1024ELi32ELb0E19rocblas_complex_numIfEPKPKS1_S1_EviT5_lT_lS6_lS7_liPT6_PT4_.has_indirect_call, 0
	.section	.AMDGPU.csdata,"",@progbits
; Kernel info:
; codeLenInByte = 1124
; TotalNumSgprs: 40
; NumVgprs: 26
; ScratchSize: 0
; MemoryBound: 0
; FloatMode: 240
; IeeeMode: 1
; LDSByteSize: 256 bytes/workgroup (compile time only)
; SGPRBlocks: 0
; VGPRBlocks: 1
; NumSGPRsForWavesPerEU: 40
; NumVGPRsForWavesPerEU: 26
; NamedBarCnt: 0
; Occupancy: 16
; WaveLimiterHint : 0
; COMPUTE_PGM_RSRC2:SCRATCH_EN: 0
; COMPUTE_PGM_RSRC2:USER_SGPR: 2
; COMPUTE_PGM_RSRC2:TRAP_HANDLER: 0
; COMPUTE_PGM_RSRC2:TGID_X_EN: 1
; COMPUTE_PGM_RSRC2:TGID_Y_EN: 0
; COMPUTE_PGM_RSRC2:TGID_Z_EN: 1
; COMPUTE_PGM_RSRC2:TIDIG_COMP_CNT: 0
	.section	.text._ZL24rocblas_dot_kernel_magsqIiLb1ELi1024ELi32ELb0E19rocblas_complex_numIfEPKPKS1_S1_EviT5_lT_liPT6_PT4_,"axG",@progbits,_ZL24rocblas_dot_kernel_magsqIiLb1ELi1024ELi32ELb0E19rocblas_complex_numIfEPKPKS1_S1_EviT5_lT_liPT6_PT4_,comdat
	.globl	_ZL24rocblas_dot_kernel_magsqIiLb1ELi1024ELi32ELb0E19rocblas_complex_numIfEPKPKS1_S1_EviT5_lT_liPT6_PT4_ ; -- Begin function _ZL24rocblas_dot_kernel_magsqIiLb1ELi1024ELi32ELb0E19rocblas_complex_numIfEPKPKS1_S1_EviT5_lT_liPT6_PT4_
	.p2align	8
	.type	_ZL24rocblas_dot_kernel_magsqIiLb1ELi1024ELi32ELb0E19rocblas_complex_numIfEPKPKS1_S1_EviT5_lT_liPT6_PT4_,@function
_ZL24rocblas_dot_kernel_magsqIiLb1ELi1024ELi32ELb0E19rocblas_complex_numIfEPKPKS1_S1_EviT5_lT_liPT6_PT4_: ; @_ZL24rocblas_dot_kernel_magsqIiLb1ELi1024ELi32ELb0E19rocblas_complex_numIfEPKPKS1_S1_EviT5_lT_liPT6_PT4_
; %bb.0:
	s_load_b32 s3, s[0:1], 0x28
	s_bfe_u32 s2, ttmp6, 0x40014
	s_lshr_b32 s4, ttmp7, 16
	s_add_co_i32 s2, s2, 1
	s_bfe_u32 s5, ttmp6, 0x40008
	s_mul_i32 s2, s4, s2
	s_getreg_b32 s6, hwreg(HW_REG_IB_STS2, 6, 4)
	s_add_co_i32 s5, s5, s2
	s_cmp_eq_u32 s6, 0
	s_mov_b32 s13, 0
	s_cselect_b32 s12, s4, s5
	s_wait_kmcnt 0x0
	s_cmp_ge_u32 s12, s3
	s_cbranch_scc1 .LBB106_17
; %bb.1:
	v_mbcnt_lo_u32_b32 v3, -1, 0
	s_clause 0x3
	s_load_b32 s14, s[0:1], 0x18
	s_load_b96 s[8:10], s[0:1], 0x38
	s_load_b128 s[4:7], s[0:1], 0x8
	s_load_b32 s18, s[0:1], 0x0
	v_and_b32_e32 v2, 31, v0
	s_wait_xcnt 0x0
	v_cmp_eq_u32_e64 s1, 0, v0
	v_cmp_gt_u32_e64 s0, 24, v3
	v_lshl_or_b32 v8, v3, 2, 64
	v_mov_b32_e32 v14, 0
	v_cmp_gt_u32_e32 vcc_lo, 32, v0
	s_delay_alu instid0(VALU_DEP_4) | instskip(SKIP_1) | instid1(VALU_DEP_2)
	v_cndmask_b32_e64 v4, 0, 8, s0
	v_cmp_gt_u32_e64 s0, 28, v3
	v_add_lshl_u32 v9, v4, v3, 2
	s_delay_alu instid0(VALU_DEP_2)
	v_cndmask_b32_e64 v5, 0, 4, s0
	v_cmp_gt_u32_e64 s0, 30, v3
	v_lshrrev_b32_e32 v4, 2, v0
	s_wait_kmcnt 0x0
	s_ashr_i32 s15, s14, 31
	s_lshl_b32 s10, s10, 10
	v_cndmask_b32_e64 v6, 0, 2, s0
	v_cmp_ne_u32_e64 s0, 31, v3
	v_add_lshl_u32 v10, v5, v3, 2
	s_ashr_i32 s11, s10, 31
	v_and_b32_e32 v13, 0xf8, v4
	v_add_lshl_u32 v11, v6, v3, 2
	v_add_co_ci_u32_e64 v7, null, 0, v3, s0
	v_lshlrev_b32_e32 v1, 3, v2
	v_cmp_eq_u32_e64 s0, 0, v2
	v_mov_b64_e32 v[2:3], 0
	s_delay_alu instid0(VALU_DEP_4)
	v_lshlrev_b32_e32 v12, 2, v7
	s_mul_u64 s[16:17], s[14:15], s[10:11]
	s_lshl_b64 s[6:7], s[6:7], 3
	s_lshl_b64 s[14:15], s[14:15], 3
	;; [unrolled: 1-line block ×3, first 2 shown]
	s_branch .LBB106_3
.LBB106_2:                              ;   in Loop: Header=BB106_3 Depth=1
	s_wait_xcnt 0x0
	s_or_b32 exec_lo, exec_lo, s2
	s_add_co_i32 s12, s12, 0x10000
	s_delay_alu instid0(SALU_CYCLE_1)
	s_cmp_lt_u32 s12, s3
	s_cbranch_scc0 .LBB106_17
.LBB106_3:                              ; =>This Loop Header: Depth=1
                                        ;     Child Loop BB106_5 Depth 2
	s_wait_dscnt 0x0
	v_dual_mov_b32 v5, 0 :: v_dual_mov_b32 v4, 0
	s_mov_b32 s11, exec_lo
	v_cmpx_gt_i32_e64 s18, v0
	s_cbranch_execz .LBB106_7
; %bb.4:                                ;   in Loop: Header=BB106_3 Depth=1
	s_lshl_b64 s[20:21], s[12:13], 3
	v_ashrrev_i32_e32 v5, 31, v0
	s_add_nc_u64 s[20:21], s[4:5], s[20:21]
	s_mov_b32 s19, 0
	s_load_b64 s[20:21], s[20:21], 0x0
	s_mov_b32 s2, 0
	s_wait_kmcnt 0x0
	s_wait_xcnt 0x0
	s_add_nc_u64 s[20:21], s[20:21], s[6:7]
	s_delay_alu instid0(SALU_CYCLE_1) | instskip(NEXT) | instid1(VALU_DEP_1)
	v_mad_nc_u64_u32 v[6:7], s14, v0, s[20:21]
	v_mad_u32 v4, s15, v0, v7
	s_delay_alu instid0(VALU_DEP_1) | instskip(SKIP_1) | instid1(VALU_DEP_1)
	v_mad_u32 v7, s14, v5, v4
	v_mov_b32_e32 v4, 0
	v_mov_b32_e32 v5, v4
.LBB106_5:                              ;   Parent Loop BB106_3 Depth=1
                                        ; =>  This Inner Loop Header: Depth=2
	flat_load_b64 v[16:17], v[6:7]
	s_add_co_i32 s20, s2, 1
	s_cmp_gt_u32 s2, 30
	s_wait_xcnt 0x0
	v_add_nc_u64_e32 v[6:7], s[16:17], v[6:7]
	s_cselect_b32 s21, -1, 0
	s_wait_loadcnt_dscnt 0x0
	v_pk_mul_f32 v[18:19], v[16:17], v[16:17] op_sel:[1,1] op_sel_hi:[0,1]
	s_delay_alu instid0(VALU_DEP_1) | instskip(SKIP_2) | instid1(VALU_DEP_3)
	v_pk_fma_f32 v[20:21], v[16:17], v[16:17], v[18:19] op_sel_hi:[0,1,1]
	v_add_nc_u32_e32 v0, s10, v0
	v_pk_fma_f32 v[16:17], v[16:17], v[16:17], v[18:19] neg_lo:[0,0,1] neg_hi:[0,0,1]
	v_mov_b32_e32 v17, v21
	s_delay_alu instid0(VALU_DEP_3) | instskip(NEXT) | instid1(VALU_DEP_2)
	v_cmp_le_i32_e64 s2, s18, v0
	v_pk_add_f32 v[4:5], v[4:5], v[16:17]
	s_or_b32 s2, s21, s2
	s_delay_alu instid0(SALU_CYCLE_1) | instskip(NEXT) | instid1(SALU_CYCLE_1)
	s_and_b32 s2, exec_lo, s2
	s_or_b32 s19, s2, s19
	s_mov_b32 s2, s20
	s_and_not1_b32 exec_lo, exec_lo, s19
	s_cbranch_execnz .LBB106_5
; %bb.6:                                ;   in Loop: Header=BB106_3 Depth=1
	s_or_b32 exec_lo, exec_lo, s19
.LBB106_7:                              ;   in Loop: Header=BB106_3 Depth=1
	s_delay_alu instid0(SALU_CYCLE_1)
	s_or_b32 exec_lo, exec_lo, s11
	s_and_saveexec_b32 s2, vcc_lo
; %bb.8:                                ;   in Loop: Header=BB106_3 Depth=1
	ds_store_b64 v1, v[2:3]
; %bb.9:                                ;   in Loop: Header=BB106_3 Depth=1
	s_or_b32 exec_lo, exec_lo, s2
	ds_bpermute_b32 v6, v8, v4
	ds_bpermute_b32 v7, v8, v5
	s_wait_dscnt 0x0
	s_barrier_signal -1
	s_barrier_wait -1
	v_pk_add_f32 v[4:5], v[4:5], v[6:7]
	ds_bpermute_b32 v6, v9, v4
	ds_bpermute_b32 v7, v9, v5
	s_wait_dscnt 0x0
	v_pk_add_f32 v[4:5], v[4:5], v[6:7]
	ds_bpermute_b32 v6, v10, v4
	ds_bpermute_b32 v7, v10, v5
	s_wait_dscnt 0x0
	v_pk_add_f32 v[4:5], v[4:5], v[6:7]
	ds_bpermute_b32 v6, v11, v4
	ds_bpermute_b32 v7, v11, v5
	s_wait_dscnt 0x0
	v_pk_add_f32 v[4:5], v[4:5], v[6:7]
	ds_bpermute_b32 v6, v12, v4
	ds_bpermute_b32 v7, v12, v5
	s_and_saveexec_b32 s2, s0
	s_cbranch_execz .LBB106_11
; %bb.10:                               ;   in Loop: Header=BB106_3 Depth=1
	s_wait_dscnt 0x0
	v_pk_add_f32 v[4:5], v[4:5], v[6:7]
	ds_store_b64 v13, v[4:5]
.LBB106_11:                             ;   in Loop: Header=BB106_3 Depth=1
	s_or_b32 exec_lo, exec_lo, s2
	v_mov_b64_e32 v[4:5], 0
	s_wait_dscnt 0x0
	s_barrier_signal -1
	s_barrier_wait -1
	s_and_saveexec_b32 s2, vcc_lo
	s_cbranch_execnz .LBB106_14
; %bb.12:                               ;   in Loop: Header=BB106_3 Depth=1
	s_or_b32 exec_lo, exec_lo, s2
	s_and_saveexec_b32 s2, vcc_lo
	s_cbranch_execnz .LBB106_15
.LBB106_13:                             ;   in Loop: Header=BB106_3 Depth=1
	s_or_b32 exec_lo, exec_lo, s2
	s_and_saveexec_b32 s2, s1
	s_cbranch_execz .LBB106_2
	s_branch .LBB106_16
.LBB106_14:                             ;   in Loop: Header=BB106_3 Depth=1
	ds_load_b64 v[4:5], v1
	s_or_b32 exec_lo, exec_lo, s2
	s_and_saveexec_b32 s2, vcc_lo
	s_cbranch_execz .LBB106_13
.LBB106_15:                             ;   in Loop: Header=BB106_3 Depth=1
	s_wait_dscnt 0x0
	ds_bpermute_b32 v6, v8, v4
	ds_bpermute_b32 v7, v8, v5
	s_wait_dscnt 0x0
	v_pk_add_f32 v[4:5], v[4:5], v[6:7]
	ds_bpermute_b32 v6, v9, v4
	ds_bpermute_b32 v7, v9, v5
	s_wait_dscnt 0x0
	v_pk_add_f32 v[4:5], v[4:5], v[6:7]
	;; [unrolled: 4-line block ×5, first 2 shown]
	s_or_b32 exec_lo, exec_lo, s2
	s_and_saveexec_b32 s2, s1
	s_cbranch_execz .LBB106_2
.LBB106_16:                             ;   in Loop: Header=BB106_3 Depth=1
	s_lshl_b64 s[20:21], s[12:13], 3
	s_delay_alu instid0(SALU_CYCLE_1)
	s_add_nc_u64 s[20:21], s[8:9], s[20:21]
	s_wait_dscnt 0x0
	global_store_b64 v14, v[4:5], s[20:21]
	s_branch .LBB106_2
.LBB106_17:
	s_endpgm
	.section	.rodata,"a",@progbits
	.p2align	6, 0x0
	.amdhsa_kernel _ZL24rocblas_dot_kernel_magsqIiLb1ELi1024ELi32ELb0E19rocblas_complex_numIfEPKPKS1_S1_EviT5_lT_liPT6_PT4_
		.amdhsa_group_segment_fixed_size 256
		.amdhsa_private_segment_fixed_size 0
		.amdhsa_kernarg_size 320
		.amdhsa_user_sgpr_count 2
		.amdhsa_user_sgpr_dispatch_ptr 0
		.amdhsa_user_sgpr_queue_ptr 0
		.amdhsa_user_sgpr_kernarg_segment_ptr 1
		.amdhsa_user_sgpr_dispatch_id 0
		.amdhsa_user_sgpr_kernarg_preload_length 0
		.amdhsa_user_sgpr_kernarg_preload_offset 0
		.amdhsa_user_sgpr_private_segment_size 0
		.amdhsa_wavefront_size32 1
		.amdhsa_uses_dynamic_stack 0
		.amdhsa_enable_private_segment 0
		.amdhsa_system_sgpr_workgroup_id_x 1
		.amdhsa_system_sgpr_workgroup_id_y 0
		.amdhsa_system_sgpr_workgroup_id_z 1
		.amdhsa_system_sgpr_workgroup_info 0
		.amdhsa_system_vgpr_workitem_id 0
		.amdhsa_next_free_vgpr 22
		.amdhsa_next_free_sgpr 22
		.amdhsa_named_barrier_count 0
		.amdhsa_reserve_vcc 1
		.amdhsa_float_round_mode_32 0
		.amdhsa_float_round_mode_16_64 0
		.amdhsa_float_denorm_mode_32 3
		.amdhsa_float_denorm_mode_16_64 3
		.amdhsa_fp16_overflow 0
		.amdhsa_memory_ordered 1
		.amdhsa_forward_progress 1
		.amdhsa_inst_pref_size 9
		.amdhsa_round_robin_scheduling 0
		.amdhsa_exception_fp_ieee_invalid_op 0
		.amdhsa_exception_fp_denorm_src 0
		.amdhsa_exception_fp_ieee_div_zero 0
		.amdhsa_exception_fp_ieee_overflow 0
		.amdhsa_exception_fp_ieee_underflow 0
		.amdhsa_exception_fp_ieee_inexact 0
		.amdhsa_exception_int_div_zero 0
	.end_amdhsa_kernel
	.section	.text._ZL24rocblas_dot_kernel_magsqIiLb1ELi1024ELi32ELb0E19rocblas_complex_numIfEPKPKS1_S1_EviT5_lT_liPT6_PT4_,"axG",@progbits,_ZL24rocblas_dot_kernel_magsqIiLb1ELi1024ELi32ELb0E19rocblas_complex_numIfEPKPKS1_S1_EviT5_lT_liPT6_PT4_,comdat
.Lfunc_end106:
	.size	_ZL24rocblas_dot_kernel_magsqIiLb1ELi1024ELi32ELb0E19rocblas_complex_numIfEPKPKS1_S1_EviT5_lT_liPT6_PT4_, .Lfunc_end106-_ZL24rocblas_dot_kernel_magsqIiLb1ELi1024ELi32ELb0E19rocblas_complex_numIfEPKPKS1_S1_EviT5_lT_liPT6_PT4_
                                        ; -- End function
	.set _ZL24rocblas_dot_kernel_magsqIiLb1ELi1024ELi32ELb0E19rocblas_complex_numIfEPKPKS1_S1_EviT5_lT_liPT6_PT4_.num_vgpr, 22
	.set _ZL24rocblas_dot_kernel_magsqIiLb1ELi1024ELi32ELb0E19rocblas_complex_numIfEPKPKS1_S1_EviT5_lT_liPT6_PT4_.num_agpr, 0
	.set _ZL24rocblas_dot_kernel_magsqIiLb1ELi1024ELi32ELb0E19rocblas_complex_numIfEPKPKS1_S1_EviT5_lT_liPT6_PT4_.numbered_sgpr, 22
	.set _ZL24rocblas_dot_kernel_magsqIiLb1ELi1024ELi32ELb0E19rocblas_complex_numIfEPKPKS1_S1_EviT5_lT_liPT6_PT4_.num_named_barrier, 0
	.set _ZL24rocblas_dot_kernel_magsqIiLb1ELi1024ELi32ELb0E19rocblas_complex_numIfEPKPKS1_S1_EviT5_lT_liPT6_PT4_.private_seg_size, 0
	.set _ZL24rocblas_dot_kernel_magsqIiLb1ELi1024ELi32ELb0E19rocblas_complex_numIfEPKPKS1_S1_EviT5_lT_liPT6_PT4_.uses_vcc, 1
	.set _ZL24rocblas_dot_kernel_magsqIiLb1ELi1024ELi32ELb0E19rocblas_complex_numIfEPKPKS1_S1_EviT5_lT_liPT6_PT4_.uses_flat_scratch, 0
	.set _ZL24rocblas_dot_kernel_magsqIiLb1ELi1024ELi32ELb0E19rocblas_complex_numIfEPKPKS1_S1_EviT5_lT_liPT6_PT4_.has_dyn_sized_stack, 0
	.set _ZL24rocblas_dot_kernel_magsqIiLb1ELi1024ELi32ELb0E19rocblas_complex_numIfEPKPKS1_S1_EviT5_lT_liPT6_PT4_.has_recursion, 0
	.set _ZL24rocblas_dot_kernel_magsqIiLb1ELi1024ELi32ELb0E19rocblas_complex_numIfEPKPKS1_S1_EviT5_lT_liPT6_PT4_.has_indirect_call, 0
	.section	.AMDGPU.csdata,"",@progbits
; Kernel info:
; codeLenInByte = 1028
; TotalNumSgprs: 24
; NumVgprs: 22
; ScratchSize: 0
; MemoryBound: 0
; FloatMode: 240
; IeeeMode: 1
; LDSByteSize: 256 bytes/workgroup (compile time only)
; SGPRBlocks: 0
; VGPRBlocks: 1
; NumSGPRsForWavesPerEU: 24
; NumVGPRsForWavesPerEU: 22
; NamedBarCnt: 0
; Occupancy: 16
; WaveLimiterHint : 0
; COMPUTE_PGM_RSRC2:SCRATCH_EN: 0
; COMPUTE_PGM_RSRC2:USER_SGPR: 2
; COMPUTE_PGM_RSRC2:TRAP_HANDLER: 0
; COMPUTE_PGM_RSRC2:TGID_X_EN: 1
; COMPUTE_PGM_RSRC2:TGID_Y_EN: 0
; COMPUTE_PGM_RSRC2:TGID_Z_EN: 1
; COMPUTE_PGM_RSRC2:TIDIG_COMP_CNT: 0
	.section	.text._ZL38rocblas_dot_kernel_gfx942_float_doubleIiLi1024E19rocblas_complex_numIfEPKPKS1_S1_EviT2_lT_lS6_lS7_lPT3_PT1_,"axG",@progbits,_ZL38rocblas_dot_kernel_gfx942_float_doubleIiLi1024E19rocblas_complex_numIfEPKPKS1_S1_EviT2_lT_lS6_lS7_lPT3_PT1_,comdat
	.globl	_ZL38rocblas_dot_kernel_gfx942_float_doubleIiLi1024E19rocblas_complex_numIfEPKPKS1_S1_EviT2_lT_lS6_lS7_lPT3_PT1_ ; -- Begin function _ZL38rocblas_dot_kernel_gfx942_float_doubleIiLi1024E19rocblas_complex_numIfEPKPKS1_S1_EviT2_lT_lS6_lS7_lPT3_PT1_
	.p2align	8
	.type	_ZL38rocblas_dot_kernel_gfx942_float_doubleIiLi1024E19rocblas_complex_numIfEPKPKS1_S1_EviT2_lT_lS6_lS7_lPT3_PT1_,@function
_ZL38rocblas_dot_kernel_gfx942_float_doubleIiLi1024E19rocblas_complex_numIfEPKPKS1_S1_EviT2_lT_lS6_lS7_lPT3_PT1_: ; @_ZL38rocblas_dot_kernel_gfx942_float_doubleIiLi1024E19rocblas_complex_numIfEPKPKS1_S1_EviT2_lT_lS6_lS7_lPT3_PT1_
; %bb.0:
	s_endpgm
	.section	.rodata,"a",@progbits
	.p2align	6, 0x0
	.amdhsa_kernel _ZL38rocblas_dot_kernel_gfx942_float_doubleIiLi1024E19rocblas_complex_numIfEPKPKS1_S1_EviT2_lT_lS6_lS7_lPT3_PT1_
		.amdhsa_group_segment_fixed_size 0
		.amdhsa_private_segment_fixed_size 0
		.amdhsa_kernarg_size 88
		.amdhsa_user_sgpr_count 2
		.amdhsa_user_sgpr_dispatch_ptr 0
		.amdhsa_user_sgpr_queue_ptr 0
		.amdhsa_user_sgpr_kernarg_segment_ptr 1
		.amdhsa_user_sgpr_dispatch_id 0
		.amdhsa_user_sgpr_kernarg_preload_length 0
		.amdhsa_user_sgpr_kernarg_preload_offset 0
		.amdhsa_user_sgpr_private_segment_size 0
		.amdhsa_wavefront_size32 1
		.amdhsa_uses_dynamic_stack 0
		.amdhsa_enable_private_segment 0
		.amdhsa_system_sgpr_workgroup_id_x 1
		.amdhsa_system_sgpr_workgroup_id_y 0
		.amdhsa_system_sgpr_workgroup_id_z 0
		.amdhsa_system_sgpr_workgroup_info 0
		.amdhsa_system_vgpr_workitem_id 0
		.amdhsa_next_free_vgpr 1
		.amdhsa_next_free_sgpr 1
		.amdhsa_named_barrier_count 0
		.amdhsa_reserve_vcc 0
		.amdhsa_float_round_mode_32 0
		.amdhsa_float_round_mode_16_64 0
		.amdhsa_float_denorm_mode_32 3
		.amdhsa_float_denorm_mode_16_64 3
		.amdhsa_fp16_overflow 0
		.amdhsa_memory_ordered 1
		.amdhsa_forward_progress 1
		.amdhsa_inst_pref_size 1
		.amdhsa_round_robin_scheduling 0
		.amdhsa_exception_fp_ieee_invalid_op 0
		.amdhsa_exception_fp_denorm_src 0
		.amdhsa_exception_fp_ieee_div_zero 0
		.amdhsa_exception_fp_ieee_overflow 0
		.amdhsa_exception_fp_ieee_underflow 0
		.amdhsa_exception_fp_ieee_inexact 0
		.amdhsa_exception_int_div_zero 0
	.end_amdhsa_kernel
	.section	.text._ZL38rocblas_dot_kernel_gfx942_float_doubleIiLi1024E19rocblas_complex_numIfEPKPKS1_S1_EviT2_lT_lS6_lS7_lPT3_PT1_,"axG",@progbits,_ZL38rocblas_dot_kernel_gfx942_float_doubleIiLi1024E19rocblas_complex_numIfEPKPKS1_S1_EviT2_lT_lS6_lS7_lPT3_PT1_,comdat
.Lfunc_end107:
	.size	_ZL38rocblas_dot_kernel_gfx942_float_doubleIiLi1024E19rocblas_complex_numIfEPKPKS1_S1_EviT2_lT_lS6_lS7_lPT3_PT1_, .Lfunc_end107-_ZL38rocblas_dot_kernel_gfx942_float_doubleIiLi1024E19rocblas_complex_numIfEPKPKS1_S1_EviT2_lT_lS6_lS7_lPT3_PT1_
                                        ; -- End function
	.set _ZL38rocblas_dot_kernel_gfx942_float_doubleIiLi1024E19rocblas_complex_numIfEPKPKS1_S1_EviT2_lT_lS6_lS7_lPT3_PT1_.num_vgpr, 0
	.set _ZL38rocblas_dot_kernel_gfx942_float_doubleIiLi1024E19rocblas_complex_numIfEPKPKS1_S1_EviT2_lT_lS6_lS7_lPT3_PT1_.num_agpr, 0
	.set _ZL38rocblas_dot_kernel_gfx942_float_doubleIiLi1024E19rocblas_complex_numIfEPKPKS1_S1_EviT2_lT_lS6_lS7_lPT3_PT1_.numbered_sgpr, 0
	.set _ZL38rocblas_dot_kernel_gfx942_float_doubleIiLi1024E19rocblas_complex_numIfEPKPKS1_S1_EviT2_lT_lS6_lS7_lPT3_PT1_.num_named_barrier, 0
	.set _ZL38rocblas_dot_kernel_gfx942_float_doubleIiLi1024E19rocblas_complex_numIfEPKPKS1_S1_EviT2_lT_lS6_lS7_lPT3_PT1_.private_seg_size, 0
	.set _ZL38rocblas_dot_kernel_gfx942_float_doubleIiLi1024E19rocblas_complex_numIfEPKPKS1_S1_EviT2_lT_lS6_lS7_lPT3_PT1_.uses_vcc, 0
	.set _ZL38rocblas_dot_kernel_gfx942_float_doubleIiLi1024E19rocblas_complex_numIfEPKPKS1_S1_EviT2_lT_lS6_lS7_lPT3_PT1_.uses_flat_scratch, 0
	.set _ZL38rocblas_dot_kernel_gfx942_float_doubleIiLi1024E19rocblas_complex_numIfEPKPKS1_S1_EviT2_lT_lS6_lS7_lPT3_PT1_.has_dyn_sized_stack, 0
	.set _ZL38rocblas_dot_kernel_gfx942_float_doubleIiLi1024E19rocblas_complex_numIfEPKPKS1_S1_EviT2_lT_lS6_lS7_lPT3_PT1_.has_recursion, 0
	.set _ZL38rocblas_dot_kernel_gfx942_float_doubleIiLi1024E19rocblas_complex_numIfEPKPKS1_S1_EviT2_lT_lS6_lS7_lPT3_PT1_.has_indirect_call, 0
	.section	.AMDGPU.csdata,"",@progbits
; Kernel info:
; codeLenInByte = 4
; TotalNumSgprs: 0
; NumVgprs: 0
; ScratchSize: 0
; MemoryBound: 0
; FloatMode: 240
; IeeeMode: 1
; LDSByteSize: 0 bytes/workgroup (compile time only)
; SGPRBlocks: 0
; VGPRBlocks: 0
; NumSGPRsForWavesPerEU: 1
; NumVGPRsForWavesPerEU: 1
; NamedBarCnt: 0
; Occupancy: 16
; WaveLimiterHint : 0
; COMPUTE_PGM_RSRC2:SCRATCH_EN: 0
; COMPUTE_PGM_RSRC2:USER_SGPR: 2
; COMPUTE_PGM_RSRC2:TRAP_HANDLER: 0
; COMPUTE_PGM_RSRC2:TGID_X_EN: 1
; COMPUTE_PGM_RSRC2:TGID_Y_EN: 0
; COMPUTE_PGM_RSRC2:TGID_Z_EN: 0
; COMPUTE_PGM_RSRC2:TIDIG_COMP_CNT: 0
	.section	.text._ZL23rocblas_dot_kernel_inc1ILb0ELi512ELi2ELb0E19rocblas_complex_numIfEPKPKS1_S1_EviT4_llS6_lliPT5_PT3_,"axG",@progbits,_ZL23rocblas_dot_kernel_inc1ILb0ELi512ELi2ELb0E19rocblas_complex_numIfEPKPKS1_S1_EviT4_llS6_lliPT5_PT3_,comdat
	.globl	_ZL23rocblas_dot_kernel_inc1ILb0ELi512ELi2ELb0E19rocblas_complex_numIfEPKPKS1_S1_EviT4_llS6_lliPT5_PT3_ ; -- Begin function _ZL23rocblas_dot_kernel_inc1ILb0ELi512ELi2ELb0E19rocblas_complex_numIfEPKPKS1_S1_EviT4_llS6_lliPT5_PT3_
	.p2align	8
	.type	_ZL23rocblas_dot_kernel_inc1ILb0ELi512ELi2ELb0E19rocblas_complex_numIfEPKPKS1_S1_EviT4_llS6_lliPT5_PT3_,@function
_ZL23rocblas_dot_kernel_inc1ILb0ELi512ELi2ELb0E19rocblas_complex_numIfEPKPKS1_S1_EviT4_llS6_lliPT5_PT3_: ; @_ZL23rocblas_dot_kernel_inc1ILb0ELi512ELi2ELb0E19rocblas_complex_numIfEPKPKS1_S1_EviT4_llS6_lliPT5_PT3_
; %bb.0:
	s_load_b32 s28, s[0:1], 0x38
	s_bfe_u32 s2, ttmp6, 0x40014
	s_lshr_b32 s3, ttmp7, 16
	s_add_co_i32 s2, s2, 1
	s_bfe_u32 s5, ttmp6, 0x40008
	s_mul_i32 s4, s3, s2
	s_getreg_b32 s2, hwreg(HW_REG_IB_STS2, 6, 4)
	s_add_co_i32 s5, s5, s4
	s_cmp_eq_u32 s2, 0
	s_mov_b32 s17, 0
	s_cselect_b32 s16, s3, s5
	s_wait_kmcnt 0x0
	s_cmp_ge_u32 s16, s28
	s_cbranch_scc1 .LBB108_21
; %bb.1:
	v_mbcnt_lo_u32_b32 v3, -1, 0
	s_clause 0x4
	s_load_b32 s18, s[0:1], 0x50
	s_load_b128 s[4:7], s[0:1], 0x40
	s_load_b128 s[8:11], s[0:1], 0x20
	s_load_b128 s[12:15], s[0:1], 0x8
	s_load_b32 s29, s[0:1], 0x0
	s_bfe_u32 s3, ttmp6, 0x4000c
	s_wait_xcnt 0x0
	s_and_b32 s1, ttmp6, 15
	s_add_co_i32 s3, s3, 1
	v_cmp_gt_u32_e32 vcc_lo, 24, v3
	s_mul_i32 s3, ttmp9, s3
	v_and_b32_e32 v1, 31, v0
	s_add_co_i32 s1, s1, s3
	s_cmp_eq_u32 s2, 0
	v_cndmask_b32_e64 v4, 0, 8, vcc_lo
	v_cmp_gt_u32_e32 vcc_lo, 28, v3
	s_cselect_b32 s22, ttmp9, s1
	v_cmp_gt_u32_e64 s0, 32, v0
	v_lshl_or_b32 v2, s22, 9, v0
	v_add_lshl_u32 v10, v4, v3, 2
	v_cndmask_b32_e64 v5, 0, 4, vcc_lo
	v_cmp_gt_u32_e32 vcc_lo, 30, v3
	v_lshrrev_b32_e32 v4, 2, v0
	s_wait_kmcnt 0x0
	s_cmp_lg_u32 s18, 1
	v_cmp_eq_u32_e64 s1, 0, v1
	v_cmp_gt_u32_e64 s2, 16, v0
	v_cndmask_b32_e64 v6, 0, 2, vcc_lo
	v_cmp_ne_u32_e32 vcc_lo, 31, v3
	v_cmp_eq_u32_e64 s3, 0, v0
	s_cselect_b32 s30, -1, 0
	s_lshl_b32 s20, s18, 9
	s_mov_b32 s23, s17
	v_add_co_ci_u32_e64 v7, null, 0, v3, vcc_lo
	v_lshlrev_b32_e32 v8, 3, v1
	v_mov_b64_e32 v[0:1], 0
	v_lshl_or_b32 v9, v3, 2, 64
	v_add_lshl_u32 v11, v5, v3, 2
	v_add_lshl_u32 v12, v6, v3, 2
	v_lshlrev_b32_e32 v13, 2, v7
	v_and_b32_e32 v14, 0x78, v4
	v_mov_b32_e32 v15, 0
	s_lshl_b64 s[22:23], s[22:23], 3
	s_ashr_i32 s21, s20, 31
	s_mov_b32 s19, s17
	s_add_nc_u64 s[4:5], s[4:5], s[22:23]
	s_lshl_b64 s[14:15], s[14:15], 3
	s_lshl_b64 s[10:11], s[10:11], 3
	;; [unrolled: 1-line block ×3, first 2 shown]
	s_branch .LBB108_4
.LBB108_2:                              ;   in Loop: Header=BB108_4 Depth=1
	s_wait_dscnt 0x0
	global_store_b32 v15, v5, s[24:25] offset:4
.LBB108_3:                              ;   in Loop: Header=BB108_4 Depth=1
	s_wait_xcnt 0x0
	s_or_b32 exec_lo, exec_lo, s21
	s_add_co_i32 s16, s16, 0x10000
	s_delay_alu instid0(SALU_CYCLE_1)
	s_cmp_lt_u32 s16, s28
	s_cbranch_scc0 .LBB108_21
.LBB108_4:                              ; =>This Inner Loop Header: Depth=1
	s_wait_dscnt 0x0
	v_dual_mov_b32 v4, 0 :: v_dual_mov_b32 v5, 0
	s_mov_b32 s21, exec_lo
	v_cmpx_gt_i32_e64 s29, v2
	s_cbranch_execz .LBB108_8
; %bb.5:                                ;   in Loop: Header=BB108_4 Depth=1
	s_lshl_b64 s[24:25], s[16:17], 3
	s_mov_b32 s31, exec_lo
	s_add_nc_u64 s[26:27], s[8:9], s[24:25]
	s_add_nc_u64 s[24:25], s[12:13], s[24:25]
	s_load_b64 s[34:35], s[26:27], 0x0
	s_load_b64 s[36:37], s[24:25], 0x0
	s_wait_kmcnt 0x0
	s_wait_xcnt 0x0
	s_add_nc_u64 s[24:25], s[34:35], s[10:11]
	s_add_nc_u64 s[26:27], s[36:37], s[14:15]
	s_clause 0x1
	flat_load_b64 v[4:5], v2, s[24:25] scale_offset
	flat_load_b64 v[6:7], v2, s[26:27] scale_offset
	s_wait_loadcnt_dscnt 0x0
	v_pk_mul_f32 v[16:17], v[6:7], v[4:5] op_sel:[1,1] op_sel_hi:[0,1]
	s_delay_alu instid0(VALU_DEP_1) | instskip(SKIP_1) | instid1(VALU_DEP_2)
	v_pk_fma_f32 v[18:19], v[6:7], v[4:5], v[16:17] op_sel_hi:[1,0,1]
	v_pk_fma_f32 v[4:5], v[6:7], v[4:5], v[16:17] neg_lo:[0,0,1] neg_hi:[0,0,1]
	v_dual_mov_b32 v5, v19 :: v_dual_add_nc_u32 v6, s20, v2
	s_delay_alu instid0(VALU_DEP_1) | instskip(SKIP_1) | instid1(VALU_DEP_2)
	v_pk_add_f32 v[4:5], v[4:5], 0 op_sel_hi:[1,0]
	s_wait_xcnt 0x0
	v_cmpx_gt_i32_e64 s29, v6
	s_cbranch_execz .LBB108_7
; %bb.6:                                ;   in Loop: Header=BB108_4 Depth=1
	v_ashrrev_i32_e32 v3, 31, v2
	v_add_nc_u32_e32 v6, s20, v6
	s_delay_alu instid0(VALU_DEP_2) | instskip(NEXT) | instid1(VALU_DEP_1)
	v_lshlrev_b64_e32 v[2:3], 3, v[2:3]
	v_add_nc_u64_e32 v[16:17], s[26:27], v[2:3]
	v_add_nc_u64_e32 v[2:3], s[24:25], v[2:3]
	s_delay_alu instid0(VALU_DEP_2) | instskip(NEXT) | instid1(VALU_DEP_2)
	v_add_nc_u64_e32 v[16:17], s[22:23], v[16:17]
	v_add_nc_u64_e32 v[2:3], s[22:23], v[2:3]
	flat_load_b64 v[18:19], v[16:17]
	flat_load_b64 v[20:21], v[2:3]
	s_wait_loadcnt_dscnt 0x0
	s_wait_xcnt 0x0
	v_pk_mul_f32 v[2:3], v[18:19], v[20:21] op_sel:[1,1] op_sel_hi:[0,1]
	s_delay_alu instid0(VALU_DEP_1) | instskip(SKIP_1) | instid1(VALU_DEP_2)
	v_pk_fma_f32 v[16:17], v[18:19], v[20:21], v[2:3] op_sel_hi:[1,0,1]
	v_pk_fma_f32 v[2:3], v[18:19], v[20:21], v[2:3] neg_lo:[0,0,1] neg_hi:[0,0,1]
	v_mov_b32_e32 v3, v17
	s_delay_alu instid0(VALU_DEP_1)
	v_pk_add_f32 v[4:5], v[4:5], v[2:3]
.LBB108_7:                              ;   in Loop: Header=BB108_4 Depth=1
	s_or_b32 exec_lo, exec_lo, s31
	v_mov_b32_e32 v2, v6
.LBB108_8:                              ;   in Loop: Header=BB108_4 Depth=1
	s_or_b32 exec_lo, exec_lo, s21
	s_and_saveexec_b32 s21, s0
; %bb.9:                                ;   in Loop: Header=BB108_4 Depth=1
	ds_store_b64 v8, v[0:1]
; %bb.10:                               ;   in Loop: Header=BB108_4 Depth=1
	s_or_b32 exec_lo, exec_lo, s21
	ds_bpermute_b32 v6, v9, v4
	ds_bpermute_b32 v7, v9, v5
	s_wait_dscnt 0x0
	s_barrier_signal -1
	s_barrier_wait -1
	v_pk_add_f32 v[4:5], v[4:5], v[6:7]
	ds_bpermute_b32 v6, v10, v4
	ds_bpermute_b32 v7, v10, v5
	s_wait_dscnt 0x0
	v_pk_add_f32 v[4:5], v[4:5], v[6:7]
	ds_bpermute_b32 v6, v11, v4
	ds_bpermute_b32 v7, v11, v5
	s_wait_dscnt 0x0
	;; [unrolled: 4-line block ×3, first 2 shown]
	v_pk_add_f32 v[4:5], v[4:5], v[6:7]
	ds_bpermute_b32 v6, v13, v4
	ds_bpermute_b32 v7, v13, v5
	s_and_saveexec_b32 s21, s1
	s_cbranch_execz .LBB108_12
; %bb.11:                               ;   in Loop: Header=BB108_4 Depth=1
	s_wait_dscnt 0x0
	v_pk_add_f32 v[4:5], v[4:5], v[6:7]
	ds_store_b64 v14, v[4:5]
.LBB108_12:                             ;   in Loop: Header=BB108_4 Depth=1
	s_or_b32 exec_lo, exec_lo, s21
	v_mov_b64_e32 v[4:5], 0
	s_wait_dscnt 0x0
	s_barrier_signal -1
	s_barrier_wait -1
	s_and_saveexec_b32 s21, s2
	s_cbranch_execnz .LBB108_15
; %bb.13:                               ;   in Loop: Header=BB108_4 Depth=1
	s_or_b32 exec_lo, exec_lo, s21
	s_and_saveexec_b32 s21, s0
	s_cbranch_execnz .LBB108_16
.LBB108_14:                             ;   in Loop: Header=BB108_4 Depth=1
	s_or_b32 exec_lo, exec_lo, s21
	s_and_saveexec_b32 s21, s3
	s_cbranch_execz .LBB108_3
	s_branch .LBB108_17
.LBB108_15:                             ;   in Loop: Header=BB108_4 Depth=1
	ds_load_b64 v[4:5], v8
	s_or_b32 exec_lo, exec_lo, s21
	s_and_saveexec_b32 s21, s0
	s_cbranch_execz .LBB108_14
.LBB108_16:                             ;   in Loop: Header=BB108_4 Depth=1
	s_wait_dscnt 0x0
	ds_bpermute_b32 v6, v10, v4
	ds_bpermute_b32 v7, v10, v5
	s_wait_dscnt 0x0
	v_pk_add_f32 v[4:5], v[4:5], v[6:7]
	ds_bpermute_b32 v6, v11, v4
	ds_bpermute_b32 v7, v11, v5
	s_wait_dscnt 0x0
	v_pk_add_f32 v[4:5], v[4:5], v[6:7]
	;; [unrolled: 4-line block ×4, first 2 shown]
	s_or_b32 exec_lo, exec_lo, s21
	s_and_saveexec_b32 s21, s3
	s_cbranch_execz .LBB108_3
.LBB108_17:                             ;   in Loop: Header=BB108_4 Depth=1
	s_and_b32 vcc_lo, exec_lo, s30
	s_mov_b32 s26, -1
                                        ; implicit-def: $sgpr24_sgpr25
	s_cbranch_vccz .LBB108_19
; %bb.18:                               ;   in Loop: Header=BB108_4 Depth=1
	s_mul_u64 s[24:25], s[18:19], s[16:17]
	s_mov_b32 s26, 0
	s_lshl_b64 s[24:25], s[24:25], 3
	s_delay_alu instid0(SALU_CYCLE_1)
	s_add_nc_u64 s[24:25], s[4:5], s[24:25]
	s_wait_dscnt 0x0
	global_store_b32 v15, v4, s[24:25]
.LBB108_19:                             ;   in Loop: Header=BB108_4 Depth=1
	s_and_not1_b32 vcc_lo, exec_lo, s26
	s_cbranch_vccnz .LBB108_2
; %bb.20:                               ;   in Loop: Header=BB108_4 Depth=1
	s_wait_xcnt 0x0
	s_lshl_b64 s[24:25], s[16:17], 3
	s_delay_alu instid0(SALU_CYCLE_1)
	s_add_nc_u64 s[24:25], s[6:7], s[24:25]
	s_wait_dscnt 0x0
	global_store_b32 v15, v4, s[24:25]
	s_branch .LBB108_2
.LBB108_21:
	s_endpgm
	.section	.rodata,"a",@progbits
	.p2align	6, 0x0
	.amdhsa_kernel _ZL23rocblas_dot_kernel_inc1ILb0ELi512ELi2ELb0E19rocblas_complex_numIfEPKPKS1_S1_EviT4_llS6_lliPT5_PT3_
		.amdhsa_group_segment_fixed_size 256
		.amdhsa_private_segment_fixed_size 0
		.amdhsa_kernarg_size 336
		.amdhsa_user_sgpr_count 2
		.amdhsa_user_sgpr_dispatch_ptr 0
		.amdhsa_user_sgpr_queue_ptr 0
		.amdhsa_user_sgpr_kernarg_segment_ptr 1
		.amdhsa_user_sgpr_dispatch_id 0
		.amdhsa_user_sgpr_kernarg_preload_length 0
		.amdhsa_user_sgpr_kernarg_preload_offset 0
		.amdhsa_user_sgpr_private_segment_size 0
		.amdhsa_wavefront_size32 1
		.amdhsa_uses_dynamic_stack 0
		.amdhsa_enable_private_segment 0
		.amdhsa_system_sgpr_workgroup_id_x 1
		.amdhsa_system_sgpr_workgroup_id_y 0
		.amdhsa_system_sgpr_workgroup_id_z 1
		.amdhsa_system_sgpr_workgroup_info 0
		.amdhsa_system_vgpr_workitem_id 0
		.amdhsa_next_free_vgpr 22
		.amdhsa_next_free_sgpr 38
		.amdhsa_named_barrier_count 0
		.amdhsa_reserve_vcc 1
		.amdhsa_float_round_mode_32 0
		.amdhsa_float_round_mode_16_64 0
		.amdhsa_float_denorm_mode_32 3
		.amdhsa_float_denorm_mode_16_64 3
		.amdhsa_fp16_overflow 0
		.amdhsa_memory_ordered 1
		.amdhsa_forward_progress 1
		.amdhsa_inst_pref_size 10
		.amdhsa_round_robin_scheduling 0
		.amdhsa_exception_fp_ieee_invalid_op 0
		.amdhsa_exception_fp_denorm_src 0
		.amdhsa_exception_fp_ieee_div_zero 0
		.amdhsa_exception_fp_ieee_overflow 0
		.amdhsa_exception_fp_ieee_underflow 0
		.amdhsa_exception_fp_ieee_inexact 0
		.amdhsa_exception_int_div_zero 0
	.end_amdhsa_kernel
	.section	.text._ZL23rocblas_dot_kernel_inc1ILb0ELi512ELi2ELb0E19rocblas_complex_numIfEPKPKS1_S1_EviT4_llS6_lliPT5_PT3_,"axG",@progbits,_ZL23rocblas_dot_kernel_inc1ILb0ELi512ELi2ELb0E19rocblas_complex_numIfEPKPKS1_S1_EviT4_llS6_lliPT5_PT3_,comdat
.Lfunc_end108:
	.size	_ZL23rocblas_dot_kernel_inc1ILb0ELi512ELi2ELb0E19rocblas_complex_numIfEPKPKS1_S1_EviT4_llS6_lliPT5_PT3_, .Lfunc_end108-_ZL23rocblas_dot_kernel_inc1ILb0ELi512ELi2ELb0E19rocblas_complex_numIfEPKPKS1_S1_EviT4_llS6_lliPT5_PT3_
                                        ; -- End function
	.set _ZL23rocblas_dot_kernel_inc1ILb0ELi512ELi2ELb0E19rocblas_complex_numIfEPKPKS1_S1_EviT4_llS6_lliPT5_PT3_.num_vgpr, 22
	.set _ZL23rocblas_dot_kernel_inc1ILb0ELi512ELi2ELb0E19rocblas_complex_numIfEPKPKS1_S1_EviT4_llS6_lliPT5_PT3_.num_agpr, 0
	.set _ZL23rocblas_dot_kernel_inc1ILb0ELi512ELi2ELb0E19rocblas_complex_numIfEPKPKS1_S1_EviT4_llS6_lliPT5_PT3_.numbered_sgpr, 38
	.set _ZL23rocblas_dot_kernel_inc1ILb0ELi512ELi2ELb0E19rocblas_complex_numIfEPKPKS1_S1_EviT4_llS6_lliPT5_PT3_.num_named_barrier, 0
	.set _ZL23rocblas_dot_kernel_inc1ILb0ELi512ELi2ELb0E19rocblas_complex_numIfEPKPKS1_S1_EviT4_llS6_lliPT5_PT3_.private_seg_size, 0
	.set _ZL23rocblas_dot_kernel_inc1ILb0ELi512ELi2ELb0E19rocblas_complex_numIfEPKPKS1_S1_EviT4_llS6_lliPT5_PT3_.uses_vcc, 1
	.set _ZL23rocblas_dot_kernel_inc1ILb0ELi512ELi2ELb0E19rocblas_complex_numIfEPKPKS1_S1_EviT4_llS6_lliPT5_PT3_.uses_flat_scratch, 1
	.set _ZL23rocblas_dot_kernel_inc1ILb0ELi512ELi2ELb0E19rocblas_complex_numIfEPKPKS1_S1_EviT4_llS6_lliPT5_PT3_.has_dyn_sized_stack, 0
	.set _ZL23rocblas_dot_kernel_inc1ILb0ELi512ELi2ELb0E19rocblas_complex_numIfEPKPKS1_S1_EviT4_llS6_lliPT5_PT3_.has_recursion, 0
	.set _ZL23rocblas_dot_kernel_inc1ILb0ELi512ELi2ELb0E19rocblas_complex_numIfEPKPKS1_S1_EviT4_llS6_lliPT5_PT3_.has_indirect_call, 0
	.section	.AMDGPU.csdata,"",@progbits
; Kernel info:
; codeLenInByte = 1180
; TotalNumSgprs: 40
; NumVgprs: 22
; ScratchSize: 0
; MemoryBound: 0
; FloatMode: 240
; IeeeMode: 1
; LDSByteSize: 256 bytes/workgroup (compile time only)
; SGPRBlocks: 0
; VGPRBlocks: 1
; NumSGPRsForWavesPerEU: 40
; NumVGPRsForWavesPerEU: 22
; NamedBarCnt: 0
; Occupancy: 16
; WaveLimiterHint : 1
; COMPUTE_PGM_RSRC2:SCRATCH_EN: 0
; COMPUTE_PGM_RSRC2:USER_SGPR: 2
; COMPUTE_PGM_RSRC2:TRAP_HANDLER: 0
; COMPUTE_PGM_RSRC2:TGID_X_EN: 1
; COMPUTE_PGM_RSRC2:TGID_Y_EN: 0
; COMPUTE_PGM_RSRC2:TGID_Z_EN: 1
; COMPUTE_PGM_RSRC2:TIDIG_COMP_CNT: 0
	.section	.text._ZL18rocblas_dot_kernelIiLb0ELi512ELi2ELb0E19rocblas_complex_numIfEPKPKS1_S1_EviT5_lT_lS6_lS7_liPT6_PT4_,"axG",@progbits,_ZL18rocblas_dot_kernelIiLb0ELi512ELi2ELb0E19rocblas_complex_numIfEPKPKS1_S1_EviT5_lT_lS6_lS7_liPT6_PT4_,comdat
	.globl	_ZL18rocblas_dot_kernelIiLb0ELi512ELi2ELb0E19rocblas_complex_numIfEPKPKS1_S1_EviT5_lT_lS6_lS7_liPT6_PT4_ ; -- Begin function _ZL18rocblas_dot_kernelIiLb0ELi512ELi2ELb0E19rocblas_complex_numIfEPKPKS1_S1_EviT5_lT_lS6_lS7_liPT6_PT4_
	.p2align	8
	.type	_ZL18rocblas_dot_kernelIiLb0ELi512ELi2ELb0E19rocblas_complex_numIfEPKPKS1_S1_EviT5_lT_lS6_lS7_liPT6_PT4_,@function
_ZL18rocblas_dot_kernelIiLb0ELi512ELi2ELb0E19rocblas_complex_numIfEPKPKS1_S1_EviT5_lT_lS6_lS7_liPT6_PT4_: ; @_ZL18rocblas_dot_kernelIiLb0ELi512ELi2ELb0E19rocblas_complex_numIfEPKPKS1_S1_EviT5_lT_lS6_lS7_liPT6_PT4_
; %bb.0:
	s_load_b32 s28, s[0:1], 0x48
	s_bfe_u32 s2, ttmp6, 0x40014
	s_lshr_b32 s3, ttmp7, 16
	s_add_co_i32 s2, s2, 1
	s_bfe_u32 s5, ttmp6, 0x40008
	s_mul_i32 s4, s3, s2
	s_getreg_b32 s2, hwreg(HW_REG_IB_STS2, 6, 4)
	s_add_co_i32 s5, s5, s4
	s_cmp_eq_u32 s2, 0
	s_mov_b32 s17, 0
	s_cselect_b32 s16, s3, s5
	s_wait_kmcnt 0x0
	s_cmp_ge_u32 s16, s28
	s_cbranch_scc1 .LBB109_21
; %bb.1:
	v_mbcnt_lo_u32_b32 v3, -1, 0
	s_clause 0x6
	s_load_b32 s18, s[0:1], 0x18
	s_load_b32 s20, s[0:1], 0x38
	;; [unrolled: 1-line block ×3, first 2 shown]
	s_load_b128 s[4:7], s[0:1], 0x50
	s_load_b128 s[8:11], s[0:1], 0x28
	;; [unrolled: 1-line block ×3, first 2 shown]
	s_load_b32 s29, s[0:1], 0x0
	s_bfe_u32 s3, ttmp6, 0x4000c
	s_wait_xcnt 0x0
	s_and_b32 s1, ttmp6, 15
	s_add_co_i32 s3, s3, 1
	v_cmp_gt_u32_e32 vcc_lo, 24, v3
	s_mul_i32 s3, ttmp9, s3
	v_and_b32_e32 v1, 31, v0
	s_add_co_i32 s1, s1, s3
	v_cmp_gt_u32_e64 s0, 32, v0
	v_cndmask_b32_e64 v4, 0, 8, vcc_lo
	v_cmp_gt_u32_e32 vcc_lo, 28, v3
	v_cmp_eq_u32_e64 s3, 0, v0
	s_mov_b32 s25, s17
	v_lshl_or_b32 v9, v3, 2, 64
	s_wait_kmcnt 0x0
	s_ashr_i32 s19, s18, 31
	v_cndmask_b32_e64 v5, 0, 4, vcc_lo
	v_cmp_gt_u32_e32 vcc_lo, 30, v3
	s_ashr_i32 s21, s20, 31
	s_cmp_eq_u32 s2, 0
	v_add_lshl_u32 v10, v4, v3, 2
	v_lshrrev_b32_e32 v4, 2, v0
	v_cndmask_b32_e64 v6, 0, 2, vcc_lo
	v_cmp_ne_u32_e32 vcc_lo, 31, v3
	s_cselect_b32 s24, ttmp9, s1
	v_cmp_eq_u32_e64 s1, 0, v1
	v_lshl_or_b32 v2, s24, 9, v0
	v_cmp_gt_u32_e64 s2, 16, v0
	v_add_co_ci_u32_e64 v7, null, 0, v3, vcc_lo
	v_lshlrev_b32_e32 v8, 3, v1
	v_mov_b64_e32 v[0:1], 0
	s_cmp_lg_u32 s22, 1
	v_add_lshl_u32 v11, v5, v3, 2
	v_add_lshl_u32 v12, v6, v3, 2
	v_lshlrev_b32_e32 v13, 2, v7
	v_and_b32_e32 v14, 0x78, v4
	v_mov_b32_e32 v15, 0
	s_cselect_b32 s30, -1, 0
	s_lshl_b64 s[24:25], s[24:25], 3
	s_mov_b32 s23, s17
	s_lshl_b32 s31, s22, 9
	s_add_nc_u64 s[4:5], s[4:5], s[24:25]
	s_lshl_b64 s[14:15], s[14:15], 3
	s_lshl_b64 s[10:11], s[10:11], 3
	s_branch .LBB109_4
.LBB109_2:                              ;   in Loop: Header=BB109_4 Depth=1
	s_wait_dscnt 0x0
	global_store_b32 v15, v5, s[24:25] offset:4
.LBB109_3:                              ;   in Loop: Header=BB109_4 Depth=1
	s_wait_xcnt 0x0
	s_or_b32 exec_lo, exec_lo, s26
	s_add_co_i32 s16, s16, 0x10000
	s_delay_alu instid0(SALU_CYCLE_1)
	s_cmp_lt_u32 s16, s28
	s_cbranch_scc0 .LBB109_21
.LBB109_4:                              ; =>This Inner Loop Header: Depth=1
	s_wait_dscnt 0x0
	v_dual_mov_b32 v4, 0 :: v_dual_mov_b32 v5, 0
	s_mov_b32 s33, exec_lo
	v_cmpx_gt_i32_e64 s29, v2
	s_cbranch_execz .LBB109_8
; %bb.5:                                ;   in Loop: Header=BB109_4 Depth=1
	v_ashrrev_i32_e32 v3, 31, v2
	s_lshl_b64 s[24:25], s[16:17], 3
	s_delay_alu instid0(SALU_CYCLE_1) | instskip(SKIP_1) | instid1(VALU_DEP_1)
	s_add_nc_u64 s[26:27], s[8:9], s[24:25]
	s_add_nc_u64 s[24:25], s[12:13], s[24:25]
	v_mul_u64_e32 v[4:5], s[20:21], v[2:3]
	v_mul_u64_e32 v[6:7], s[18:19], v[2:3]
	s_load_b64 s[34:35], s[26:27], 0x0
	s_load_b64 s[36:37], s[24:25], 0x0
	v_add_nc_u32_e32 v2, s31, v2
	s_wait_kmcnt 0x0
	s_wait_xcnt 0x0
	s_add_nc_u64 s[24:25], s[34:35], s[10:11]
	s_add_nc_u64 s[26:27], s[36:37], s[14:15]
	s_mov_b32 s34, exec_lo
	s_delay_alu instid0(VALU_DEP_3) | instskip(NEXT) | instid1(VALU_DEP_3)
	v_lshl_add_u64 v[4:5], v[4:5], 3, s[24:25]
	v_lshl_add_u64 v[6:7], v[6:7], 3, s[26:27]
	flat_load_b64 v[16:17], v[4:5]
	flat_load_b64 v[18:19], v[6:7]
	s_wait_loadcnt_dscnt 0x0
	s_wait_xcnt 0x1
	v_pk_mul_f32 v[4:5], v[18:19], v[16:17] op_sel:[1,1] op_sel_hi:[0,1]
	s_wait_xcnt 0x0
	s_delay_alu instid0(VALU_DEP_1) | instskip(SKIP_1) | instid1(VALU_DEP_2)
	v_pk_fma_f32 v[6:7], v[18:19], v[16:17], v[4:5] op_sel_hi:[1,0,1]
	v_pk_fma_f32 v[4:5], v[18:19], v[16:17], v[4:5] neg_lo:[0,0,1] neg_hi:[0,0,1]
	v_mov_b32_e32 v5, v7
	s_delay_alu instid0(VALU_DEP_1)
	v_pk_add_f32 v[4:5], v[4:5], 0 op_sel_hi:[1,0]
	v_cmpx_gt_i32_e64 s29, v2
	s_cbranch_execz .LBB109_7
; %bb.6:                                ;   in Loop: Header=BB109_4 Depth=1
	v_ashrrev_i32_e32 v3, 31, v2
	s_delay_alu instid0(VALU_DEP_1) | instskip(SKIP_2) | instid1(VALU_DEP_3)
	v_mul_u64_e32 v[6:7], s[18:19], v[2:3]
	v_mul_u64_e32 v[16:17], s[20:21], v[2:3]
	v_add_nc_u32_e32 v2, s31, v2
	v_lshl_add_u64 v[6:7], v[6:7], 3, s[26:27]
	s_delay_alu instid0(VALU_DEP_3)
	v_lshl_add_u64 v[16:17], v[16:17], 3, s[24:25]
	flat_load_b64 v[18:19], v[6:7]
	flat_load_b64 v[20:21], v[16:17]
	s_wait_loadcnt_dscnt 0x0
	s_wait_xcnt 0x1
	v_pk_mul_f32 v[6:7], v[18:19], v[20:21] op_sel:[1,1] op_sel_hi:[0,1]
	s_wait_xcnt 0x0
	s_delay_alu instid0(VALU_DEP_1) | instskip(SKIP_1) | instid1(VALU_DEP_2)
	v_pk_fma_f32 v[16:17], v[18:19], v[20:21], v[6:7] op_sel_hi:[1,0,1]
	v_pk_fma_f32 v[6:7], v[18:19], v[20:21], v[6:7] neg_lo:[0,0,1] neg_hi:[0,0,1]
	v_mov_b32_e32 v7, v17
	s_delay_alu instid0(VALU_DEP_1)
	v_pk_add_f32 v[4:5], v[4:5], v[6:7]
.LBB109_7:                              ;   in Loop: Header=BB109_4 Depth=1
	s_or_b32 exec_lo, exec_lo, s34
.LBB109_8:                              ;   in Loop: Header=BB109_4 Depth=1
	s_delay_alu instid0(SALU_CYCLE_1)
	s_or_b32 exec_lo, exec_lo, s33
	s_and_saveexec_b32 s24, s0
; %bb.9:                                ;   in Loop: Header=BB109_4 Depth=1
	ds_store_b64 v8, v[0:1]
; %bb.10:                               ;   in Loop: Header=BB109_4 Depth=1
	s_or_b32 exec_lo, exec_lo, s24
	ds_bpermute_b32 v6, v9, v4
	ds_bpermute_b32 v7, v9, v5
	s_wait_dscnt 0x0
	s_barrier_signal -1
	s_barrier_wait -1
	v_pk_add_f32 v[4:5], v[4:5], v[6:7]
	ds_bpermute_b32 v6, v10, v4
	ds_bpermute_b32 v7, v10, v5
	s_wait_dscnt 0x0
	v_pk_add_f32 v[4:5], v[4:5], v[6:7]
	ds_bpermute_b32 v6, v11, v4
	ds_bpermute_b32 v7, v11, v5
	s_wait_dscnt 0x0
	v_pk_add_f32 v[4:5], v[4:5], v[6:7]
	ds_bpermute_b32 v6, v12, v4
	ds_bpermute_b32 v7, v12, v5
	s_wait_dscnt 0x0
	v_pk_add_f32 v[4:5], v[4:5], v[6:7]
	ds_bpermute_b32 v6, v13, v4
	ds_bpermute_b32 v7, v13, v5
	s_and_saveexec_b32 s24, s1
	s_cbranch_execz .LBB109_12
; %bb.11:                               ;   in Loop: Header=BB109_4 Depth=1
	s_wait_dscnt 0x0
	v_pk_add_f32 v[4:5], v[4:5], v[6:7]
	ds_store_b64 v14, v[4:5]
.LBB109_12:                             ;   in Loop: Header=BB109_4 Depth=1
	s_or_b32 exec_lo, exec_lo, s24
	v_mov_b64_e32 v[4:5], 0
	s_wait_dscnt 0x0
	s_barrier_signal -1
	s_barrier_wait -1
	s_and_saveexec_b32 s24, s2
	s_cbranch_execnz .LBB109_15
; %bb.13:                               ;   in Loop: Header=BB109_4 Depth=1
	s_or_b32 exec_lo, exec_lo, s24
	s_and_saveexec_b32 s24, s0
	s_cbranch_execnz .LBB109_16
.LBB109_14:                             ;   in Loop: Header=BB109_4 Depth=1
	s_or_b32 exec_lo, exec_lo, s24
	s_and_saveexec_b32 s26, s3
	s_cbranch_execz .LBB109_3
	s_branch .LBB109_17
.LBB109_15:                             ;   in Loop: Header=BB109_4 Depth=1
	ds_load_b64 v[4:5], v8
	s_or_b32 exec_lo, exec_lo, s24
	s_and_saveexec_b32 s24, s0
	s_cbranch_execz .LBB109_14
.LBB109_16:                             ;   in Loop: Header=BB109_4 Depth=1
	s_wait_dscnt 0x0
	ds_bpermute_b32 v6, v10, v4
	ds_bpermute_b32 v7, v10, v5
	s_wait_dscnt 0x0
	v_pk_add_f32 v[4:5], v[4:5], v[6:7]
	ds_bpermute_b32 v6, v11, v4
	ds_bpermute_b32 v7, v11, v5
	s_wait_dscnt 0x0
	v_pk_add_f32 v[4:5], v[4:5], v[6:7]
	;; [unrolled: 4-line block ×4, first 2 shown]
	s_or_b32 exec_lo, exec_lo, s24
	s_and_saveexec_b32 s26, s3
	s_cbranch_execz .LBB109_3
.LBB109_17:                             ;   in Loop: Header=BB109_4 Depth=1
	s_and_b32 vcc_lo, exec_lo, s30
	s_mov_b32 s27, -1
                                        ; implicit-def: $sgpr24_sgpr25
	s_cbranch_vccz .LBB109_19
; %bb.18:                               ;   in Loop: Header=BB109_4 Depth=1
	s_mul_u64 s[24:25], s[22:23], s[16:17]
	s_mov_b32 s27, 0
	s_lshl_b64 s[24:25], s[24:25], 3
	s_delay_alu instid0(SALU_CYCLE_1)
	s_add_nc_u64 s[24:25], s[4:5], s[24:25]
	s_wait_dscnt 0x0
	global_store_b32 v15, v4, s[24:25]
.LBB109_19:                             ;   in Loop: Header=BB109_4 Depth=1
	s_and_not1_b32 vcc_lo, exec_lo, s27
	s_cbranch_vccnz .LBB109_2
; %bb.20:                               ;   in Loop: Header=BB109_4 Depth=1
	s_wait_xcnt 0x0
	s_lshl_b64 s[24:25], s[16:17], 3
	s_delay_alu instid0(SALU_CYCLE_1)
	s_add_nc_u64 s[24:25], s[6:7], s[24:25]
	s_wait_dscnt 0x0
	global_store_b32 v15, v4, s[24:25]
	s_branch .LBB109_2
.LBB109_21:
	s_endpgm
	.section	.rodata,"a",@progbits
	.p2align	6, 0x0
	.amdhsa_kernel _ZL18rocblas_dot_kernelIiLb0ELi512ELi2ELb0E19rocblas_complex_numIfEPKPKS1_S1_EviT5_lT_lS6_lS7_liPT6_PT4_
		.amdhsa_group_segment_fixed_size 256
		.amdhsa_private_segment_fixed_size 0
		.amdhsa_kernarg_size 352
		.amdhsa_user_sgpr_count 2
		.amdhsa_user_sgpr_dispatch_ptr 0
		.amdhsa_user_sgpr_queue_ptr 0
		.amdhsa_user_sgpr_kernarg_segment_ptr 1
		.amdhsa_user_sgpr_dispatch_id 0
		.amdhsa_user_sgpr_kernarg_preload_length 0
		.amdhsa_user_sgpr_kernarg_preload_offset 0
		.amdhsa_user_sgpr_private_segment_size 0
		.amdhsa_wavefront_size32 1
		.amdhsa_uses_dynamic_stack 0
		.amdhsa_enable_private_segment 0
		.amdhsa_system_sgpr_workgroup_id_x 1
		.amdhsa_system_sgpr_workgroup_id_y 0
		.amdhsa_system_sgpr_workgroup_id_z 1
		.amdhsa_system_sgpr_workgroup_info 0
		.amdhsa_system_vgpr_workitem_id 0
		.amdhsa_next_free_vgpr 22
		.amdhsa_next_free_sgpr 38
		.amdhsa_named_barrier_count 0
		.amdhsa_reserve_vcc 1
		.amdhsa_float_round_mode_32 0
		.amdhsa_float_round_mode_16_64 0
		.amdhsa_float_denorm_mode_32 3
		.amdhsa_float_denorm_mode_16_64 3
		.amdhsa_fp16_overflow 0
		.amdhsa_memory_ordered 1
		.amdhsa_forward_progress 1
		.amdhsa_inst_pref_size 10
		.amdhsa_round_robin_scheduling 0
		.amdhsa_exception_fp_ieee_invalid_op 0
		.amdhsa_exception_fp_denorm_src 0
		.amdhsa_exception_fp_ieee_div_zero 0
		.amdhsa_exception_fp_ieee_overflow 0
		.amdhsa_exception_fp_ieee_underflow 0
		.amdhsa_exception_fp_ieee_inexact 0
		.amdhsa_exception_int_div_zero 0
	.end_amdhsa_kernel
	.section	.text._ZL18rocblas_dot_kernelIiLb0ELi512ELi2ELb0E19rocblas_complex_numIfEPKPKS1_S1_EviT5_lT_lS6_lS7_liPT6_PT4_,"axG",@progbits,_ZL18rocblas_dot_kernelIiLb0ELi512ELi2ELb0E19rocblas_complex_numIfEPKPKS1_S1_EviT5_lT_lS6_lS7_liPT6_PT4_,comdat
.Lfunc_end109:
	.size	_ZL18rocblas_dot_kernelIiLb0ELi512ELi2ELb0E19rocblas_complex_numIfEPKPKS1_S1_EviT5_lT_lS6_lS7_liPT6_PT4_, .Lfunc_end109-_ZL18rocblas_dot_kernelIiLb0ELi512ELi2ELb0E19rocblas_complex_numIfEPKPKS1_S1_EviT5_lT_lS6_lS7_liPT6_PT4_
                                        ; -- End function
	.set _ZL18rocblas_dot_kernelIiLb0ELi512ELi2ELb0E19rocblas_complex_numIfEPKPKS1_S1_EviT5_lT_lS6_lS7_liPT6_PT4_.num_vgpr, 22
	.set _ZL18rocblas_dot_kernelIiLb0ELi512ELi2ELb0E19rocblas_complex_numIfEPKPKS1_S1_EviT5_lT_lS6_lS7_liPT6_PT4_.num_agpr, 0
	.set _ZL18rocblas_dot_kernelIiLb0ELi512ELi2ELb0E19rocblas_complex_numIfEPKPKS1_S1_EviT5_lT_lS6_lS7_liPT6_PT4_.numbered_sgpr, 38
	.set _ZL18rocblas_dot_kernelIiLb0ELi512ELi2ELb0E19rocblas_complex_numIfEPKPKS1_S1_EviT5_lT_lS6_lS7_liPT6_PT4_.num_named_barrier, 0
	.set _ZL18rocblas_dot_kernelIiLb0ELi512ELi2ELb0E19rocblas_complex_numIfEPKPKS1_S1_EviT5_lT_lS6_lS7_liPT6_PT4_.private_seg_size, 0
	.set _ZL18rocblas_dot_kernelIiLb0ELi512ELi2ELb0E19rocblas_complex_numIfEPKPKS1_S1_EviT5_lT_lS6_lS7_liPT6_PT4_.uses_vcc, 1
	.set _ZL18rocblas_dot_kernelIiLb0ELi512ELi2ELb0E19rocblas_complex_numIfEPKPKS1_S1_EviT5_lT_lS6_lS7_liPT6_PT4_.uses_flat_scratch, 0
	.set _ZL18rocblas_dot_kernelIiLb0ELi512ELi2ELb0E19rocblas_complex_numIfEPKPKS1_S1_EviT5_lT_lS6_lS7_liPT6_PT4_.has_dyn_sized_stack, 0
	.set _ZL18rocblas_dot_kernelIiLb0ELi512ELi2ELb0E19rocblas_complex_numIfEPKPKS1_S1_EviT5_lT_lS6_lS7_liPT6_PT4_.has_recursion, 0
	.set _ZL18rocblas_dot_kernelIiLb0ELi512ELi2ELb0E19rocblas_complex_numIfEPKPKS1_S1_EviT5_lT_lS6_lS7_liPT6_PT4_.has_indirect_call, 0
	.section	.AMDGPU.csdata,"",@progbits
; Kernel info:
; codeLenInByte = 1240
; TotalNumSgprs: 40
; NumVgprs: 22
; ScratchSize: 0
; MemoryBound: 0
; FloatMode: 240
; IeeeMode: 1
; LDSByteSize: 256 bytes/workgroup (compile time only)
; SGPRBlocks: 0
; VGPRBlocks: 1
; NumSGPRsForWavesPerEU: 40
; NumVGPRsForWavesPerEU: 22
; NamedBarCnt: 0
; Occupancy: 16
; WaveLimiterHint : 1
; COMPUTE_PGM_RSRC2:SCRATCH_EN: 0
; COMPUTE_PGM_RSRC2:USER_SGPR: 2
; COMPUTE_PGM_RSRC2:TRAP_HANDLER: 0
; COMPUTE_PGM_RSRC2:TGID_X_EN: 1
; COMPUTE_PGM_RSRC2:TGID_Y_EN: 0
; COMPUTE_PGM_RSRC2:TGID_Z_EN: 1
; COMPUTE_PGM_RSRC2:TIDIG_COMP_CNT: 0
	.section	.text._ZL24rocblas_dot_kernel_magsqIiLb0ELi512ELi2ELb0E19rocblas_complex_numIfEPKPKS1_S1_EviT5_lT_liPT6_PT4_,"axG",@progbits,_ZL24rocblas_dot_kernel_magsqIiLb0ELi512ELi2ELb0E19rocblas_complex_numIfEPKPKS1_S1_EviT5_lT_liPT6_PT4_,comdat
	.globl	_ZL24rocblas_dot_kernel_magsqIiLb0ELi512ELi2ELb0E19rocblas_complex_numIfEPKPKS1_S1_EviT5_lT_liPT6_PT4_ ; -- Begin function _ZL24rocblas_dot_kernel_magsqIiLb0ELi512ELi2ELb0E19rocblas_complex_numIfEPKPKS1_S1_EviT5_lT_liPT6_PT4_
	.p2align	8
	.type	_ZL24rocblas_dot_kernel_magsqIiLb0ELi512ELi2ELb0E19rocblas_complex_numIfEPKPKS1_S1_EviT5_lT_liPT6_PT4_,@function
_ZL24rocblas_dot_kernel_magsqIiLb0ELi512ELi2ELb0E19rocblas_complex_numIfEPKPKS1_S1_EviT5_lT_liPT6_PT4_: ; @_ZL24rocblas_dot_kernel_magsqIiLb0ELi512ELi2ELb0E19rocblas_complex_numIfEPKPKS1_S1_EviT5_lT_liPT6_PT4_
; %bb.0:
	s_load_b32 s20, s[0:1], 0x28
	s_bfe_u32 s2, ttmp6, 0x40014
	s_lshr_b32 s3, ttmp7, 16
	s_add_co_i32 s2, s2, 1
	s_bfe_u32 s5, ttmp6, 0x40008
	s_mul_i32 s4, s3, s2
	s_getreg_b32 s2, hwreg(HW_REG_IB_STS2, 6, 4)
	s_add_co_i32 s5, s5, s4
	s_cmp_eq_u32 s2, 0
	s_mov_b32 s13, 0
	s_cselect_b32 s12, s3, s5
	s_wait_kmcnt 0x0
	s_cmp_ge_u32 s12, s20
	s_cbranch_scc1 .LBB110_21
; %bb.1:
	v_mbcnt_lo_u32_b32 v3, -1, 0
	s_clause 0x4
	s_load_b32 s14, s[0:1], 0x18
	s_load_b128 s[4:7], s[0:1], 0x30
	s_load_b32 s16, s[0:1], 0x40
	s_load_b128 s[8:11], s[0:1], 0x8
	s_load_b32 s21, s[0:1], 0x0
	s_wait_xcnt 0x0
	s_bfe_u32 s0, ttmp6, 0x4000c
	s_and_b32 s1, ttmp6, 15
	s_add_co_i32 s3, s0, 1
	v_cmp_gt_u32_e32 vcc_lo, 24, v3
	s_mul_i32 s3, ttmp9, s3
	v_and_b32_e32 v1, 31, v0
	s_add_co_i32 s1, s1, s3
	v_cmp_gt_u32_e64 s0, 32, v0
	v_cndmask_b32_e64 v4, 0, 8, vcc_lo
	v_cmp_gt_u32_e32 vcc_lo, 28, v3
	v_cmp_eq_u32_e64 s3, 0, v0
	s_mov_b32 s19, s13
	v_lshl_or_b32 v9, v3, 2, 64
	v_add_lshl_u32 v10, v4, v3, 2
	v_cndmask_b32_e64 v5, 0, 4, vcc_lo
	v_cmp_gt_u32_e32 vcc_lo, 30, v3
	s_wait_kmcnt 0x0
	s_ashr_i32 s15, s14, 31
	s_cmp_eq_u32 s2, 0
	v_lshrrev_b32_e32 v4, 2, v0
	s_cselect_b32 s18, ttmp9, s1
	v_cndmask_b32_e64 v6, 0, 2, vcc_lo
	v_cmp_ne_u32_e32 vcc_lo, 31, v3
	v_lshl_or_b32 v2, s18, 9, v0
	v_cmp_eq_u32_e64 s1, 0, v1
	v_cmp_gt_u32_e64 s2, 16, v0
	s_cmp_lg_u32 s16, 1
	v_add_co_ci_u32_e64 v7, null, 0, v3, vcc_lo
	v_lshlrev_b32_e32 v8, 3, v1
	v_mov_b64_e32 v[0:1], 0
	v_add_lshl_u32 v11, v5, v3, 2
	v_add_lshl_u32 v12, v6, v3, 2
	v_lshlrev_b32_e32 v13, 2, v7
	v_and_b32_e32 v14, 0x78, v4
	v_mov_b32_e32 v15, 0
	s_cselect_b32 s22, -1, 0
	s_lshl_b64 s[18:19], s[18:19], 3
	s_mov_b32 s17, s13
	s_lshl_b32 s23, s16, 9
	s_add_nc_u64 s[4:5], s[4:5], s[18:19]
	s_lshl_b64 s[10:11], s[10:11], 3
	s_branch .LBB110_4
.LBB110_2:                              ;   in Loop: Header=BB110_4 Depth=1
	s_wait_dscnt 0x0
	global_store_b32 v15, v5, s[18:19] offset:4
.LBB110_3:                              ;   in Loop: Header=BB110_4 Depth=1
	s_wait_xcnt 0x0
	s_or_b32 exec_lo, exec_lo, s24
	s_add_co_i32 s12, s12, 0x10000
	s_delay_alu instid0(SALU_CYCLE_1)
	s_cmp_lt_u32 s12, s20
	s_cbranch_scc0 .LBB110_21
.LBB110_4:                              ; =>This Inner Loop Header: Depth=1
	s_wait_dscnt 0x0
	v_dual_mov_b32 v4, 0 :: v_dual_mov_b32 v5, 0
	s_mov_b32 s24, exec_lo
	v_cmpx_gt_i32_e64 s21, v2
	s_cbranch_execz .LBB110_8
; %bb.5:                                ;   in Loop: Header=BB110_4 Depth=1
	v_ashrrev_i32_e32 v3, 31, v2
	s_lshl_b64 s[18:19], s[12:13], 3
	s_mov_b32 s25, exec_lo
	s_add_nc_u64 s[18:19], s[8:9], s[18:19]
	s_load_b64 s[18:19], s[18:19], 0x0
	v_mul_u64_e32 v[4:5], s[14:15], v[2:3]
	v_add_nc_u32_e32 v2, s23, v2
	s_wait_kmcnt 0x0
	s_wait_xcnt 0x0
	s_add_nc_u64 s[18:19], s[18:19], s[10:11]
	s_delay_alu instid0(VALU_DEP_2) | instid1(SALU_CYCLE_1)
	v_lshl_add_u64 v[4:5], v[4:5], 3, s[18:19]
	flat_load_b64 v[4:5], v[4:5]
	s_wait_loadcnt_dscnt 0x0
	v_pk_mul_f32 v[6:7], v[4:5], v[4:5] op_sel:[1,1] op_sel_hi:[0,1]
	s_delay_alu instid0(VALU_DEP_1) | instskip(SKIP_2) | instid1(VALU_DEP_2)
	v_pk_fma_f32 v[16:17], v[4:5], v[4:5], v[6:7] op_sel_hi:[0,1,1]
	s_wait_xcnt 0x0
	v_pk_fma_f32 v[4:5], v[4:5], v[4:5], v[6:7] neg_lo:[0,0,1] neg_hi:[0,0,1]
	v_mov_b32_e32 v5, v17
	s_delay_alu instid0(VALU_DEP_1)
	v_pk_add_f32 v[4:5], v[4:5], 0 op_sel_hi:[1,0]
	v_cmpx_gt_i32_e64 s21, v2
	s_cbranch_execz .LBB110_7
; %bb.6:                                ;   in Loop: Header=BB110_4 Depth=1
	v_ashrrev_i32_e32 v3, 31, v2
	s_delay_alu instid0(VALU_DEP_1) | instskip(SKIP_1) | instid1(VALU_DEP_2)
	v_mul_u64_e32 v[6:7], s[14:15], v[2:3]
	v_add_nc_u32_e32 v2, s23, v2
	v_lshl_add_u64 v[6:7], v[6:7], 3, s[18:19]
	flat_load_b64 v[6:7], v[6:7]
	s_wait_loadcnt_dscnt 0x0
	v_pk_mul_f32 v[16:17], v[6:7], v[6:7] op_sel:[1,1] op_sel_hi:[0,1]
	s_delay_alu instid0(VALU_DEP_1) | instskip(SKIP_2) | instid1(VALU_DEP_2)
	v_pk_fma_f32 v[18:19], v[6:7], v[6:7], v[16:17] op_sel_hi:[0,1,1]
	s_wait_xcnt 0x0
	v_pk_fma_f32 v[6:7], v[6:7], v[6:7], v[16:17] neg_lo:[0,0,1] neg_hi:[0,0,1]
	v_mov_b32_e32 v7, v19
	s_delay_alu instid0(VALU_DEP_1)
	v_pk_add_f32 v[4:5], v[4:5], v[6:7]
.LBB110_7:                              ;   in Loop: Header=BB110_4 Depth=1
	s_or_b32 exec_lo, exec_lo, s25
.LBB110_8:                              ;   in Loop: Header=BB110_4 Depth=1
	s_delay_alu instid0(SALU_CYCLE_1)
	s_or_b32 exec_lo, exec_lo, s24
	s_and_saveexec_b32 s18, s0
; %bb.9:                                ;   in Loop: Header=BB110_4 Depth=1
	ds_store_b64 v8, v[0:1]
; %bb.10:                               ;   in Loop: Header=BB110_4 Depth=1
	s_or_b32 exec_lo, exec_lo, s18
	ds_bpermute_b32 v6, v9, v4
	ds_bpermute_b32 v7, v9, v5
	s_wait_dscnt 0x0
	s_barrier_signal -1
	s_barrier_wait -1
	v_pk_add_f32 v[4:5], v[4:5], v[6:7]
	ds_bpermute_b32 v6, v10, v4
	ds_bpermute_b32 v7, v10, v5
	s_wait_dscnt 0x0
	v_pk_add_f32 v[4:5], v[4:5], v[6:7]
	ds_bpermute_b32 v6, v11, v4
	ds_bpermute_b32 v7, v11, v5
	s_wait_dscnt 0x0
	;; [unrolled: 4-line block ×3, first 2 shown]
	v_pk_add_f32 v[4:5], v[4:5], v[6:7]
	ds_bpermute_b32 v6, v13, v4
	ds_bpermute_b32 v7, v13, v5
	s_and_saveexec_b32 s18, s1
	s_cbranch_execz .LBB110_12
; %bb.11:                               ;   in Loop: Header=BB110_4 Depth=1
	s_wait_dscnt 0x0
	v_pk_add_f32 v[4:5], v[4:5], v[6:7]
	ds_store_b64 v14, v[4:5]
.LBB110_12:                             ;   in Loop: Header=BB110_4 Depth=1
	s_or_b32 exec_lo, exec_lo, s18
	v_mov_b64_e32 v[4:5], 0
	s_wait_dscnt 0x0
	s_barrier_signal -1
	s_barrier_wait -1
	s_and_saveexec_b32 s18, s2
	s_cbranch_execnz .LBB110_15
; %bb.13:                               ;   in Loop: Header=BB110_4 Depth=1
	s_or_b32 exec_lo, exec_lo, s18
	s_and_saveexec_b32 s18, s0
	s_cbranch_execnz .LBB110_16
.LBB110_14:                             ;   in Loop: Header=BB110_4 Depth=1
	s_or_b32 exec_lo, exec_lo, s18
	s_and_saveexec_b32 s24, s3
	s_cbranch_execz .LBB110_3
	s_branch .LBB110_17
.LBB110_15:                             ;   in Loop: Header=BB110_4 Depth=1
	ds_load_b64 v[4:5], v8
	s_or_b32 exec_lo, exec_lo, s18
	s_and_saveexec_b32 s18, s0
	s_cbranch_execz .LBB110_14
.LBB110_16:                             ;   in Loop: Header=BB110_4 Depth=1
	s_wait_dscnt 0x0
	ds_bpermute_b32 v6, v10, v4
	ds_bpermute_b32 v7, v10, v5
	s_wait_dscnt 0x0
	v_pk_add_f32 v[4:5], v[4:5], v[6:7]
	ds_bpermute_b32 v6, v11, v4
	ds_bpermute_b32 v7, v11, v5
	s_wait_dscnt 0x0
	v_pk_add_f32 v[4:5], v[4:5], v[6:7]
	;; [unrolled: 4-line block ×4, first 2 shown]
	s_or_b32 exec_lo, exec_lo, s18
	s_and_saveexec_b32 s24, s3
	s_cbranch_execz .LBB110_3
.LBB110_17:                             ;   in Loop: Header=BB110_4 Depth=1
	s_and_b32 vcc_lo, exec_lo, s22
	s_mov_b32 s25, -1
                                        ; implicit-def: $sgpr18_sgpr19
	s_cbranch_vccz .LBB110_19
; %bb.18:                               ;   in Loop: Header=BB110_4 Depth=1
	s_mul_u64 s[18:19], s[16:17], s[12:13]
	s_mov_b32 s25, 0
	s_lshl_b64 s[18:19], s[18:19], 3
	s_delay_alu instid0(SALU_CYCLE_1)
	s_add_nc_u64 s[18:19], s[4:5], s[18:19]
	s_wait_dscnt 0x0
	global_store_b32 v15, v4, s[18:19]
.LBB110_19:                             ;   in Loop: Header=BB110_4 Depth=1
	s_and_not1_b32 vcc_lo, exec_lo, s25
	s_cbranch_vccnz .LBB110_2
; %bb.20:                               ;   in Loop: Header=BB110_4 Depth=1
	s_wait_xcnt 0x0
	s_lshl_b64 s[18:19], s[12:13], 3
	s_delay_alu instid0(SALU_CYCLE_1)
	s_add_nc_u64 s[18:19], s[6:7], s[18:19]
	s_wait_dscnt 0x0
	global_store_b32 v15, v4, s[18:19]
	s_branch .LBB110_2
.LBB110_21:
	s_endpgm
	.section	.rodata,"a",@progbits
	.p2align	6, 0x0
	.amdhsa_kernel _ZL24rocblas_dot_kernel_magsqIiLb0ELi512ELi2ELb0E19rocblas_complex_numIfEPKPKS1_S1_EviT5_lT_liPT6_PT4_
		.amdhsa_group_segment_fixed_size 256
		.amdhsa_private_segment_fixed_size 0
		.amdhsa_kernarg_size 320
		.amdhsa_user_sgpr_count 2
		.amdhsa_user_sgpr_dispatch_ptr 0
		.amdhsa_user_sgpr_queue_ptr 0
		.amdhsa_user_sgpr_kernarg_segment_ptr 1
		.amdhsa_user_sgpr_dispatch_id 0
		.amdhsa_user_sgpr_kernarg_preload_length 0
		.amdhsa_user_sgpr_kernarg_preload_offset 0
		.amdhsa_user_sgpr_private_segment_size 0
		.amdhsa_wavefront_size32 1
		.amdhsa_uses_dynamic_stack 0
		.amdhsa_enable_private_segment 0
		.amdhsa_system_sgpr_workgroup_id_x 1
		.amdhsa_system_sgpr_workgroup_id_y 0
		.amdhsa_system_sgpr_workgroup_id_z 1
		.amdhsa_system_sgpr_workgroup_info 0
		.amdhsa_system_vgpr_workitem_id 0
		.amdhsa_next_free_vgpr 20
		.amdhsa_next_free_sgpr 26
		.amdhsa_named_barrier_count 0
		.amdhsa_reserve_vcc 1
		.amdhsa_float_round_mode_32 0
		.amdhsa_float_round_mode_16_64 0
		.amdhsa_float_denorm_mode_32 3
		.amdhsa_float_denorm_mode_16_64 3
		.amdhsa_fp16_overflow 0
		.amdhsa_memory_ordered 1
		.amdhsa_forward_progress 1
		.amdhsa_inst_pref_size 9
		.amdhsa_round_robin_scheduling 0
		.amdhsa_exception_fp_ieee_invalid_op 0
		.amdhsa_exception_fp_denorm_src 0
		.amdhsa_exception_fp_ieee_div_zero 0
		.amdhsa_exception_fp_ieee_overflow 0
		.amdhsa_exception_fp_ieee_underflow 0
		.amdhsa_exception_fp_ieee_inexact 0
		.amdhsa_exception_int_div_zero 0
	.end_amdhsa_kernel
	.section	.text._ZL24rocblas_dot_kernel_magsqIiLb0ELi512ELi2ELb0E19rocblas_complex_numIfEPKPKS1_S1_EviT5_lT_liPT6_PT4_,"axG",@progbits,_ZL24rocblas_dot_kernel_magsqIiLb0ELi512ELi2ELb0E19rocblas_complex_numIfEPKPKS1_S1_EviT5_lT_liPT6_PT4_,comdat
.Lfunc_end110:
	.size	_ZL24rocblas_dot_kernel_magsqIiLb0ELi512ELi2ELb0E19rocblas_complex_numIfEPKPKS1_S1_EviT5_lT_liPT6_PT4_, .Lfunc_end110-_ZL24rocblas_dot_kernel_magsqIiLb0ELi512ELi2ELb0E19rocblas_complex_numIfEPKPKS1_S1_EviT5_lT_liPT6_PT4_
                                        ; -- End function
	.set _ZL24rocblas_dot_kernel_magsqIiLb0ELi512ELi2ELb0E19rocblas_complex_numIfEPKPKS1_S1_EviT5_lT_liPT6_PT4_.num_vgpr, 20
	.set _ZL24rocblas_dot_kernel_magsqIiLb0ELi512ELi2ELb0E19rocblas_complex_numIfEPKPKS1_S1_EviT5_lT_liPT6_PT4_.num_agpr, 0
	.set _ZL24rocblas_dot_kernel_magsqIiLb0ELi512ELi2ELb0E19rocblas_complex_numIfEPKPKS1_S1_EviT5_lT_liPT6_PT4_.numbered_sgpr, 26
	.set _ZL24rocblas_dot_kernel_magsqIiLb0ELi512ELi2ELb0E19rocblas_complex_numIfEPKPKS1_S1_EviT5_lT_liPT6_PT4_.num_named_barrier, 0
	.set _ZL24rocblas_dot_kernel_magsqIiLb0ELi512ELi2ELb0E19rocblas_complex_numIfEPKPKS1_S1_EviT5_lT_liPT6_PT4_.private_seg_size, 0
	.set _ZL24rocblas_dot_kernel_magsqIiLb0ELi512ELi2ELb0E19rocblas_complex_numIfEPKPKS1_S1_EviT5_lT_liPT6_PT4_.uses_vcc, 1
	.set _ZL24rocblas_dot_kernel_magsqIiLb0ELi512ELi2ELb0E19rocblas_complex_numIfEPKPKS1_S1_EviT5_lT_liPT6_PT4_.uses_flat_scratch, 0
	.set _ZL24rocblas_dot_kernel_magsqIiLb0ELi512ELi2ELb0E19rocblas_complex_numIfEPKPKS1_S1_EviT5_lT_liPT6_PT4_.has_dyn_sized_stack, 0
	.set _ZL24rocblas_dot_kernel_magsqIiLb0ELi512ELi2ELb0E19rocblas_complex_numIfEPKPKS1_S1_EviT5_lT_liPT6_PT4_.has_recursion, 0
	.set _ZL24rocblas_dot_kernel_magsqIiLb0ELi512ELi2ELb0E19rocblas_complex_numIfEPKPKS1_S1_EviT5_lT_liPT6_PT4_.has_indirect_call, 0
	.section	.AMDGPU.csdata,"",@progbits
; Kernel info:
; codeLenInByte = 1136
; TotalNumSgprs: 28
; NumVgprs: 20
; ScratchSize: 0
; MemoryBound: 0
; FloatMode: 240
; IeeeMode: 1
; LDSByteSize: 256 bytes/workgroup (compile time only)
; SGPRBlocks: 0
; VGPRBlocks: 1
; NumSGPRsForWavesPerEU: 28
; NumVGPRsForWavesPerEU: 20
; NamedBarCnt: 0
; Occupancy: 16
; WaveLimiterHint : 1
; COMPUTE_PGM_RSRC2:SCRATCH_EN: 0
; COMPUTE_PGM_RSRC2:USER_SGPR: 2
; COMPUTE_PGM_RSRC2:TRAP_HANDLER: 0
; COMPUTE_PGM_RSRC2:TGID_X_EN: 1
; COMPUTE_PGM_RSRC2:TGID_Y_EN: 0
; COMPUTE_PGM_RSRC2:TGID_Z_EN: 1
; COMPUTE_PGM_RSRC2:TIDIG_COMP_CNT: 0
	.section	.text._ZL28rocblas_dot_batched_4_kernelIiLi32ELi4ELb0E19rocblas_complex_numIdES1_PKPKS1_EviT5_lT_lS6_lS7_liPT4_,"axG",@progbits,_ZL28rocblas_dot_batched_4_kernelIiLi32ELi4ELb0E19rocblas_complex_numIdES1_PKPKS1_EviT5_lT_lS6_lS7_liPT4_,comdat
	.globl	_ZL28rocblas_dot_batched_4_kernelIiLi32ELi4ELb0E19rocblas_complex_numIdES1_PKPKS1_EviT5_lT_lS6_lS7_liPT4_ ; -- Begin function _ZL28rocblas_dot_batched_4_kernelIiLi32ELi4ELb0E19rocblas_complex_numIdES1_PKPKS1_EviT5_lT_lS6_lS7_liPT4_
	.p2align	8
	.type	_ZL28rocblas_dot_batched_4_kernelIiLi32ELi4ELb0E19rocblas_complex_numIdES1_PKPKS1_EviT5_lT_lS6_lS7_liPT4_,@function
_ZL28rocblas_dot_batched_4_kernelIiLi32ELi4ELb0E19rocblas_complex_numIdES1_PKPKS1_EviT5_lT_lS6_lS7_liPT4_: ; @_ZL28rocblas_dot_batched_4_kernelIiLi32ELi4ELb0E19rocblas_complex_numIdES1_PKPKS1_EviT5_lT_lS6_lS7_liPT4_
; %bb.0:
	s_load_b32 s2, s[0:1], 0x48
	s_bfe_u32 s3, ttmp6, 0x4000c
	s_and_b32 s4, ttmp6, 15
	s_add_co_i32 s3, s3, 1
	v_bfe_u32 v1, v0, 10, 10
	s_mul_i32 s3, ttmp9, s3
	s_delay_alu instid0(SALU_CYCLE_1) | instskip(SKIP_1) | instid1(SALU_CYCLE_1)
	s_add_co_i32 s4, s4, s3
	s_getreg_b32 s3, hwreg(HW_REG_IB_STS2, 6, 4)
	s_cmp_eq_u32 s3, 0
	s_cselect_b32 s3, ttmp9, s4
	s_delay_alu instid0(SALU_CYCLE_1) | instskip(SKIP_1) | instid1(VALU_DEP_1)
	v_lshl_add_u32 v2, s3, 2, v1
	s_wait_kmcnt 0x0
	v_cmp_gt_u32_e32 vcc_lo, s2, v2
	s_and_saveexec_b32 s2, vcc_lo
	s_cbranch_execz .LBB111_7
; %bb.1:
	s_load_b32 s6, s[0:1], 0x0
	v_mov_b64_e32 v[4:5], 0
	v_mov_b64_e32 v[6:7], 0
	v_and_b32_e32 v0, 0x3ff, v0
	v_mov_b32_e32 v3, 0
	s_mov_b32 s7, exec_lo
	s_wait_kmcnt 0x0
	s_delay_alu instid0(VALU_DEP_2)
	v_cmpx_gt_i32_e64 s6, v0
	s_cbranch_execz .LBB111_5
; %bb.2:
	s_clause 0x1
	s_load_b128 s[8:11], s[0:1], 0x28
	s_load_b128 s[12:15], s[0:1], 0x8
	v_lshlrev_b64_e32 v[4:5], 3, v[2:3]
	s_clause 0x1
	s_load_b32 s4, s[0:1], 0x18
	s_load_b32 s2, s[0:1], 0x38
	v_mov_b32_e32 v1, v3
	s_wait_kmcnt 0x0
	s_delay_alu instid0(VALU_DEP_2)
	v_add_nc_u64_e32 v[6:7], s[8:9], v[4:5]
	v_add_nc_u64_e32 v[4:5], s[12:13], v[4:5]
	s_ashr_i32 s5, s4, 31
	s_ashr_i32 s3, s2, 31
	s_lshl_b64 s[8:9], s[10:11], 4
	s_lshl_b64 s[10:11], s[14:15], 4
	global_load_b64 v[8:9], v[6:7], off
	global_load_b64 v[10:11], v[4:5], off
	s_wait_xcnt 0x0
	v_mul_u64_e32 v[4:5], s[2:3], v[0:1]
	v_mul_u64_e32 v[6:7], s[4:5], v[0:1]
	v_mov_b32_e32 v1, v0
	s_lshl_b64 s[2:3], s[2:3], 9
	s_lshl_b64 s[4:5], s[4:5], 9
	s_delay_alu instid0(VALU_DEP_3) | instskip(NEXT) | instid1(VALU_DEP_3)
	v_lshl_add_u64 v[4:5], v[4:5], 4, s[8:9]
	v_lshl_add_u64 v[6:7], v[6:7], 4, s[10:11]
	s_mov_b32 s8, 0
	s_wait_loadcnt 0x1
	s_delay_alu instid0(VALU_DEP_2) | instskip(SKIP_3) | instid1(VALU_DEP_3)
	v_add_nc_u64_e32 v[8:9], v[8:9], v[4:5]
	s_wait_loadcnt 0x0
	v_add_nc_u64_e32 v[6:7], v[10:11], v[6:7]
	v_mov_b64_e32 v[4:5], 0
	v_add_nc_u64_e32 v[8:9], 8, v[8:9]
	s_delay_alu instid0(VALU_DEP_3)
	v_add_nc_u64_e32 v[10:11], 8, v[6:7]
	v_mov_b64_e32 v[6:7], 0
.LBB111_3:                              ; =>This Inner Loop Header: Depth=1
	flat_load_b128 v[12:15], v[10:11] offset:-8
	flat_load_b128 v[16:19], v[8:9] offset:-8
	s_wait_xcnt 0x0
	v_add_nc_u64_e32 v[8:9], s[2:3], v[8:9]
	v_add_nc_u64_e32 v[10:11], s[4:5], v[10:11]
	v_add_nc_u32_e32 v1, 32, v1
	s_delay_alu instid0(VALU_DEP_1) | instskip(SKIP_4) | instid1(VALU_DEP_2)
	v_cmp_le_i32_e32 vcc_lo, s6, v1
	s_or_b32 s8, vcc_lo, s8
	s_wait_loadcnt_dscnt 0x0
	v_mul_f64_e32 v[20:21], v[14:15], v[18:19]
	v_mul_f64_e32 v[18:19], v[12:13], v[18:19]
	v_fma_f64 v[12:13], v[12:13], v[16:17], -v[20:21]
	s_delay_alu instid0(VALU_DEP_2) | instskip(NEXT) | instid1(VALU_DEP_2)
	v_fmac_f64_e32 v[18:19], v[14:15], v[16:17]
	v_add_f64_e32 v[4:5], v[4:5], v[12:13]
	s_delay_alu instid0(VALU_DEP_2)
	v_add_f64_e32 v[6:7], v[6:7], v[18:19]
	s_and_not1_b32 exec_lo, exec_lo, s8
	s_cbranch_execnz .LBB111_3
; %bb.4:
	s_or_b32 exec_lo, exec_lo, s8
.LBB111_5:
	s_delay_alu instid0(SALU_CYCLE_1) | instskip(SKIP_4) | instid1(VALU_DEP_1)
	s_or_b32 exec_lo, exec_lo, s7
	v_mbcnt_lo_u32_b32 v1, -1, 0
	s_load_b64 s[0:1], s[0:1], 0x50
	s_barrier_signal -1
	s_barrier_wait -1
	v_lshl_or_b32 v11, v1, 2, 64
	v_cmp_gt_u32_e32 vcc_lo, 24, v1
	ds_bpermute_b32 v8, v11, v4
	ds_bpermute_b32 v9, v11, v5
	;; [unrolled: 1-line block ×4, first 2 shown]
	s_wait_dscnt 0x2
	v_add_f64_e32 v[4:5], v[4:5], v[8:9]
	v_cndmask_b32_e64 v8, 0, 8, vcc_lo
	s_wait_dscnt 0x0
	v_add_f64_e32 v[6:7], v[6:7], v[10:11]
	v_cmp_gt_u32_e32 vcc_lo, 28, v1
	s_delay_alu instid0(VALU_DEP_3)
	v_add_lshl_u32 v11, v8, v1, 2
	ds_bpermute_b32 v8, v11, v4
	ds_bpermute_b32 v9, v11, v5
	;; [unrolled: 1-line block ×4, first 2 shown]
	s_wait_dscnt 0x2
	v_add_f64_e32 v[4:5], v[4:5], v[8:9]
	v_cndmask_b32_e64 v8, 0, 4, vcc_lo
	s_wait_dscnt 0x0
	v_add_f64_e32 v[6:7], v[6:7], v[10:11]
	v_cmp_gt_u32_e32 vcc_lo, 30, v1
	s_delay_alu instid0(VALU_DEP_3)
	v_add_lshl_u32 v11, v8, v1, 2
	ds_bpermute_b32 v8, v11, v4
	ds_bpermute_b32 v9, v11, v5
	;; [unrolled: 1-line block ×4, first 2 shown]
	s_wait_dscnt 0x2
	v_add_f64_e32 v[4:5], v[4:5], v[8:9]
	v_cndmask_b32_e64 v8, 0, 2, vcc_lo
	s_wait_dscnt 0x0
	v_add_f64_e32 v[6:7], v[6:7], v[10:11]
	v_cmp_ne_u32_e32 vcc_lo, 31, v1
	s_delay_alu instid0(VALU_DEP_3) | instskip(SKIP_2) | instid1(VALU_DEP_2)
	v_add_lshl_u32 v11, v8, v1, 2
	v_add_co_ci_u32_e64 v1, null, 0, v1, vcc_lo
	v_cmp_eq_u32_e32 vcc_lo, 0, v0
	v_lshlrev_b32_e32 v1, 2, v1
	ds_bpermute_b32 v8, v11, v4
	ds_bpermute_b32 v9, v11, v5
	;; [unrolled: 1-line block ×4, first 2 shown]
	s_wait_dscnt 0x2
	v_add_f64_e32 v[4:5], v[4:5], v[8:9]
	s_wait_dscnt 0x0
	v_add_f64_e32 v[6:7], v[6:7], v[10:11]
	ds_bpermute_b32 v8, v1, v4
	ds_bpermute_b32 v9, v1, v5
	;; [unrolled: 1-line block ×4, first 2 shown]
	s_and_b32 exec_lo, exec_lo, vcc_lo
	s_cbranch_execz .LBB111_7
; %bb.6:
	s_wait_dscnt 0x0
	v_add_f64_e32 v[6:7], v[6:7], v[10:11]
	v_add_f64_e32 v[4:5], v[4:5], v[8:9]
	s_wait_kmcnt 0x0
	v_lshl_add_u64 v[0:1], v[2:3], 4, s[0:1]
	global_store_b128 v[0:1], v[4:7], off
.LBB111_7:
	s_endpgm
	.section	.rodata,"a",@progbits
	.p2align	6, 0x0
	.amdhsa_kernel _ZL28rocblas_dot_batched_4_kernelIiLi32ELi4ELb0E19rocblas_complex_numIdES1_PKPKS1_EviT5_lT_lS6_lS7_liPT4_
		.amdhsa_group_segment_fixed_size 0
		.amdhsa_private_segment_fixed_size 0
		.amdhsa_kernarg_size 88
		.amdhsa_user_sgpr_count 2
		.amdhsa_user_sgpr_dispatch_ptr 0
		.amdhsa_user_sgpr_queue_ptr 0
		.amdhsa_user_sgpr_kernarg_segment_ptr 1
		.amdhsa_user_sgpr_dispatch_id 0
		.amdhsa_user_sgpr_kernarg_preload_length 0
		.amdhsa_user_sgpr_kernarg_preload_offset 0
		.amdhsa_user_sgpr_private_segment_size 0
		.amdhsa_wavefront_size32 1
		.amdhsa_uses_dynamic_stack 0
		.amdhsa_enable_private_segment 0
		.amdhsa_system_sgpr_workgroup_id_x 1
		.amdhsa_system_sgpr_workgroup_id_y 0
		.amdhsa_system_sgpr_workgroup_id_z 0
		.amdhsa_system_sgpr_workgroup_info 0
		.amdhsa_system_vgpr_workitem_id 1
		.amdhsa_next_free_vgpr 22
		.amdhsa_next_free_sgpr 16
		.amdhsa_named_barrier_count 0
		.amdhsa_reserve_vcc 1
		.amdhsa_float_round_mode_32 0
		.amdhsa_float_round_mode_16_64 0
		.amdhsa_float_denorm_mode_32 3
		.amdhsa_float_denorm_mode_16_64 3
		.amdhsa_fp16_overflow 0
		.amdhsa_memory_ordered 1
		.amdhsa_forward_progress 1
		.amdhsa_inst_pref_size 7
		.amdhsa_round_robin_scheduling 0
		.amdhsa_exception_fp_ieee_invalid_op 0
		.amdhsa_exception_fp_denorm_src 0
		.amdhsa_exception_fp_ieee_div_zero 0
		.amdhsa_exception_fp_ieee_overflow 0
		.amdhsa_exception_fp_ieee_underflow 0
		.amdhsa_exception_fp_ieee_inexact 0
		.amdhsa_exception_int_div_zero 0
	.end_amdhsa_kernel
	.section	.text._ZL28rocblas_dot_batched_4_kernelIiLi32ELi4ELb0E19rocblas_complex_numIdES1_PKPKS1_EviT5_lT_lS6_lS7_liPT4_,"axG",@progbits,_ZL28rocblas_dot_batched_4_kernelIiLi32ELi4ELb0E19rocblas_complex_numIdES1_PKPKS1_EviT5_lT_lS6_lS7_liPT4_,comdat
.Lfunc_end111:
	.size	_ZL28rocblas_dot_batched_4_kernelIiLi32ELi4ELb0E19rocblas_complex_numIdES1_PKPKS1_EviT5_lT_lS6_lS7_liPT4_, .Lfunc_end111-_ZL28rocblas_dot_batched_4_kernelIiLi32ELi4ELb0E19rocblas_complex_numIdES1_PKPKS1_EviT5_lT_lS6_lS7_liPT4_
                                        ; -- End function
	.set _ZL28rocblas_dot_batched_4_kernelIiLi32ELi4ELb0E19rocblas_complex_numIdES1_PKPKS1_EviT5_lT_lS6_lS7_liPT4_.num_vgpr, 22
	.set _ZL28rocblas_dot_batched_4_kernelIiLi32ELi4ELb0E19rocblas_complex_numIdES1_PKPKS1_EviT5_lT_lS6_lS7_liPT4_.num_agpr, 0
	.set _ZL28rocblas_dot_batched_4_kernelIiLi32ELi4ELb0E19rocblas_complex_numIdES1_PKPKS1_EviT5_lT_lS6_lS7_liPT4_.numbered_sgpr, 16
	.set _ZL28rocblas_dot_batched_4_kernelIiLi32ELi4ELb0E19rocblas_complex_numIdES1_PKPKS1_EviT5_lT_lS6_lS7_liPT4_.num_named_barrier, 0
	.set _ZL28rocblas_dot_batched_4_kernelIiLi32ELi4ELb0E19rocblas_complex_numIdES1_PKPKS1_EviT5_lT_lS6_lS7_liPT4_.private_seg_size, 0
	.set _ZL28rocblas_dot_batched_4_kernelIiLi32ELi4ELb0E19rocblas_complex_numIdES1_PKPKS1_EviT5_lT_lS6_lS7_liPT4_.uses_vcc, 1
	.set _ZL28rocblas_dot_batched_4_kernelIiLi32ELi4ELb0E19rocblas_complex_numIdES1_PKPKS1_EviT5_lT_lS6_lS7_liPT4_.uses_flat_scratch, 0
	.set _ZL28rocblas_dot_batched_4_kernelIiLi32ELi4ELb0E19rocblas_complex_numIdES1_PKPKS1_EviT5_lT_lS6_lS7_liPT4_.has_dyn_sized_stack, 0
	.set _ZL28rocblas_dot_batched_4_kernelIiLi32ELi4ELb0E19rocblas_complex_numIdES1_PKPKS1_EviT5_lT_lS6_lS7_liPT4_.has_recursion, 0
	.set _ZL28rocblas_dot_batched_4_kernelIiLi32ELi4ELb0E19rocblas_complex_numIdES1_PKPKS1_EviT5_lT_lS6_lS7_liPT4_.has_indirect_call, 0
	.section	.AMDGPU.csdata,"",@progbits
; Kernel info:
; codeLenInByte = 836
; TotalNumSgprs: 18
; NumVgprs: 22
; ScratchSize: 0
; MemoryBound: 0
; FloatMode: 240
; IeeeMode: 1
; LDSByteSize: 0 bytes/workgroup (compile time only)
; SGPRBlocks: 0
; VGPRBlocks: 1
; NumSGPRsForWavesPerEU: 18
; NumVGPRsForWavesPerEU: 22
; NamedBarCnt: 0
; Occupancy: 16
; WaveLimiterHint : 0
; COMPUTE_PGM_RSRC2:SCRATCH_EN: 0
; COMPUTE_PGM_RSRC2:USER_SGPR: 2
; COMPUTE_PGM_RSRC2:TRAP_HANDLER: 0
; COMPUTE_PGM_RSRC2:TGID_X_EN: 1
; COMPUTE_PGM_RSRC2:TGID_Y_EN: 0
; COMPUTE_PGM_RSRC2:TGID_Z_EN: 0
; COMPUTE_PGM_RSRC2:TIDIG_COMP_CNT: 1
	.section	.text._ZL28rocblas_dot_batched_4_kernelIiLi64ELi4ELb0E19rocblas_complex_numIdES1_PKPKS1_EviT5_lT_lS6_lS7_liPT4_,"axG",@progbits,_ZL28rocblas_dot_batched_4_kernelIiLi64ELi4ELb0E19rocblas_complex_numIdES1_PKPKS1_EviT5_lT_lS6_lS7_liPT4_,comdat
	.globl	_ZL28rocblas_dot_batched_4_kernelIiLi64ELi4ELb0E19rocblas_complex_numIdES1_PKPKS1_EviT5_lT_lS6_lS7_liPT4_ ; -- Begin function _ZL28rocblas_dot_batched_4_kernelIiLi64ELi4ELb0E19rocblas_complex_numIdES1_PKPKS1_EviT5_lT_lS6_lS7_liPT4_
	.p2align	8
	.type	_ZL28rocblas_dot_batched_4_kernelIiLi64ELi4ELb0E19rocblas_complex_numIdES1_PKPKS1_EviT5_lT_lS6_lS7_liPT4_,@function
_ZL28rocblas_dot_batched_4_kernelIiLi64ELi4ELb0E19rocblas_complex_numIdES1_PKPKS1_EviT5_lT_lS6_lS7_liPT4_: ; @_ZL28rocblas_dot_batched_4_kernelIiLi64ELi4ELb0E19rocblas_complex_numIdES1_PKPKS1_EviT5_lT_lS6_lS7_liPT4_
; %bb.0:
	s_load_b32 s2, s[0:1], 0x48
	s_bfe_u32 s3, ttmp6, 0x4000c
	s_and_b32 s4, ttmp6, 15
	s_add_co_i32 s3, s3, 1
	v_bfe_u32 v1, v0, 10, 10
	s_mul_i32 s3, ttmp9, s3
	s_delay_alu instid0(SALU_CYCLE_1) | instskip(SKIP_1) | instid1(SALU_CYCLE_1)
	s_add_co_i32 s4, s4, s3
	s_getreg_b32 s3, hwreg(HW_REG_IB_STS2, 6, 4)
	s_cmp_eq_u32 s3, 0
	s_cselect_b32 s3, ttmp9, s4
	s_delay_alu instid0(SALU_CYCLE_1) | instskip(SKIP_1) | instid1(VALU_DEP_1)
	v_lshl_add_u32 v2, s3, 2, v1
	s_wait_kmcnt 0x0
	v_cmp_gt_u32_e32 vcc_lo, s2, v2
	s_and_saveexec_b32 s2, vcc_lo
	s_cbranch_execz .LBB112_7
; %bb.1:
	s_load_b32 s6, s[0:1], 0x0
	v_mov_b64_e32 v[4:5], 0
	v_mov_b64_e32 v[6:7], 0
	v_and_b32_e32 v0, 0x3ff, v0
	v_mov_b32_e32 v3, 0
	s_mov_b32 s7, exec_lo
	s_wait_kmcnt 0x0
	s_delay_alu instid0(VALU_DEP_2)
	v_cmpx_gt_i32_e64 s6, v0
	s_cbranch_execz .LBB112_5
; %bb.2:
	s_clause 0x1
	s_load_b128 s[8:11], s[0:1], 0x28
	s_load_b128 s[12:15], s[0:1], 0x8
	v_lshlrev_b64_e32 v[4:5], 3, v[2:3]
	s_clause 0x1
	s_load_b32 s4, s[0:1], 0x18
	s_load_b32 s2, s[0:1], 0x38
	v_mov_b32_e32 v1, v3
	s_wait_kmcnt 0x0
	s_delay_alu instid0(VALU_DEP_2)
	v_add_nc_u64_e32 v[6:7], s[8:9], v[4:5]
	v_add_nc_u64_e32 v[4:5], s[12:13], v[4:5]
	s_ashr_i32 s5, s4, 31
	s_ashr_i32 s3, s2, 31
	s_lshl_b64 s[8:9], s[10:11], 4
	s_lshl_b64 s[10:11], s[14:15], 4
	global_load_b64 v[8:9], v[6:7], off
	global_load_b64 v[10:11], v[4:5], off
	s_wait_xcnt 0x0
	v_mul_u64_e32 v[4:5], s[2:3], v[0:1]
	v_mul_u64_e32 v[6:7], s[4:5], v[0:1]
	v_mov_b32_e32 v1, v0
	s_lshl_b64 s[2:3], s[2:3], 10
	s_lshl_b64 s[4:5], s[4:5], 10
	s_delay_alu instid0(VALU_DEP_3) | instskip(NEXT) | instid1(VALU_DEP_3)
	v_lshl_add_u64 v[4:5], v[4:5], 4, s[8:9]
	v_lshl_add_u64 v[6:7], v[6:7], 4, s[10:11]
	s_mov_b32 s8, 0
	s_wait_loadcnt 0x1
	s_delay_alu instid0(VALU_DEP_2) | instskip(SKIP_3) | instid1(VALU_DEP_3)
	v_add_nc_u64_e32 v[8:9], v[8:9], v[4:5]
	s_wait_loadcnt 0x0
	v_add_nc_u64_e32 v[6:7], v[10:11], v[6:7]
	v_mov_b64_e32 v[4:5], 0
	v_add_nc_u64_e32 v[8:9], 8, v[8:9]
	s_delay_alu instid0(VALU_DEP_3)
	v_add_nc_u64_e32 v[10:11], 8, v[6:7]
	v_mov_b64_e32 v[6:7], 0
.LBB112_3:                              ; =>This Inner Loop Header: Depth=1
	flat_load_b128 v[12:15], v[10:11] offset:-8
	flat_load_b128 v[16:19], v[8:9] offset:-8
	s_wait_xcnt 0x0
	v_add_nc_u64_e32 v[8:9], s[2:3], v[8:9]
	v_add_nc_u64_e32 v[10:11], s[4:5], v[10:11]
	v_add_nc_u32_e32 v1, 64, v1
	s_delay_alu instid0(VALU_DEP_1) | instskip(SKIP_4) | instid1(VALU_DEP_2)
	v_cmp_le_i32_e32 vcc_lo, s6, v1
	s_or_b32 s8, vcc_lo, s8
	s_wait_loadcnt_dscnt 0x0
	v_mul_f64_e32 v[20:21], v[14:15], v[18:19]
	v_mul_f64_e32 v[18:19], v[12:13], v[18:19]
	v_fma_f64 v[12:13], v[12:13], v[16:17], -v[20:21]
	s_delay_alu instid0(VALU_DEP_2) | instskip(NEXT) | instid1(VALU_DEP_2)
	v_fmac_f64_e32 v[18:19], v[14:15], v[16:17]
	v_add_f64_e32 v[4:5], v[4:5], v[12:13]
	s_delay_alu instid0(VALU_DEP_2)
	v_add_f64_e32 v[6:7], v[6:7], v[18:19]
	s_and_not1_b32 exec_lo, exec_lo, s8
	s_cbranch_execnz .LBB112_3
; %bb.4:
	s_or_b32 exec_lo, exec_lo, s8
.LBB112_5:
	s_delay_alu instid0(SALU_CYCLE_1) | instskip(SKIP_4) | instid1(VALU_DEP_1)
	s_or_b32 exec_lo, exec_lo, s7
	v_mbcnt_lo_u32_b32 v1, -1, 0
	s_load_b64 s[0:1], s[0:1], 0x50
	s_barrier_signal -1
	s_barrier_wait -1
	v_lshlrev_b32_e32 v12, 2, v1
	v_cmp_gt_u32_e32 vcc_lo, 24, v1
	ds_bpermute_b32 v10, v12, v6
	ds_bpermute_b32 v11, v12, v7
	s_wait_dscnt 0x0
	v_add_f64_e32 v[6:7], v[6:7], v[10:11]
	ds_bpermute_b32 v8, v12, v4
	ds_bpermute_b32 v9, v12, v5
	v_or_b32_e32 v11, 64, v12
	s_wait_dscnt 0x0
	v_add_f64_e32 v[4:5], v[4:5], v[8:9]
	ds_bpermute_b32 v10, v11, v6
	ds_bpermute_b32 v8, v11, v4
	;; [unrolled: 1-line block ×4, first 2 shown]
	s_wait_dscnt 0x1
	v_add_f64_e32 v[4:5], v[4:5], v[8:9]
	s_wait_dscnt 0x0
	v_add_f64_e32 v[6:7], v[6:7], v[10:11]
	v_cndmask_b32_e64 v8, 0, 8, vcc_lo
	v_cmp_gt_u32_e32 vcc_lo, 28, v1
	s_delay_alu instid0(VALU_DEP_2)
	v_add_lshl_u32 v11, v8, v1, 2
	ds_bpermute_b32 v8, v11, v4
	ds_bpermute_b32 v9, v11, v5
	;; [unrolled: 1-line block ×4, first 2 shown]
	s_wait_dscnt 0x2
	v_add_f64_e32 v[4:5], v[4:5], v[8:9]
	v_cndmask_b32_e64 v8, 0, 4, vcc_lo
	s_wait_dscnt 0x0
	v_add_f64_e32 v[6:7], v[6:7], v[10:11]
	v_cmp_gt_u32_e32 vcc_lo, 30, v1
	s_delay_alu instid0(VALU_DEP_3)
	v_add_lshl_u32 v11, v8, v1, 2
	ds_bpermute_b32 v8, v11, v4
	ds_bpermute_b32 v9, v11, v5
	;; [unrolled: 1-line block ×4, first 2 shown]
	s_wait_dscnt 0x2
	v_add_f64_e32 v[4:5], v[4:5], v[8:9]
	v_cndmask_b32_e64 v8, 0, 2, vcc_lo
	s_wait_dscnt 0x0
	v_add_f64_e32 v[6:7], v[6:7], v[10:11]
	v_cmp_ne_u32_e32 vcc_lo, 31, v1
	s_delay_alu instid0(VALU_DEP_3) | instskip(SKIP_2) | instid1(VALU_DEP_2)
	v_add_lshl_u32 v11, v8, v1, 2
	v_add_co_ci_u32_e64 v1, null, 0, v1, vcc_lo
	v_cmp_eq_u32_e32 vcc_lo, 0, v0
	v_lshlrev_b32_e32 v1, 2, v1
	ds_bpermute_b32 v8, v11, v4
	ds_bpermute_b32 v9, v11, v5
	;; [unrolled: 1-line block ×4, first 2 shown]
	s_wait_dscnt 0x2
	v_add_f64_e32 v[4:5], v[4:5], v[8:9]
	s_wait_dscnt 0x0
	v_add_f64_e32 v[6:7], v[6:7], v[10:11]
	ds_bpermute_b32 v8, v1, v4
	ds_bpermute_b32 v9, v1, v5
	;; [unrolled: 1-line block ×4, first 2 shown]
	s_and_b32 exec_lo, exec_lo, vcc_lo
	s_cbranch_execz .LBB112_7
; %bb.6:
	s_wait_dscnt 0x0
	v_add_f64_e32 v[6:7], v[6:7], v[10:11]
	v_add_f64_e32 v[4:5], v[4:5], v[8:9]
	s_wait_kmcnt 0x0
	v_lshl_add_u64 v[0:1], v[2:3], 4, s[0:1]
	global_store_b128 v[0:1], v[4:7], off
.LBB112_7:
	s_endpgm
	.section	.rodata,"a",@progbits
	.p2align	6, 0x0
	.amdhsa_kernel _ZL28rocblas_dot_batched_4_kernelIiLi64ELi4ELb0E19rocblas_complex_numIdES1_PKPKS1_EviT5_lT_lS6_lS7_liPT4_
		.amdhsa_group_segment_fixed_size 0
		.amdhsa_private_segment_fixed_size 0
		.amdhsa_kernarg_size 88
		.amdhsa_user_sgpr_count 2
		.amdhsa_user_sgpr_dispatch_ptr 0
		.amdhsa_user_sgpr_queue_ptr 0
		.amdhsa_user_sgpr_kernarg_segment_ptr 1
		.amdhsa_user_sgpr_dispatch_id 0
		.amdhsa_user_sgpr_kernarg_preload_length 0
		.amdhsa_user_sgpr_kernarg_preload_offset 0
		.amdhsa_user_sgpr_private_segment_size 0
		.amdhsa_wavefront_size32 1
		.amdhsa_uses_dynamic_stack 0
		.amdhsa_enable_private_segment 0
		.amdhsa_system_sgpr_workgroup_id_x 1
		.amdhsa_system_sgpr_workgroup_id_y 0
		.amdhsa_system_sgpr_workgroup_id_z 0
		.amdhsa_system_sgpr_workgroup_info 0
		.amdhsa_system_vgpr_workitem_id 1
		.amdhsa_next_free_vgpr 22
		.amdhsa_next_free_sgpr 16
		.amdhsa_named_barrier_count 0
		.amdhsa_reserve_vcc 1
		.amdhsa_float_round_mode_32 0
		.amdhsa_float_round_mode_16_64 0
		.amdhsa_float_denorm_mode_32 3
		.amdhsa_float_denorm_mode_16_64 3
		.amdhsa_fp16_overflow 0
		.amdhsa_memory_ordered 1
		.amdhsa_forward_progress 1
		.amdhsa_inst_pref_size 7
		.amdhsa_round_robin_scheduling 0
		.amdhsa_exception_fp_ieee_invalid_op 0
		.amdhsa_exception_fp_denorm_src 0
		.amdhsa_exception_fp_ieee_div_zero 0
		.amdhsa_exception_fp_ieee_overflow 0
		.amdhsa_exception_fp_ieee_underflow 0
		.amdhsa_exception_fp_ieee_inexact 0
		.amdhsa_exception_int_div_zero 0
	.end_amdhsa_kernel
	.section	.text._ZL28rocblas_dot_batched_4_kernelIiLi64ELi4ELb0E19rocblas_complex_numIdES1_PKPKS1_EviT5_lT_lS6_lS7_liPT4_,"axG",@progbits,_ZL28rocblas_dot_batched_4_kernelIiLi64ELi4ELb0E19rocblas_complex_numIdES1_PKPKS1_EviT5_lT_lS6_lS7_liPT4_,comdat
.Lfunc_end112:
	.size	_ZL28rocblas_dot_batched_4_kernelIiLi64ELi4ELb0E19rocblas_complex_numIdES1_PKPKS1_EviT5_lT_lS6_lS7_liPT4_, .Lfunc_end112-_ZL28rocblas_dot_batched_4_kernelIiLi64ELi4ELb0E19rocblas_complex_numIdES1_PKPKS1_EviT5_lT_lS6_lS7_liPT4_
                                        ; -- End function
	.set _ZL28rocblas_dot_batched_4_kernelIiLi64ELi4ELb0E19rocblas_complex_numIdES1_PKPKS1_EviT5_lT_lS6_lS7_liPT4_.num_vgpr, 22
	.set _ZL28rocblas_dot_batched_4_kernelIiLi64ELi4ELb0E19rocblas_complex_numIdES1_PKPKS1_EviT5_lT_lS6_lS7_liPT4_.num_agpr, 0
	.set _ZL28rocblas_dot_batched_4_kernelIiLi64ELi4ELb0E19rocblas_complex_numIdES1_PKPKS1_EviT5_lT_lS6_lS7_liPT4_.numbered_sgpr, 16
	.set _ZL28rocblas_dot_batched_4_kernelIiLi64ELi4ELb0E19rocblas_complex_numIdES1_PKPKS1_EviT5_lT_lS6_lS7_liPT4_.num_named_barrier, 0
	.set _ZL28rocblas_dot_batched_4_kernelIiLi64ELi4ELb0E19rocblas_complex_numIdES1_PKPKS1_EviT5_lT_lS6_lS7_liPT4_.private_seg_size, 0
	.set _ZL28rocblas_dot_batched_4_kernelIiLi64ELi4ELb0E19rocblas_complex_numIdES1_PKPKS1_EviT5_lT_lS6_lS7_liPT4_.uses_vcc, 1
	.set _ZL28rocblas_dot_batched_4_kernelIiLi64ELi4ELb0E19rocblas_complex_numIdES1_PKPKS1_EviT5_lT_lS6_lS7_liPT4_.uses_flat_scratch, 0
	.set _ZL28rocblas_dot_batched_4_kernelIiLi64ELi4ELb0E19rocblas_complex_numIdES1_PKPKS1_EviT5_lT_lS6_lS7_liPT4_.has_dyn_sized_stack, 0
	.set _ZL28rocblas_dot_batched_4_kernelIiLi64ELi4ELb0E19rocblas_complex_numIdES1_PKPKS1_EviT5_lT_lS6_lS7_liPT4_.has_recursion, 0
	.set _ZL28rocblas_dot_batched_4_kernelIiLi64ELi4ELb0E19rocblas_complex_numIdES1_PKPKS1_EviT5_lT_lS6_lS7_liPT4_.has_indirect_call, 0
	.section	.AMDGPU.csdata,"",@progbits
; Kernel info:
; codeLenInByte = 884
; TotalNumSgprs: 18
; NumVgprs: 22
; ScratchSize: 0
; MemoryBound: 0
; FloatMode: 240
; IeeeMode: 1
; LDSByteSize: 0 bytes/workgroup (compile time only)
; SGPRBlocks: 0
; VGPRBlocks: 1
; NumSGPRsForWavesPerEU: 18
; NumVGPRsForWavesPerEU: 22
; NamedBarCnt: 0
; Occupancy: 16
; WaveLimiterHint : 0
; COMPUTE_PGM_RSRC2:SCRATCH_EN: 0
; COMPUTE_PGM_RSRC2:USER_SGPR: 2
; COMPUTE_PGM_RSRC2:TRAP_HANDLER: 0
; COMPUTE_PGM_RSRC2:TGID_X_EN: 1
; COMPUTE_PGM_RSRC2:TGID_Y_EN: 0
; COMPUTE_PGM_RSRC2:TGID_Z_EN: 0
; COMPUTE_PGM_RSRC2:TIDIG_COMP_CNT: 1
	.section	.text._ZL26rocblas_dot_kernel_inc1by2ILb1ELi1024ELi32ELb0E19rocblas_complex_numIdEPKPKS1_S1_EviT4_llS6_lliPT5_PT3_,"axG",@progbits,_ZL26rocblas_dot_kernel_inc1by2ILb1ELi1024ELi32ELb0E19rocblas_complex_numIdEPKPKS1_S1_EviT4_llS6_lliPT5_PT3_,comdat
	.globl	_ZL26rocblas_dot_kernel_inc1by2ILb1ELi1024ELi32ELb0E19rocblas_complex_numIdEPKPKS1_S1_EviT4_llS6_lliPT5_PT3_ ; -- Begin function _ZL26rocblas_dot_kernel_inc1by2ILb1ELi1024ELi32ELb0E19rocblas_complex_numIdEPKPKS1_S1_EviT4_llS6_lliPT5_PT3_
	.p2align	8
	.type	_ZL26rocblas_dot_kernel_inc1by2ILb1ELi1024ELi32ELb0E19rocblas_complex_numIdEPKPKS1_S1_EviT4_llS6_lliPT5_PT3_,@function
_ZL26rocblas_dot_kernel_inc1by2ILb1ELi1024ELi32ELb0E19rocblas_complex_numIdEPKPKS1_S1_EviT4_llS6_lliPT5_PT3_: ; @_ZL26rocblas_dot_kernel_inc1by2ILb1ELi1024ELi32ELb0E19rocblas_complex_numIdEPKPKS1_S1_EviT4_llS6_lliPT5_PT3_
; %bb.0:
	s_load_b32 s3, s[0:1], 0x38
	s_bfe_u32 s2, ttmp6, 0x40014
	s_lshr_b32 s4, ttmp7, 16
	s_add_co_i32 s2, s2, 1
	s_bfe_u32 s5, ttmp6, 0x40008
	s_mul_i32 s2, s4, s2
	s_getreg_b32 s6, hwreg(HW_REG_IB_STS2, 6, 4)
	s_add_co_i32 s5, s5, s2
	s_cmp_eq_u32 s6, 0
	s_mov_b32 s13, 0
	s_cselect_b32 s12, s4, s5
	s_wait_kmcnt 0x0
	s_cmp_ge_u32 s12, s3
	s_cbranch_scc1 .LBB113_17
; %bb.1:
	v_mbcnt_lo_u32_b32 v2, -1, 0
	s_clause 0x3
	s_load_b64 s[14:15], s[0:1], 0x48
	s_load_b128 s[4:7], s[0:1], 0x20
	s_load_b128 s[8:11], s[0:1], 0x8
	s_load_b32 s16, s[0:1], 0x0
	v_and_b32_e32 v1, 31, v0
	s_wait_xcnt 0x0
	v_cmp_eq_u32_e64 s1, 0, v0
	v_cmp_gt_u32_e64 s0, 24, v2
	v_lshl_or_b32 v13, v2, 2, 64
	v_cmp_gt_u32_e32 vcc_lo, 32, v0
	s_delay_alu instid0(VALU_DEP_3) | instskip(SKIP_1) | instid1(VALU_DEP_2)
	v_cndmask_b32_e64 v3, 0, 8, s0
	v_cmp_gt_u32_e64 s0, 28, v2
	v_add_lshl_u32 v14, v3, v2, 2
	s_delay_alu instid0(VALU_DEP_2)
	v_cndmask_b32_e64 v4, 0, 4, s0
	v_cmp_gt_u32_e64 s0, 30, v2
	v_lshrrev_b32_e32 v3, 1, v0
	s_wait_kmcnt 0x0
	s_lshl_b64 s[10:11], s[10:11], 4
	v_cndmask_b32_e64 v5, 0, 2, s0
	v_cmp_ne_u32_e64 s0, 31, v2
	v_add_lshl_u32 v15, v4, v2, 2
	v_and_b32_e32 v18, 0x1f0, v3
	s_lshl_b64 s[6:7], s[6:7], 4
	v_add_lshl_u32 v16, v5, v2, 2
	v_add_co_ci_u32_e64 v6, null, 0, v2, s0
	v_lshlrev_b32_e32 v12, 4, v1
	v_cmp_eq_u32_e64 s0, 0, v1
	s_delay_alu instid0(VALU_DEP_3)
	v_dual_mov_b32 v2, 0 :: v_dual_lshlrev_b32 v17, 2, v6
	s_or_b32 s10, s10, 8
	s_or_b64 s[6:7], s[6:7], 8
	s_branch .LBB113_3
.LBB113_2:                              ;   in Loop: Header=BB113_3 Depth=1
	s_wait_xcnt 0x0
	s_or_b32 exec_lo, exec_lo, s2
	s_add_co_i32 s12, s12, 0x10000
	s_delay_alu instid0(SALU_CYCLE_1)
	s_cmp_lt_u32 s12, s3
	s_cbranch_scc0 .LBB113_17
.LBB113_3:                              ; =>This Loop Header: Depth=1
                                        ;     Child Loop BB113_5 Depth 2
	s_wait_dscnt 0x0
	v_mov_b64_e32 v[6:7], 0
	v_mov_b64_e32 v[8:9], 0
	s_mov_b32 s17, exec_lo
	v_cmpx_gt_i32_e64 s16, v0
	s_cbranch_execz .LBB113_7
; %bb.4:                                ;   in Loop: Header=BB113_3 Depth=1
	s_lshl_b64 s[18:19], s[12:13], 3
	v_ashrrev_i32_e32 v1, 31, v0
	s_add_nc_u64 s[20:21], s[8:9], s[18:19]
	s_add_nc_u64 s[18:19], s[4:5], s[18:19]
	s_load_b64 s[22:23], s[20:21], 0x0
	s_load_b64 s[24:25], s[18:19], 0x0
	v_mov_b64_e32 v[6:7], 0
	v_lshlrev_b64_e32 v[8:9], 4, v[0:1]
	s_wait_kmcnt 0x0
	s_wait_xcnt 0x0
	s_add_nc_u64 s[18:19], s[22:23], s[10:11]
	s_add_nc_u64 s[20:21], s[24:25], s[6:7]
	s_delay_alu instid0(VALU_DEP_1)
	v_add_nc_u64_e32 v[4:5], s[18:19], v[8:9]
	v_add_nc_u64_e32 v[10:11], s[20:21], v[8:9]
	v_mov_b64_e32 v[8:9], 0
	s_mov_b32 s18, 0
	s_mov_b32 s19, 0
.LBB113_5:                              ;   Parent Loop BB113_3 Depth=1
                                        ; =>  This Inner Loop Header: Depth=2
	flat_load_b128 v[20:23], v[10:11] offset:-8
	flat_load_b128 v[24:27], v[4:5] offset:-8
	v_add_nc_u32_e32 v0, 0x400, v0
	s_add_co_i32 s20, s19, 1
	s_cmp_gt_u32 s19, 30
	s_wait_xcnt 0x0
	v_add_nc_u64_e32 v[4:5], 0x4000, v[4:5]
	s_cselect_b32 s19, -1, 0
	v_cmp_le_i32_e64 s2, s16, v0
	v_add_nc_u64_e32 v[10:11], 0x4000, v[10:11]
	s_or_b32 s2, s19, s2
	s_mov_b32 s19, s20
	s_and_b32 s2, exec_lo, s2
	s_delay_alu instid0(SALU_CYCLE_1) | instskip(SKIP_3) | instid1(VALU_DEP_2)
	s_or_b32 s18, s2, s18
	s_wait_loadcnt_dscnt 0x0
	v_mul_f64_e32 v[28:29], v[22:23], v[26:27]
	v_mul_f64_e32 v[26:27], v[20:21], v[26:27]
	v_fma_f64 v[20:21], v[20:21], v[24:25], -v[28:29]
	s_delay_alu instid0(VALU_DEP_2) | instskip(NEXT) | instid1(VALU_DEP_2)
	v_fmac_f64_e32 v[26:27], v[22:23], v[24:25]
	v_add_f64_e32 v[8:9], v[8:9], v[20:21]
	s_delay_alu instid0(VALU_DEP_2)
	v_add_f64_e32 v[6:7], v[6:7], v[26:27]
	s_and_not1_b32 exec_lo, exec_lo, s18
	s_cbranch_execnz .LBB113_5
; %bb.6:                                ;   in Loop: Header=BB113_3 Depth=1
	s_or_b32 exec_lo, exec_lo, s18
.LBB113_7:                              ;   in Loop: Header=BB113_3 Depth=1
	s_delay_alu instid0(SALU_CYCLE_1)
	s_or_b32 exec_lo, exec_lo, s17
	s_and_saveexec_b32 s2, vcc_lo
; %bb.8:                                ;   in Loop: Header=BB113_3 Depth=1
	v_dual_mov_b32 v3, v2 :: v_dual_mov_b32 v4, v2
	v_mov_b32_e32 v5, v2
	ds_store_b128 v12, v[2:5]
; %bb.9:                                ;   in Loop: Header=BB113_3 Depth=1
	s_or_b32 exec_lo, exec_lo, s2
	ds_bpermute_b32 v4, v13, v8
	ds_bpermute_b32 v5, v13, v9
	;; [unrolled: 1-line block ×4, first 2 shown]
	s_wait_dscnt 0x0
	s_barrier_signal -1
	s_barrier_wait -1
	v_add_f64_e32 v[4:5], v[8:9], v[4:5]
	v_add_f64_e32 v[6:7], v[6:7], v[10:11]
	ds_bpermute_b32 v8, v14, v4
	ds_bpermute_b32 v9, v14, v5
	ds_bpermute_b32 v10, v14, v6
	ds_bpermute_b32 v11, v14, v7
	s_wait_dscnt 0x2
	v_add_f64_e32 v[4:5], v[4:5], v[8:9]
	s_wait_dscnt 0x0
	v_add_f64_e32 v[6:7], v[6:7], v[10:11]
	ds_bpermute_b32 v8, v15, v4
	ds_bpermute_b32 v9, v15, v5
	ds_bpermute_b32 v10, v15, v6
	ds_bpermute_b32 v11, v15, v7
	s_wait_dscnt 0x2
	v_add_f64_e32 v[4:5], v[4:5], v[8:9]
	s_wait_dscnt 0x0
	;; [unrolled: 8-line block ×3, first 2 shown]
	v_add_f64_e32 v[8:9], v[6:7], v[10:11]
	ds_bpermute_b32 v6, v17, v4
	ds_bpermute_b32 v7, v17, v5
	;; [unrolled: 1-line block ×4, first 2 shown]
	s_and_saveexec_b32 s2, s0
	s_cbranch_execz .LBB113_11
; %bb.10:                               ;   in Loop: Header=BB113_3 Depth=1
	s_wait_dscnt 0x0
	v_add_f64_e32 v[8:9], v[8:9], v[10:11]
	v_add_f64_e32 v[6:7], v[4:5], v[6:7]
	ds_store_b128 v18, v[6:9]
.LBB113_11:                             ;   in Loop: Header=BB113_3 Depth=1
	s_or_b32 exec_lo, exec_lo, s2
	s_wait_dscnt 0x2
	v_mov_b64_e32 v[6:7], 0
	v_mov_b64_e32 v[4:5], 0
	s_wait_dscnt 0x0
	s_barrier_signal -1
	s_barrier_wait -1
	s_and_saveexec_b32 s2, vcc_lo
	s_cbranch_execnz .LBB113_14
; %bb.12:                               ;   in Loop: Header=BB113_3 Depth=1
	s_or_b32 exec_lo, exec_lo, s2
	s_and_saveexec_b32 s2, vcc_lo
	s_cbranch_execnz .LBB113_15
.LBB113_13:                             ;   in Loop: Header=BB113_3 Depth=1
	s_or_b32 exec_lo, exec_lo, s2
	s_and_saveexec_b32 s2, s1
	s_cbranch_execz .LBB113_2
	s_branch .LBB113_16
.LBB113_14:                             ;   in Loop: Header=BB113_3 Depth=1
	ds_load_b128 v[4:7], v12
	s_or_b32 exec_lo, exec_lo, s2
	s_and_saveexec_b32 s2, vcc_lo
	s_cbranch_execz .LBB113_13
.LBB113_15:                             ;   in Loop: Header=BB113_3 Depth=1
	s_wait_dscnt 0x0
	ds_bpermute_b32 v8, v13, v4
	ds_bpermute_b32 v9, v13, v5
	ds_bpermute_b32 v10, v13, v6
	ds_bpermute_b32 v11, v13, v7
	s_wait_dscnt 0x2
	v_add_f64_e32 v[4:5], v[4:5], v[8:9]
	s_wait_dscnt 0x0
	v_add_f64_e32 v[6:7], v[6:7], v[10:11]
	ds_bpermute_b32 v8, v14, v4
	ds_bpermute_b32 v9, v14, v5
	ds_bpermute_b32 v10, v14, v6
	ds_bpermute_b32 v11, v14, v7
	s_wait_dscnt 0x2
	v_add_f64_e32 v[4:5], v[4:5], v[8:9]
	s_wait_dscnt 0x0
	v_add_f64_e32 v[6:7], v[6:7], v[10:11]
	;; [unrolled: 8-line block ×5, first 2 shown]
	s_or_b32 exec_lo, exec_lo, s2
	s_and_saveexec_b32 s2, s1
	s_cbranch_execz .LBB113_2
.LBB113_16:                             ;   in Loop: Header=BB113_3 Depth=1
	s_lshl_b64 s[18:19], s[12:13], 4
	s_delay_alu instid0(SALU_CYCLE_1)
	s_add_nc_u64 s[18:19], s[14:15], s[18:19]
	s_wait_dscnt 0x0
	global_store_b128 v2, v[4:7], s[18:19]
	s_branch .LBB113_2
.LBB113_17:
	s_endpgm
	.section	.rodata,"a",@progbits
	.p2align	6, 0x0
	.amdhsa_kernel _ZL26rocblas_dot_kernel_inc1by2ILb1ELi1024ELi32ELb0E19rocblas_complex_numIdEPKPKS1_S1_EviT4_llS6_lliPT5_PT3_
		.amdhsa_group_segment_fixed_size 512
		.amdhsa_private_segment_fixed_size 0
		.amdhsa_kernarg_size 80
		.amdhsa_user_sgpr_count 2
		.amdhsa_user_sgpr_dispatch_ptr 0
		.amdhsa_user_sgpr_queue_ptr 0
		.amdhsa_user_sgpr_kernarg_segment_ptr 1
		.amdhsa_user_sgpr_dispatch_id 0
		.amdhsa_user_sgpr_kernarg_preload_length 0
		.amdhsa_user_sgpr_kernarg_preload_offset 0
		.amdhsa_user_sgpr_private_segment_size 0
		.amdhsa_wavefront_size32 1
		.amdhsa_uses_dynamic_stack 0
		.amdhsa_enable_private_segment 0
		.amdhsa_system_sgpr_workgroup_id_x 1
		.amdhsa_system_sgpr_workgroup_id_y 0
		.amdhsa_system_sgpr_workgroup_id_z 1
		.amdhsa_system_sgpr_workgroup_info 0
		.amdhsa_system_vgpr_workitem_id 0
		.amdhsa_next_free_vgpr 30
		.amdhsa_next_free_sgpr 26
		.amdhsa_named_barrier_count 0
		.amdhsa_reserve_vcc 1
		.amdhsa_float_round_mode_32 0
		.amdhsa_float_round_mode_16_64 0
		.amdhsa_float_denorm_mode_32 3
		.amdhsa_float_denorm_mode_16_64 3
		.amdhsa_fp16_overflow 0
		.amdhsa_memory_ordered 1
		.amdhsa_forward_progress 1
		.amdhsa_inst_pref_size 10
		.amdhsa_round_robin_scheduling 0
		.amdhsa_exception_fp_ieee_invalid_op 0
		.amdhsa_exception_fp_denorm_src 0
		.amdhsa_exception_fp_ieee_div_zero 0
		.amdhsa_exception_fp_ieee_overflow 0
		.amdhsa_exception_fp_ieee_underflow 0
		.amdhsa_exception_fp_ieee_inexact 0
		.amdhsa_exception_int_div_zero 0
	.end_amdhsa_kernel
	.section	.text._ZL26rocblas_dot_kernel_inc1by2ILb1ELi1024ELi32ELb0E19rocblas_complex_numIdEPKPKS1_S1_EviT4_llS6_lliPT5_PT3_,"axG",@progbits,_ZL26rocblas_dot_kernel_inc1by2ILb1ELi1024ELi32ELb0E19rocblas_complex_numIdEPKPKS1_S1_EviT4_llS6_lliPT5_PT3_,comdat
.Lfunc_end113:
	.size	_ZL26rocblas_dot_kernel_inc1by2ILb1ELi1024ELi32ELb0E19rocblas_complex_numIdEPKPKS1_S1_EviT4_llS6_lliPT5_PT3_, .Lfunc_end113-_ZL26rocblas_dot_kernel_inc1by2ILb1ELi1024ELi32ELb0E19rocblas_complex_numIdEPKPKS1_S1_EviT4_llS6_lliPT5_PT3_
                                        ; -- End function
	.set _ZL26rocblas_dot_kernel_inc1by2ILb1ELi1024ELi32ELb0E19rocblas_complex_numIdEPKPKS1_S1_EviT4_llS6_lliPT5_PT3_.num_vgpr, 30
	.set _ZL26rocblas_dot_kernel_inc1by2ILb1ELi1024ELi32ELb0E19rocblas_complex_numIdEPKPKS1_S1_EviT4_llS6_lliPT5_PT3_.num_agpr, 0
	.set _ZL26rocblas_dot_kernel_inc1by2ILb1ELi1024ELi32ELb0E19rocblas_complex_numIdEPKPKS1_S1_EviT4_llS6_lliPT5_PT3_.numbered_sgpr, 26
	.set _ZL26rocblas_dot_kernel_inc1by2ILb1ELi1024ELi32ELb0E19rocblas_complex_numIdEPKPKS1_S1_EviT4_llS6_lliPT5_PT3_.num_named_barrier, 0
	.set _ZL26rocblas_dot_kernel_inc1by2ILb1ELi1024ELi32ELb0E19rocblas_complex_numIdEPKPKS1_S1_EviT4_llS6_lliPT5_PT3_.private_seg_size, 0
	.set _ZL26rocblas_dot_kernel_inc1by2ILb1ELi1024ELi32ELb0E19rocblas_complex_numIdEPKPKS1_S1_EviT4_llS6_lliPT5_PT3_.uses_vcc, 1
	.set _ZL26rocblas_dot_kernel_inc1by2ILb1ELi1024ELi32ELb0E19rocblas_complex_numIdEPKPKS1_S1_EviT4_llS6_lliPT5_PT3_.uses_flat_scratch, 0
	.set _ZL26rocblas_dot_kernel_inc1by2ILb1ELi1024ELi32ELb0E19rocblas_complex_numIdEPKPKS1_S1_EviT4_llS6_lliPT5_PT3_.has_dyn_sized_stack, 0
	.set _ZL26rocblas_dot_kernel_inc1by2ILb1ELi1024ELi32ELb0E19rocblas_complex_numIdEPKPKS1_S1_EviT4_llS6_lliPT5_PT3_.has_recursion, 0
	.set _ZL26rocblas_dot_kernel_inc1by2ILb1ELi1024ELi32ELb0E19rocblas_complex_numIdEPKPKS1_S1_EviT4_llS6_lliPT5_PT3_.has_indirect_call, 0
	.section	.AMDGPU.csdata,"",@progbits
; Kernel info:
; codeLenInByte = 1244
; TotalNumSgprs: 28
; NumVgprs: 30
; ScratchSize: 0
; MemoryBound: 0
; FloatMode: 240
; IeeeMode: 1
; LDSByteSize: 512 bytes/workgroup (compile time only)
; SGPRBlocks: 0
; VGPRBlocks: 1
; NumSGPRsForWavesPerEU: 28
; NumVGPRsForWavesPerEU: 30
; NamedBarCnt: 0
; Occupancy: 16
; WaveLimiterHint : 0
; COMPUTE_PGM_RSRC2:SCRATCH_EN: 0
; COMPUTE_PGM_RSRC2:USER_SGPR: 2
; COMPUTE_PGM_RSRC2:TRAP_HANDLER: 0
; COMPUTE_PGM_RSRC2:TGID_X_EN: 1
; COMPUTE_PGM_RSRC2:TGID_Y_EN: 0
; COMPUTE_PGM_RSRC2:TGID_Z_EN: 1
; COMPUTE_PGM_RSRC2:TIDIG_COMP_CNT: 0
	.section	.text._ZL18rocblas_dot_kernelIiLb1ELi1024ELi32ELb0E19rocblas_complex_numIdEPKPKS1_S1_EviT5_lT_lS6_lS7_liPT6_PT4_,"axG",@progbits,_ZL18rocblas_dot_kernelIiLb1ELi1024ELi32ELb0E19rocblas_complex_numIdEPKPKS1_S1_EviT5_lT_lS6_lS7_liPT6_PT4_,comdat
	.globl	_ZL18rocblas_dot_kernelIiLb1ELi1024ELi32ELb0E19rocblas_complex_numIdEPKPKS1_S1_EviT5_lT_lS6_lS7_liPT6_PT4_ ; -- Begin function _ZL18rocblas_dot_kernelIiLb1ELi1024ELi32ELb0E19rocblas_complex_numIdEPKPKS1_S1_EviT5_lT_lS6_lS7_liPT6_PT4_
	.p2align	8
	.type	_ZL18rocblas_dot_kernelIiLb1ELi1024ELi32ELb0E19rocblas_complex_numIdEPKPKS1_S1_EviT5_lT_lS6_lS7_liPT6_PT4_,@function
_ZL18rocblas_dot_kernelIiLb1ELi1024ELi32ELb0E19rocblas_complex_numIdEPKPKS1_S1_EviT5_lT_lS6_lS7_liPT6_PT4_: ; @_ZL18rocblas_dot_kernelIiLb1ELi1024ELi32ELb0E19rocblas_complex_numIdEPKPKS1_S1_EviT5_lT_lS6_lS7_liPT6_PT4_
; %bb.0:
	s_load_b32 s3, s[0:1], 0x48
	s_bfe_u32 s2, ttmp6, 0x40014
	s_lshr_b32 s4, ttmp7, 16
	s_add_co_i32 s2, s2, 1
	s_bfe_u32 s5, ttmp6, 0x40008
	s_mul_i32 s2, s4, s2
	s_getreg_b32 s6, hwreg(HW_REG_IB_STS2, 6, 4)
	s_add_co_i32 s5, s5, s2
	s_cmp_eq_u32 s6, 0
	s_mov_b32 s17, 0
	s_cselect_b32 s16, s4, s5
	s_wait_kmcnt 0x0
	s_cmp_ge_u32 s16, s3
	s_cbranch_scc1 .LBB114_17
; %bb.1:
	v_mbcnt_lo_u32_b32 v3, -1, 0
	s_clause 0x5
	s_load_b32 s20, s[0:1], 0x18
	s_load_b32 s22, s[0:1], 0x38
	s_load_b96 s[12:14], s[0:1], 0x58
	s_load_b128 s[4:7], s[0:1], 0x28
	s_load_b128 s[8:11], s[0:1], 0x8
	s_load_b32 s26, s[0:1], 0x0
	v_and_b32_e32 v2, 31, v0
	s_wait_xcnt 0x0
	v_cmp_eq_u32_e64 s1, 0, v0
	v_cmp_gt_u32_e64 s0, 24, v3
	v_lshl_or_b32 v12, v3, 2, 64
	v_cmp_gt_u32_e32 vcc_lo, 32, v0
	s_delay_alu instid0(VALU_DEP_3) | instskip(SKIP_1) | instid1(VALU_DEP_2)
	v_cndmask_b32_e64 v4, 0, 8, s0
	v_cmp_gt_u32_e64 s0, 28, v3
	v_add_lshl_u32 v13, v4, v3, 2
	s_delay_alu instid0(VALU_DEP_2)
	v_cndmask_b32_e64 v5, 0, 4, s0
	v_cmp_gt_u32_e64 s0, 30, v3
	v_lshrrev_b32_e32 v4, 1, v0
	s_wait_kmcnt 0x0
	s_ashr_i32 s21, s20, 31
	s_lshl_b32 s14, s14, 10
	s_ashr_i32 s23, s22, 31
	v_cndmask_b32_e64 v6, 0, 2, s0
	v_cmp_ne_u32_e64 s0, 31, v3
	s_ashr_i32 s15, s14, 31
	s_lshl_b64 s[18:19], s[20:21], 4
	s_mul_u64 s[20:21], s[20:21], s[14:15]
	s_lshl_b64 s[24:25], s[6:7], 4
	v_add_co_ci_u32_e64 v7, null, 0, v3, s0
	v_lshlrev_b32_e32 v1, 4, v2
	v_add_lshl_u32 v14, v5, v3, 2
	v_add_lshl_u32 v15, v6, v3, 2
	s_delay_alu instid0(VALU_DEP_4)
	v_lshlrev_b32_e32 v16, 2, v7
	v_cmp_eq_u32_e64 s0, 0, v2
	v_and_b32_e32 v17, 0x1f0, v4
	v_mov_b32_e32 v2, 0
	s_lshl_b64 s[10:11], s[10:11], 4
	s_lshl_b64 s[6:7], s[20:21], 4
	s_or_b64 s[20:21], s[24:25], 8
	s_mul_u64 s[24:25], s[22:23], s[14:15]
	s_or_b32 s10, s10, 8
	s_lshl_b64 s[22:23], s[22:23], 4
	s_lshl_b64 s[24:25], s[24:25], 4
	s_branch .LBB114_3
.LBB114_2:                              ;   in Loop: Header=BB114_3 Depth=1
	s_wait_xcnt 0x0
	s_or_b32 exec_lo, exec_lo, s2
	s_add_co_i32 s16, s16, 0x10000
	s_delay_alu instid0(SALU_CYCLE_1)
	s_cmp_lt_u32 s16, s3
	s_cbranch_scc0 .LBB114_17
.LBB114_3:                              ; =>This Loop Header: Depth=1
                                        ;     Child Loop BB114_5 Depth 2
	s_wait_dscnt 0x0
	v_mov_b64_e32 v[6:7], 0
	v_mov_b64_e32 v[8:9], 0
	s_mov_b32 s15, exec_lo
	v_cmpx_gt_i32_e64 s26, v0
	s_cbranch_execz .LBB114_7
; %bb.4:                                ;   in Loop: Header=BB114_3 Depth=1
	s_lshl_b64 s[28:29], s[16:17], 3
	v_ashrrev_i32_e32 v7, 31, v0
	s_add_nc_u64 s[30:31], s[8:9], s[28:29]
	s_add_nc_u64 s[28:29], s[4:5], s[28:29]
	s_load_b64 s[34:35], s[30:31], 0x0
	s_load_b64 s[36:37], s[28:29], 0x0
	v_mov_b64_e32 v[8:9], 0
	s_mov_b32 s27, 0
	s_wait_kmcnt 0x0
	s_wait_xcnt 0x0
	s_add_nc_u64 s[28:29], s[34:35], s[10:11]
	s_add_nc_u64 s[30:31], s[36:37], s[20:21]
	v_mad_nc_u64_u32 v[4:5], s18, v0, s[28:29]
	v_mad_nc_u64_u32 v[10:11], s22, v0, s[30:31]
	s_mov_b32 s28, 0
	s_delay_alu instid0(VALU_DEP_2) | instskip(NEXT) | instid1(VALU_DEP_2)
	v_mad_u32 v3, s19, v0, v5
	v_mad_u32 v6, s23, v0, v11
	s_delay_alu instid0(VALU_DEP_2) | instskip(NEXT) | instid1(VALU_DEP_2)
	v_mad_u32 v5, s18, v7, v3
	v_mad_u32 v11, s22, v7, v6
	v_mov_b64_e32 v[6:7], 0
.LBB114_5:                              ;   Parent Loop BB114_3 Depth=1
                                        ; =>  This Inner Loop Header: Depth=2
	flat_load_b128 v[18:21], v[10:11] offset:-8
	flat_load_b128 v[22:25], v[4:5] offset:-8
	s_add_co_i32 s29, s28, 1
	s_cmp_gt_u32 s28, 30
	s_wait_xcnt 0x0
	v_add_nc_u64_e32 v[4:5], s[6:7], v[4:5]
	s_cselect_b32 s28, -1, 0
	v_add_nc_u64_e32 v[10:11], s[24:25], v[10:11]
	v_add_nc_u32_e32 v0, s14, v0
	s_delay_alu instid0(VALU_DEP_1) | instskip(SKIP_3) | instid1(SALU_CYCLE_1)
	v_cmp_le_i32_e64 s2, s26, v0
	s_or_b32 s2, s28, s2
	s_mov_b32 s28, s29
	s_and_b32 s2, exec_lo, s2
	s_or_b32 s27, s2, s27
	s_wait_loadcnt_dscnt 0x0
	v_mul_f64_e32 v[26:27], v[20:21], v[24:25]
	v_mul_f64_e32 v[24:25], v[18:19], v[24:25]
	s_delay_alu instid0(VALU_DEP_2) | instskip(NEXT) | instid1(VALU_DEP_2)
	v_fma_f64 v[18:19], v[18:19], v[22:23], -v[26:27]
	v_fmac_f64_e32 v[24:25], v[20:21], v[22:23]
	s_delay_alu instid0(VALU_DEP_2) | instskip(NEXT) | instid1(VALU_DEP_2)
	v_add_f64_e32 v[8:9], v[8:9], v[18:19]
	v_add_f64_e32 v[6:7], v[6:7], v[24:25]
	s_and_not1_b32 exec_lo, exec_lo, s27
	s_cbranch_execnz .LBB114_5
; %bb.6:                                ;   in Loop: Header=BB114_3 Depth=1
	s_or_b32 exec_lo, exec_lo, s27
.LBB114_7:                              ;   in Loop: Header=BB114_3 Depth=1
	s_delay_alu instid0(SALU_CYCLE_1)
	s_or_b32 exec_lo, exec_lo, s15
	s_and_saveexec_b32 s2, vcc_lo
; %bb.8:                                ;   in Loop: Header=BB114_3 Depth=1
	v_dual_mov_b32 v3, v2 :: v_dual_mov_b32 v4, v2
	v_mov_b32_e32 v5, v2
	ds_store_b128 v1, v[2:5]
; %bb.9:                                ;   in Loop: Header=BB114_3 Depth=1
	s_or_b32 exec_lo, exec_lo, s2
	ds_bpermute_b32 v4, v12, v8
	ds_bpermute_b32 v5, v12, v9
	;; [unrolled: 1-line block ×4, first 2 shown]
	s_wait_dscnt 0x0
	s_barrier_signal -1
	s_barrier_wait -1
	v_add_f64_e32 v[4:5], v[8:9], v[4:5]
	v_add_f64_e32 v[6:7], v[6:7], v[10:11]
	ds_bpermute_b32 v8, v13, v4
	ds_bpermute_b32 v9, v13, v5
	ds_bpermute_b32 v10, v13, v6
	ds_bpermute_b32 v11, v13, v7
	s_wait_dscnt 0x2
	v_add_f64_e32 v[4:5], v[4:5], v[8:9]
	s_wait_dscnt 0x0
	v_add_f64_e32 v[6:7], v[6:7], v[10:11]
	ds_bpermute_b32 v8, v14, v4
	ds_bpermute_b32 v9, v14, v5
	ds_bpermute_b32 v10, v14, v6
	ds_bpermute_b32 v11, v14, v7
	s_wait_dscnt 0x2
	v_add_f64_e32 v[4:5], v[4:5], v[8:9]
	s_wait_dscnt 0x0
	;; [unrolled: 8-line block ×3, first 2 shown]
	v_add_f64_e32 v[8:9], v[6:7], v[10:11]
	ds_bpermute_b32 v6, v16, v4
	ds_bpermute_b32 v7, v16, v5
	;; [unrolled: 1-line block ×4, first 2 shown]
	s_and_saveexec_b32 s2, s0
	s_cbranch_execz .LBB114_11
; %bb.10:                               ;   in Loop: Header=BB114_3 Depth=1
	s_wait_dscnt 0x0
	v_add_f64_e32 v[8:9], v[8:9], v[10:11]
	v_add_f64_e32 v[6:7], v[4:5], v[6:7]
	ds_store_b128 v17, v[6:9]
.LBB114_11:                             ;   in Loop: Header=BB114_3 Depth=1
	s_or_b32 exec_lo, exec_lo, s2
	s_wait_dscnt 0x2
	v_mov_b64_e32 v[6:7], 0
	v_mov_b64_e32 v[4:5], 0
	s_wait_dscnt 0x0
	s_barrier_signal -1
	s_barrier_wait -1
	s_and_saveexec_b32 s2, vcc_lo
	s_cbranch_execnz .LBB114_14
; %bb.12:                               ;   in Loop: Header=BB114_3 Depth=1
	s_or_b32 exec_lo, exec_lo, s2
	s_and_saveexec_b32 s2, vcc_lo
	s_cbranch_execnz .LBB114_15
.LBB114_13:                             ;   in Loop: Header=BB114_3 Depth=1
	s_or_b32 exec_lo, exec_lo, s2
	s_and_saveexec_b32 s2, s1
	s_cbranch_execz .LBB114_2
	s_branch .LBB114_16
.LBB114_14:                             ;   in Loop: Header=BB114_3 Depth=1
	ds_load_b128 v[4:7], v1
	s_or_b32 exec_lo, exec_lo, s2
	s_and_saveexec_b32 s2, vcc_lo
	s_cbranch_execz .LBB114_13
.LBB114_15:                             ;   in Loop: Header=BB114_3 Depth=1
	s_wait_dscnt 0x0
	ds_bpermute_b32 v8, v12, v4
	ds_bpermute_b32 v9, v12, v5
	ds_bpermute_b32 v10, v12, v6
	ds_bpermute_b32 v11, v12, v7
	s_wait_dscnt 0x2
	v_add_f64_e32 v[4:5], v[4:5], v[8:9]
	s_wait_dscnt 0x0
	v_add_f64_e32 v[6:7], v[6:7], v[10:11]
	ds_bpermute_b32 v8, v13, v4
	ds_bpermute_b32 v9, v13, v5
	ds_bpermute_b32 v10, v13, v6
	ds_bpermute_b32 v11, v13, v7
	s_wait_dscnt 0x2
	v_add_f64_e32 v[4:5], v[4:5], v[8:9]
	s_wait_dscnt 0x0
	v_add_f64_e32 v[6:7], v[6:7], v[10:11]
	;; [unrolled: 8-line block ×5, first 2 shown]
	s_or_b32 exec_lo, exec_lo, s2
	s_and_saveexec_b32 s2, s1
	s_cbranch_execz .LBB114_2
.LBB114_16:                             ;   in Loop: Header=BB114_3 Depth=1
	s_lshl_b64 s[28:29], s[16:17], 4
	s_delay_alu instid0(SALU_CYCLE_1)
	s_add_nc_u64 s[28:29], s[12:13], s[28:29]
	s_wait_dscnt 0x0
	global_store_b128 v2, v[4:7], s[28:29]
	s_branch .LBB114_2
.LBB114_17:
	s_endpgm
	.section	.rodata,"a",@progbits
	.p2align	6, 0x0
	.amdhsa_kernel _ZL18rocblas_dot_kernelIiLb1ELi1024ELi32ELb0E19rocblas_complex_numIdEPKPKS1_S1_EviT5_lT_lS6_lS7_liPT6_PT4_
		.amdhsa_group_segment_fixed_size 512
		.amdhsa_private_segment_fixed_size 0
		.amdhsa_kernarg_size 352
		.amdhsa_user_sgpr_count 2
		.amdhsa_user_sgpr_dispatch_ptr 0
		.amdhsa_user_sgpr_queue_ptr 0
		.amdhsa_user_sgpr_kernarg_segment_ptr 1
		.amdhsa_user_sgpr_dispatch_id 0
		.amdhsa_user_sgpr_kernarg_preload_length 0
		.amdhsa_user_sgpr_kernarg_preload_offset 0
		.amdhsa_user_sgpr_private_segment_size 0
		.amdhsa_wavefront_size32 1
		.amdhsa_uses_dynamic_stack 0
		.amdhsa_enable_private_segment 0
		.amdhsa_system_sgpr_workgroup_id_x 1
		.amdhsa_system_sgpr_workgroup_id_y 0
		.amdhsa_system_sgpr_workgroup_id_z 1
		.amdhsa_system_sgpr_workgroup_info 0
		.amdhsa_system_vgpr_workitem_id 0
		.amdhsa_next_free_vgpr 28
		.amdhsa_next_free_sgpr 38
		.amdhsa_named_barrier_count 0
		.amdhsa_reserve_vcc 1
		.amdhsa_float_round_mode_32 0
		.amdhsa_float_round_mode_16_64 0
		.amdhsa_float_denorm_mode_32 3
		.amdhsa_float_denorm_mode_16_64 3
		.amdhsa_fp16_overflow 0
		.amdhsa_memory_ordered 1
		.amdhsa_forward_progress 1
		.amdhsa_inst_pref_size 11
		.amdhsa_round_robin_scheduling 0
		.amdhsa_exception_fp_ieee_invalid_op 0
		.amdhsa_exception_fp_denorm_src 0
		.amdhsa_exception_fp_ieee_div_zero 0
		.amdhsa_exception_fp_ieee_overflow 0
		.amdhsa_exception_fp_ieee_underflow 0
		.amdhsa_exception_fp_ieee_inexact 0
		.amdhsa_exception_int_div_zero 0
	.end_amdhsa_kernel
	.section	.text._ZL18rocblas_dot_kernelIiLb1ELi1024ELi32ELb0E19rocblas_complex_numIdEPKPKS1_S1_EviT5_lT_lS6_lS7_liPT6_PT4_,"axG",@progbits,_ZL18rocblas_dot_kernelIiLb1ELi1024ELi32ELb0E19rocblas_complex_numIdEPKPKS1_S1_EviT5_lT_lS6_lS7_liPT6_PT4_,comdat
.Lfunc_end114:
	.size	_ZL18rocblas_dot_kernelIiLb1ELi1024ELi32ELb0E19rocblas_complex_numIdEPKPKS1_S1_EviT5_lT_lS6_lS7_liPT6_PT4_, .Lfunc_end114-_ZL18rocblas_dot_kernelIiLb1ELi1024ELi32ELb0E19rocblas_complex_numIdEPKPKS1_S1_EviT5_lT_lS6_lS7_liPT6_PT4_
                                        ; -- End function
	.set _ZL18rocblas_dot_kernelIiLb1ELi1024ELi32ELb0E19rocblas_complex_numIdEPKPKS1_S1_EviT5_lT_lS6_lS7_liPT6_PT4_.num_vgpr, 28
	.set _ZL18rocblas_dot_kernelIiLb1ELi1024ELi32ELb0E19rocblas_complex_numIdEPKPKS1_S1_EviT5_lT_lS6_lS7_liPT6_PT4_.num_agpr, 0
	.set _ZL18rocblas_dot_kernelIiLb1ELi1024ELi32ELb0E19rocblas_complex_numIdEPKPKS1_S1_EviT5_lT_lS6_lS7_liPT6_PT4_.numbered_sgpr, 38
	.set _ZL18rocblas_dot_kernelIiLb1ELi1024ELi32ELb0E19rocblas_complex_numIdEPKPKS1_S1_EviT5_lT_lS6_lS7_liPT6_PT4_.num_named_barrier, 0
	.set _ZL18rocblas_dot_kernelIiLb1ELi1024ELi32ELb0E19rocblas_complex_numIdEPKPKS1_S1_EviT5_lT_lS6_lS7_liPT6_PT4_.private_seg_size, 0
	.set _ZL18rocblas_dot_kernelIiLb1ELi1024ELi32ELb0E19rocblas_complex_numIdEPKPKS1_S1_EviT5_lT_lS6_lS7_liPT6_PT4_.uses_vcc, 1
	.set _ZL18rocblas_dot_kernelIiLb1ELi1024ELi32ELb0E19rocblas_complex_numIdEPKPKS1_S1_EviT5_lT_lS6_lS7_liPT6_PT4_.uses_flat_scratch, 0
	.set _ZL18rocblas_dot_kernelIiLb1ELi1024ELi32ELb0E19rocblas_complex_numIdEPKPKS1_S1_EviT5_lT_lS6_lS7_liPT6_PT4_.has_dyn_sized_stack, 0
	.set _ZL18rocblas_dot_kernelIiLb1ELi1024ELi32ELb0E19rocblas_complex_numIdEPKPKS1_S1_EviT5_lT_lS6_lS7_liPT6_PT4_.has_recursion, 0
	.set _ZL18rocblas_dot_kernelIiLb1ELi1024ELi32ELb0E19rocblas_complex_numIdEPKPKS1_S1_EviT5_lT_lS6_lS7_liPT6_PT4_.has_indirect_call, 0
	.section	.AMDGPU.csdata,"",@progbits
; Kernel info:
; codeLenInByte = 1328
; TotalNumSgprs: 40
; NumVgprs: 28
; ScratchSize: 0
; MemoryBound: 0
; FloatMode: 240
; IeeeMode: 1
; LDSByteSize: 512 bytes/workgroup (compile time only)
; SGPRBlocks: 0
; VGPRBlocks: 1
; NumSGPRsForWavesPerEU: 40
; NumVGPRsForWavesPerEU: 28
; NamedBarCnt: 0
; Occupancy: 16
; WaveLimiterHint : 0
; COMPUTE_PGM_RSRC2:SCRATCH_EN: 0
; COMPUTE_PGM_RSRC2:USER_SGPR: 2
; COMPUTE_PGM_RSRC2:TRAP_HANDLER: 0
; COMPUTE_PGM_RSRC2:TGID_X_EN: 1
; COMPUTE_PGM_RSRC2:TGID_Y_EN: 0
; COMPUTE_PGM_RSRC2:TGID_Z_EN: 1
; COMPUTE_PGM_RSRC2:TIDIG_COMP_CNT: 0
	.section	.text._ZL24rocblas_dot_kernel_magsqIiLb1ELi1024ELi32ELb0E19rocblas_complex_numIdEPKPKS1_S1_EviT5_lT_liPT6_PT4_,"axG",@progbits,_ZL24rocblas_dot_kernel_magsqIiLb1ELi1024ELi32ELb0E19rocblas_complex_numIdEPKPKS1_S1_EviT5_lT_liPT6_PT4_,comdat
	.globl	_ZL24rocblas_dot_kernel_magsqIiLb1ELi1024ELi32ELb0E19rocblas_complex_numIdEPKPKS1_S1_EviT5_lT_liPT6_PT4_ ; -- Begin function _ZL24rocblas_dot_kernel_magsqIiLb1ELi1024ELi32ELb0E19rocblas_complex_numIdEPKPKS1_S1_EviT5_lT_liPT6_PT4_
	.p2align	8
	.type	_ZL24rocblas_dot_kernel_magsqIiLb1ELi1024ELi32ELb0E19rocblas_complex_numIdEPKPKS1_S1_EviT5_lT_liPT6_PT4_,@function
_ZL24rocblas_dot_kernel_magsqIiLb1ELi1024ELi32ELb0E19rocblas_complex_numIdEPKPKS1_S1_EviT5_lT_liPT6_PT4_: ; @_ZL24rocblas_dot_kernel_magsqIiLb1ELi1024ELi32ELb0E19rocblas_complex_numIdEPKPKS1_S1_EviT5_lT_liPT6_PT4_
; %bb.0:
	s_load_b32 s3, s[0:1], 0x28
	s_bfe_u32 s2, ttmp6, 0x40014
	s_lshr_b32 s4, ttmp7, 16
	s_add_co_i32 s2, s2, 1
	s_bfe_u32 s5, ttmp6, 0x40008
	s_mul_i32 s2, s4, s2
	s_getreg_b32 s6, hwreg(HW_REG_IB_STS2, 6, 4)
	s_add_co_i32 s5, s5, s2
	s_cmp_eq_u32 s6, 0
	s_mov_b32 s13, 0
	s_cselect_b32 s12, s4, s5
	s_wait_kmcnt 0x0
	s_cmp_ge_u32 s12, s3
	s_cbranch_scc1 .LBB115_17
; %bb.1:
	v_mbcnt_lo_u32_b32 v3, -1, 0
	s_clause 0x3
	s_load_b32 s14, s[0:1], 0x18
	s_load_b96 s[8:10], s[0:1], 0x38
	s_load_b128 s[4:7], s[0:1], 0x8
	s_load_b32 s18, s[0:1], 0x0
	v_and_b32_e32 v2, 31, v0
	s_wait_xcnt 0x0
	v_cmp_eq_u32_e64 s1, 0, v0
	v_cmp_gt_u32_e64 s0, 24, v3
	v_lshl_or_b32 v12, v3, 2, 64
	v_cmp_gt_u32_e32 vcc_lo, 32, v0
	s_delay_alu instid0(VALU_DEP_3) | instskip(SKIP_1) | instid1(VALU_DEP_2)
	v_cndmask_b32_e64 v4, 0, 8, s0
	v_cmp_gt_u32_e64 s0, 28, v3
	v_add_lshl_u32 v13, v4, v3, 2
	s_delay_alu instid0(VALU_DEP_2)
	v_cndmask_b32_e64 v5, 0, 4, s0
	v_cmp_gt_u32_e64 s0, 30, v3
	v_lshrrev_b32_e32 v4, 1, v0
	s_wait_kmcnt 0x0
	s_ashr_i32 s15, s14, 31
	s_lshl_b32 s10, s10, 10
	v_cndmask_b32_e64 v6, 0, 2, s0
	v_cmp_ne_u32_e64 s0, 31, v3
	s_ashr_i32 s11, s10, 31
	v_add_lshl_u32 v14, v5, v3, 2
	v_and_b32_e32 v17, 0x1f0, v4
	v_add_lshl_u32 v15, v6, v3, 2
	v_add_co_ci_u32_e64 v7, null, 0, v3, s0
	v_lshlrev_b32_e32 v1, 4, v2
	v_cmp_eq_u32_e64 s0, 0, v2
	s_delay_alu instid0(VALU_DEP_3)
	v_dual_mov_b32 v2, 0 :: v_dual_lshlrev_b32 v16, 2, v7
	s_mul_u64 s[16:17], s[14:15], s[10:11]
	s_lshl_b64 s[6:7], s[6:7], 4
	s_lshl_b64 s[14:15], s[14:15], 4
	;; [unrolled: 1-line block ×3, first 2 shown]
	s_branch .LBB115_3
.LBB115_2:                              ;   in Loop: Header=BB115_3 Depth=1
	s_wait_xcnt 0x0
	s_or_b32 exec_lo, exec_lo, s2
	s_add_co_i32 s12, s12, 0x10000
	s_delay_alu instid0(SALU_CYCLE_1)
	s_cmp_lt_u32 s12, s3
	s_cbranch_scc0 .LBB115_17
.LBB115_3:                              ; =>This Loop Header: Depth=1
                                        ;     Child Loop BB115_5 Depth 2
	s_wait_dscnt 0x0
	v_mov_b64_e32 v[6:7], 0
	v_mov_b64_e32 v[8:9], 0
	s_mov_b32 s11, exec_lo
	v_cmpx_gt_i32_e64 s18, v0
	s_cbranch_execz .LBB115_7
; %bb.4:                                ;   in Loop: Header=BB115_3 Depth=1
	s_lshl_b64 s[20:21], s[12:13], 3
	v_mov_b64_e32 v[6:7], 0
	s_add_nc_u64 s[20:21], s[4:5], s[20:21]
	v_mov_b64_e32 v[8:9], 0
	s_load_b64 s[20:21], s[20:21], 0x0
	s_mov_b32 s19, 0
	s_wait_kmcnt 0x0
	s_wait_xcnt 0x0
	s_add_nc_u64 s[20:21], s[20:21], s[6:7]
	s_delay_alu instid0(SALU_CYCLE_1) | instskip(SKIP_1) | instid1(VALU_DEP_1)
	v_mad_nc_u64_u32 v[4:5], s14, v0, s[20:21]
	s_mov_b32 s20, 0
	v_mad_u32 v3, s15, v0, v5
	v_ashrrev_i32_e32 v5, 31, v0
	s_delay_alu instid0(VALU_DEP_1)
	v_mad_u32 v5, s14, v5, v3
.LBB115_5:                              ;   Parent Loop BB115_3 Depth=1
                                        ; =>  This Inner Loop Header: Depth=2
	flat_load_b128 v[18:21], v[4:5]
	s_add_co_i32 s21, s20, 1
	s_cmp_gt_u32 s20, 30
	s_wait_xcnt 0x0
	v_add_nc_u64_e32 v[4:5], s[16:17], v[4:5]
	s_cselect_b32 s20, -1, 0
	v_add_nc_u32_e32 v0, s10, v0
	s_delay_alu instid0(VALU_DEP_1) | instskip(SKIP_3) | instid1(SALU_CYCLE_1)
	v_cmp_le_i32_e64 s2, s18, v0
	s_or_b32 s2, s20, s2
	s_mov_b32 s20, s21
	s_and_b32 s2, exec_lo, s2
	s_or_b32 s19, s2, s19
	s_wait_loadcnt_dscnt 0x0
	v_mul_f64_e32 v[10:11], v[20:21], v[20:21]
	v_mul_f64_e32 v[20:21], v[18:19], v[20:21]
	s_delay_alu instid0(VALU_DEP_2) | instskip(NEXT) | instid1(VALU_DEP_2)
	v_fma_f64 v[10:11], v[18:19], v[18:19], -v[10:11]
	v_fmac_f64_e32 v[6:7], 2.0, v[20:21]
	s_delay_alu instid0(VALU_DEP_2)
	v_add_f64_e32 v[8:9], v[8:9], v[10:11]
	s_and_not1_b32 exec_lo, exec_lo, s19
	s_cbranch_execnz .LBB115_5
; %bb.6:                                ;   in Loop: Header=BB115_3 Depth=1
	s_or_b32 exec_lo, exec_lo, s19
.LBB115_7:                              ;   in Loop: Header=BB115_3 Depth=1
	s_delay_alu instid0(SALU_CYCLE_1)
	s_or_b32 exec_lo, exec_lo, s11
	s_and_saveexec_b32 s2, vcc_lo
; %bb.8:                                ;   in Loop: Header=BB115_3 Depth=1
	v_dual_mov_b32 v3, v2 :: v_dual_mov_b32 v4, v2
	v_mov_b32_e32 v5, v2
	ds_store_b128 v1, v[2:5]
; %bb.9:                                ;   in Loop: Header=BB115_3 Depth=1
	s_or_b32 exec_lo, exec_lo, s2
	ds_bpermute_b32 v4, v12, v8
	ds_bpermute_b32 v5, v12, v9
	;; [unrolled: 1-line block ×4, first 2 shown]
	s_wait_dscnt 0x0
	s_barrier_signal -1
	s_barrier_wait -1
	v_add_f64_e32 v[4:5], v[8:9], v[4:5]
	v_add_f64_e32 v[6:7], v[6:7], v[10:11]
	ds_bpermute_b32 v8, v13, v4
	ds_bpermute_b32 v9, v13, v5
	ds_bpermute_b32 v10, v13, v6
	ds_bpermute_b32 v11, v13, v7
	s_wait_dscnt 0x2
	v_add_f64_e32 v[4:5], v[4:5], v[8:9]
	s_wait_dscnt 0x0
	v_add_f64_e32 v[6:7], v[6:7], v[10:11]
	ds_bpermute_b32 v8, v14, v4
	ds_bpermute_b32 v9, v14, v5
	ds_bpermute_b32 v10, v14, v6
	ds_bpermute_b32 v11, v14, v7
	s_wait_dscnt 0x2
	v_add_f64_e32 v[4:5], v[4:5], v[8:9]
	s_wait_dscnt 0x0
	;; [unrolled: 8-line block ×3, first 2 shown]
	v_add_f64_e32 v[8:9], v[6:7], v[10:11]
	ds_bpermute_b32 v6, v16, v4
	ds_bpermute_b32 v7, v16, v5
	;; [unrolled: 1-line block ×4, first 2 shown]
	s_and_saveexec_b32 s2, s0
	s_cbranch_execz .LBB115_11
; %bb.10:                               ;   in Loop: Header=BB115_3 Depth=1
	s_wait_dscnt 0x0
	v_add_f64_e32 v[8:9], v[8:9], v[10:11]
	v_add_f64_e32 v[6:7], v[4:5], v[6:7]
	ds_store_b128 v17, v[6:9]
.LBB115_11:                             ;   in Loop: Header=BB115_3 Depth=1
	s_or_b32 exec_lo, exec_lo, s2
	s_wait_dscnt 0x2
	v_mov_b64_e32 v[6:7], 0
	v_mov_b64_e32 v[4:5], 0
	s_wait_dscnt 0x0
	s_barrier_signal -1
	s_barrier_wait -1
	s_and_saveexec_b32 s2, vcc_lo
	s_cbranch_execnz .LBB115_14
; %bb.12:                               ;   in Loop: Header=BB115_3 Depth=1
	s_or_b32 exec_lo, exec_lo, s2
	s_and_saveexec_b32 s2, vcc_lo
	s_cbranch_execnz .LBB115_15
.LBB115_13:                             ;   in Loop: Header=BB115_3 Depth=1
	s_or_b32 exec_lo, exec_lo, s2
	s_and_saveexec_b32 s2, s1
	s_cbranch_execz .LBB115_2
	s_branch .LBB115_16
.LBB115_14:                             ;   in Loop: Header=BB115_3 Depth=1
	ds_load_b128 v[4:7], v1
	s_or_b32 exec_lo, exec_lo, s2
	s_and_saveexec_b32 s2, vcc_lo
	s_cbranch_execz .LBB115_13
.LBB115_15:                             ;   in Loop: Header=BB115_3 Depth=1
	s_wait_dscnt 0x0
	ds_bpermute_b32 v8, v12, v4
	ds_bpermute_b32 v9, v12, v5
	ds_bpermute_b32 v10, v12, v6
	ds_bpermute_b32 v11, v12, v7
	s_wait_dscnt 0x2
	v_add_f64_e32 v[4:5], v[4:5], v[8:9]
	s_wait_dscnt 0x0
	v_add_f64_e32 v[6:7], v[6:7], v[10:11]
	ds_bpermute_b32 v8, v13, v4
	ds_bpermute_b32 v9, v13, v5
	ds_bpermute_b32 v10, v13, v6
	ds_bpermute_b32 v11, v13, v7
	s_wait_dscnt 0x2
	v_add_f64_e32 v[4:5], v[4:5], v[8:9]
	s_wait_dscnt 0x0
	v_add_f64_e32 v[6:7], v[6:7], v[10:11]
	;; [unrolled: 8-line block ×5, first 2 shown]
	s_or_b32 exec_lo, exec_lo, s2
	s_and_saveexec_b32 s2, s1
	s_cbranch_execz .LBB115_2
.LBB115_16:                             ;   in Loop: Header=BB115_3 Depth=1
	s_lshl_b64 s[20:21], s[12:13], 4
	s_delay_alu instid0(SALU_CYCLE_1)
	s_add_nc_u64 s[20:21], s[8:9], s[20:21]
	s_wait_dscnt 0x0
	global_store_b128 v2, v[4:7], s[20:21]
	s_branch .LBB115_2
.LBB115_17:
	s_endpgm
	.section	.rodata,"a",@progbits
	.p2align	6, 0x0
	.amdhsa_kernel _ZL24rocblas_dot_kernel_magsqIiLb1ELi1024ELi32ELb0E19rocblas_complex_numIdEPKPKS1_S1_EviT5_lT_liPT6_PT4_
		.amdhsa_group_segment_fixed_size 512
		.amdhsa_private_segment_fixed_size 0
		.amdhsa_kernarg_size 320
		.amdhsa_user_sgpr_count 2
		.amdhsa_user_sgpr_dispatch_ptr 0
		.amdhsa_user_sgpr_queue_ptr 0
		.amdhsa_user_sgpr_kernarg_segment_ptr 1
		.amdhsa_user_sgpr_dispatch_id 0
		.amdhsa_user_sgpr_kernarg_preload_length 0
		.amdhsa_user_sgpr_kernarg_preload_offset 0
		.amdhsa_user_sgpr_private_segment_size 0
		.amdhsa_wavefront_size32 1
		.amdhsa_uses_dynamic_stack 0
		.amdhsa_enable_private_segment 0
		.amdhsa_system_sgpr_workgroup_id_x 1
		.amdhsa_system_sgpr_workgroup_id_y 0
		.amdhsa_system_sgpr_workgroup_id_z 1
		.amdhsa_system_sgpr_workgroup_info 0
		.amdhsa_system_vgpr_workitem_id 0
		.amdhsa_next_free_vgpr 22
		.amdhsa_next_free_sgpr 22
		.amdhsa_named_barrier_count 0
		.amdhsa_reserve_vcc 1
		.amdhsa_float_round_mode_32 0
		.amdhsa_float_round_mode_16_64 0
		.amdhsa_float_denorm_mode_32 3
		.amdhsa_float_denorm_mode_16_64 3
		.amdhsa_fp16_overflow 0
		.amdhsa_memory_ordered 1
		.amdhsa_forward_progress 1
		.amdhsa_inst_pref_size 10
		.amdhsa_round_robin_scheduling 0
		.amdhsa_exception_fp_ieee_invalid_op 0
		.amdhsa_exception_fp_denorm_src 0
		.amdhsa_exception_fp_ieee_div_zero 0
		.amdhsa_exception_fp_ieee_overflow 0
		.amdhsa_exception_fp_ieee_underflow 0
		.amdhsa_exception_fp_ieee_inexact 0
		.amdhsa_exception_int_div_zero 0
	.end_amdhsa_kernel
	.section	.text._ZL24rocblas_dot_kernel_magsqIiLb1ELi1024ELi32ELb0E19rocblas_complex_numIdEPKPKS1_S1_EviT5_lT_liPT6_PT4_,"axG",@progbits,_ZL24rocblas_dot_kernel_magsqIiLb1ELi1024ELi32ELb0E19rocblas_complex_numIdEPKPKS1_S1_EviT5_lT_liPT6_PT4_,comdat
.Lfunc_end115:
	.size	_ZL24rocblas_dot_kernel_magsqIiLb1ELi1024ELi32ELb0E19rocblas_complex_numIdEPKPKS1_S1_EviT5_lT_liPT6_PT4_, .Lfunc_end115-_ZL24rocblas_dot_kernel_magsqIiLb1ELi1024ELi32ELb0E19rocblas_complex_numIdEPKPKS1_S1_EviT5_lT_liPT6_PT4_
                                        ; -- End function
	.set _ZL24rocblas_dot_kernel_magsqIiLb1ELi1024ELi32ELb0E19rocblas_complex_numIdEPKPKS1_S1_EviT5_lT_liPT6_PT4_.num_vgpr, 22
	.set _ZL24rocblas_dot_kernel_magsqIiLb1ELi1024ELi32ELb0E19rocblas_complex_numIdEPKPKS1_S1_EviT5_lT_liPT6_PT4_.num_agpr, 0
	.set _ZL24rocblas_dot_kernel_magsqIiLb1ELi1024ELi32ELb0E19rocblas_complex_numIdEPKPKS1_S1_EviT5_lT_liPT6_PT4_.numbered_sgpr, 22
	.set _ZL24rocblas_dot_kernel_magsqIiLb1ELi1024ELi32ELb0E19rocblas_complex_numIdEPKPKS1_S1_EviT5_lT_liPT6_PT4_.num_named_barrier, 0
	.set _ZL24rocblas_dot_kernel_magsqIiLb1ELi1024ELi32ELb0E19rocblas_complex_numIdEPKPKS1_S1_EviT5_lT_liPT6_PT4_.private_seg_size, 0
	.set _ZL24rocblas_dot_kernel_magsqIiLb1ELi1024ELi32ELb0E19rocblas_complex_numIdEPKPKS1_S1_EviT5_lT_liPT6_PT4_.uses_vcc, 1
	.set _ZL24rocblas_dot_kernel_magsqIiLb1ELi1024ELi32ELb0E19rocblas_complex_numIdEPKPKS1_S1_EviT5_lT_liPT6_PT4_.uses_flat_scratch, 0
	.set _ZL24rocblas_dot_kernel_magsqIiLb1ELi1024ELi32ELb0E19rocblas_complex_numIdEPKPKS1_S1_EviT5_lT_liPT6_PT4_.has_dyn_sized_stack, 0
	.set _ZL24rocblas_dot_kernel_magsqIiLb1ELi1024ELi32ELb0E19rocblas_complex_numIdEPKPKS1_S1_EviT5_lT_liPT6_PT4_.has_recursion, 0
	.set _ZL24rocblas_dot_kernel_magsqIiLb1ELi1024ELi32ELb0E19rocblas_complex_numIdEPKPKS1_S1_EviT5_lT_liPT6_PT4_.has_indirect_call, 0
	.section	.AMDGPU.csdata,"",@progbits
; Kernel info:
; codeLenInByte = 1228
; TotalNumSgprs: 24
; NumVgprs: 22
; ScratchSize: 0
; MemoryBound: 0
; FloatMode: 240
; IeeeMode: 1
; LDSByteSize: 512 bytes/workgroup (compile time only)
; SGPRBlocks: 0
; VGPRBlocks: 1
; NumSGPRsForWavesPerEU: 24
; NumVGPRsForWavesPerEU: 22
; NamedBarCnt: 0
; Occupancy: 16
; WaveLimiterHint : 0
; COMPUTE_PGM_RSRC2:SCRATCH_EN: 0
; COMPUTE_PGM_RSRC2:USER_SGPR: 2
; COMPUTE_PGM_RSRC2:TRAP_HANDLER: 0
; COMPUTE_PGM_RSRC2:TGID_X_EN: 1
; COMPUTE_PGM_RSRC2:TGID_Y_EN: 0
; COMPUTE_PGM_RSRC2:TGID_Z_EN: 1
; COMPUTE_PGM_RSRC2:TIDIG_COMP_CNT: 0
	.section	.text._ZL38rocblas_dot_kernel_gfx942_float_doubleIiLi1024E19rocblas_complex_numIdEPKPKS1_S1_EviT2_lT_lS6_lS7_lPT3_PT1_,"axG",@progbits,_ZL38rocblas_dot_kernel_gfx942_float_doubleIiLi1024E19rocblas_complex_numIdEPKPKS1_S1_EviT2_lT_lS6_lS7_lPT3_PT1_,comdat
	.globl	_ZL38rocblas_dot_kernel_gfx942_float_doubleIiLi1024E19rocblas_complex_numIdEPKPKS1_S1_EviT2_lT_lS6_lS7_lPT3_PT1_ ; -- Begin function _ZL38rocblas_dot_kernel_gfx942_float_doubleIiLi1024E19rocblas_complex_numIdEPKPKS1_S1_EviT2_lT_lS6_lS7_lPT3_PT1_
	.p2align	8
	.type	_ZL38rocblas_dot_kernel_gfx942_float_doubleIiLi1024E19rocblas_complex_numIdEPKPKS1_S1_EviT2_lT_lS6_lS7_lPT3_PT1_,@function
_ZL38rocblas_dot_kernel_gfx942_float_doubleIiLi1024E19rocblas_complex_numIdEPKPKS1_S1_EviT2_lT_lS6_lS7_lPT3_PT1_: ; @_ZL38rocblas_dot_kernel_gfx942_float_doubleIiLi1024E19rocblas_complex_numIdEPKPKS1_S1_EviT2_lT_lS6_lS7_lPT3_PT1_
; %bb.0:
	s_endpgm
	.section	.rodata,"a",@progbits
	.p2align	6, 0x0
	.amdhsa_kernel _ZL38rocblas_dot_kernel_gfx942_float_doubleIiLi1024E19rocblas_complex_numIdEPKPKS1_S1_EviT2_lT_lS6_lS7_lPT3_PT1_
		.amdhsa_group_segment_fixed_size 0
		.amdhsa_private_segment_fixed_size 0
		.amdhsa_kernarg_size 88
		.amdhsa_user_sgpr_count 2
		.amdhsa_user_sgpr_dispatch_ptr 0
		.amdhsa_user_sgpr_queue_ptr 0
		.amdhsa_user_sgpr_kernarg_segment_ptr 1
		.amdhsa_user_sgpr_dispatch_id 0
		.amdhsa_user_sgpr_kernarg_preload_length 0
		.amdhsa_user_sgpr_kernarg_preload_offset 0
		.amdhsa_user_sgpr_private_segment_size 0
		.amdhsa_wavefront_size32 1
		.amdhsa_uses_dynamic_stack 0
		.amdhsa_enable_private_segment 0
		.amdhsa_system_sgpr_workgroup_id_x 1
		.amdhsa_system_sgpr_workgroup_id_y 0
		.amdhsa_system_sgpr_workgroup_id_z 0
		.amdhsa_system_sgpr_workgroup_info 0
		.amdhsa_system_vgpr_workitem_id 0
		.amdhsa_next_free_vgpr 1
		.amdhsa_next_free_sgpr 1
		.amdhsa_named_barrier_count 0
		.amdhsa_reserve_vcc 0
		.amdhsa_float_round_mode_32 0
		.amdhsa_float_round_mode_16_64 0
		.amdhsa_float_denorm_mode_32 3
		.amdhsa_float_denorm_mode_16_64 3
		.amdhsa_fp16_overflow 0
		.amdhsa_memory_ordered 1
		.amdhsa_forward_progress 1
		.amdhsa_inst_pref_size 1
		.amdhsa_round_robin_scheduling 0
		.amdhsa_exception_fp_ieee_invalid_op 0
		.amdhsa_exception_fp_denorm_src 0
		.amdhsa_exception_fp_ieee_div_zero 0
		.amdhsa_exception_fp_ieee_overflow 0
		.amdhsa_exception_fp_ieee_underflow 0
		.amdhsa_exception_fp_ieee_inexact 0
		.amdhsa_exception_int_div_zero 0
	.end_amdhsa_kernel
	.section	.text._ZL38rocblas_dot_kernel_gfx942_float_doubleIiLi1024E19rocblas_complex_numIdEPKPKS1_S1_EviT2_lT_lS6_lS7_lPT3_PT1_,"axG",@progbits,_ZL38rocblas_dot_kernel_gfx942_float_doubleIiLi1024E19rocblas_complex_numIdEPKPKS1_S1_EviT2_lT_lS6_lS7_lPT3_PT1_,comdat
.Lfunc_end116:
	.size	_ZL38rocblas_dot_kernel_gfx942_float_doubleIiLi1024E19rocblas_complex_numIdEPKPKS1_S1_EviT2_lT_lS6_lS7_lPT3_PT1_, .Lfunc_end116-_ZL38rocblas_dot_kernel_gfx942_float_doubleIiLi1024E19rocblas_complex_numIdEPKPKS1_S1_EviT2_lT_lS6_lS7_lPT3_PT1_
                                        ; -- End function
	.set _ZL38rocblas_dot_kernel_gfx942_float_doubleIiLi1024E19rocblas_complex_numIdEPKPKS1_S1_EviT2_lT_lS6_lS7_lPT3_PT1_.num_vgpr, 0
	.set _ZL38rocblas_dot_kernel_gfx942_float_doubleIiLi1024E19rocblas_complex_numIdEPKPKS1_S1_EviT2_lT_lS6_lS7_lPT3_PT1_.num_agpr, 0
	.set _ZL38rocblas_dot_kernel_gfx942_float_doubleIiLi1024E19rocblas_complex_numIdEPKPKS1_S1_EviT2_lT_lS6_lS7_lPT3_PT1_.numbered_sgpr, 0
	.set _ZL38rocblas_dot_kernel_gfx942_float_doubleIiLi1024E19rocblas_complex_numIdEPKPKS1_S1_EviT2_lT_lS6_lS7_lPT3_PT1_.num_named_barrier, 0
	.set _ZL38rocblas_dot_kernel_gfx942_float_doubleIiLi1024E19rocblas_complex_numIdEPKPKS1_S1_EviT2_lT_lS6_lS7_lPT3_PT1_.private_seg_size, 0
	.set _ZL38rocblas_dot_kernel_gfx942_float_doubleIiLi1024E19rocblas_complex_numIdEPKPKS1_S1_EviT2_lT_lS6_lS7_lPT3_PT1_.uses_vcc, 0
	.set _ZL38rocblas_dot_kernel_gfx942_float_doubleIiLi1024E19rocblas_complex_numIdEPKPKS1_S1_EviT2_lT_lS6_lS7_lPT3_PT1_.uses_flat_scratch, 0
	.set _ZL38rocblas_dot_kernel_gfx942_float_doubleIiLi1024E19rocblas_complex_numIdEPKPKS1_S1_EviT2_lT_lS6_lS7_lPT3_PT1_.has_dyn_sized_stack, 0
	.set _ZL38rocblas_dot_kernel_gfx942_float_doubleIiLi1024E19rocblas_complex_numIdEPKPKS1_S1_EviT2_lT_lS6_lS7_lPT3_PT1_.has_recursion, 0
	.set _ZL38rocblas_dot_kernel_gfx942_float_doubleIiLi1024E19rocblas_complex_numIdEPKPKS1_S1_EviT2_lT_lS6_lS7_lPT3_PT1_.has_indirect_call, 0
	.section	.AMDGPU.csdata,"",@progbits
; Kernel info:
; codeLenInByte = 4
; TotalNumSgprs: 0
; NumVgprs: 0
; ScratchSize: 0
; MemoryBound: 0
; FloatMode: 240
; IeeeMode: 1
; LDSByteSize: 0 bytes/workgroup (compile time only)
; SGPRBlocks: 0
; VGPRBlocks: 0
; NumSGPRsForWavesPerEU: 1
; NumVGPRsForWavesPerEU: 1
; NamedBarCnt: 0
; Occupancy: 16
; WaveLimiterHint : 0
; COMPUTE_PGM_RSRC2:SCRATCH_EN: 0
; COMPUTE_PGM_RSRC2:USER_SGPR: 2
; COMPUTE_PGM_RSRC2:TRAP_HANDLER: 0
; COMPUTE_PGM_RSRC2:TGID_X_EN: 1
; COMPUTE_PGM_RSRC2:TGID_Y_EN: 0
; COMPUTE_PGM_RSRC2:TGID_Z_EN: 0
; COMPUTE_PGM_RSRC2:TIDIG_COMP_CNT: 0
	.section	.text._ZL23rocblas_dot_kernel_inc1ILb0ELi512ELi2ELb0E19rocblas_complex_numIdEPKPKS1_S1_EviT4_llS6_lliPT5_PT3_,"axG",@progbits,_ZL23rocblas_dot_kernel_inc1ILb0ELi512ELi2ELb0E19rocblas_complex_numIdEPKPKS1_S1_EviT4_llS6_lliPT5_PT3_,comdat
	.globl	_ZL23rocblas_dot_kernel_inc1ILb0ELi512ELi2ELb0E19rocblas_complex_numIdEPKPKS1_S1_EviT4_llS6_lliPT5_PT3_ ; -- Begin function _ZL23rocblas_dot_kernel_inc1ILb0ELi512ELi2ELb0E19rocblas_complex_numIdEPKPKS1_S1_EviT4_llS6_lliPT5_PT3_
	.p2align	8
	.type	_ZL23rocblas_dot_kernel_inc1ILb0ELi512ELi2ELb0E19rocblas_complex_numIdEPKPKS1_S1_EviT4_llS6_lliPT5_PT3_,@function
_ZL23rocblas_dot_kernel_inc1ILb0ELi512ELi2ELb0E19rocblas_complex_numIdEPKPKS1_S1_EviT4_llS6_lliPT5_PT3_: ; @_ZL23rocblas_dot_kernel_inc1ILb0ELi512ELi2ELb0E19rocblas_complex_numIdEPKPKS1_S1_EviT4_llS6_lliPT5_PT3_
; %bb.0:
	s_load_b32 s28, s[0:1], 0x38
	s_bfe_u32 s2, ttmp6, 0x40014
	s_lshr_b32 s3, ttmp7, 16
	s_add_co_i32 s2, s2, 1
	s_bfe_u32 s5, ttmp6, 0x40008
	s_mul_i32 s4, s3, s2
	s_getreg_b32 s2, hwreg(HW_REG_IB_STS2, 6, 4)
	s_add_co_i32 s5, s5, s4
	s_cmp_eq_u32 s2, 0
	s_mov_b32 s17, 0
	s_cselect_b32 s16, s3, s5
	s_wait_kmcnt 0x0
	s_cmp_ge_u32 s16, s28
	s_cbranch_scc1 .LBB117_21
; %bb.1:
	v_mbcnt_lo_u32_b32 v2, -1, 0
	s_clause 0x4
	s_load_b32 s18, s[0:1], 0x50
	s_load_b128 s[4:7], s[0:1], 0x40
	s_load_b128 s[8:11], s[0:1], 0x20
	;; [unrolled: 1-line block ×3, first 2 shown]
	s_load_b32 s29, s[0:1], 0x0
	s_bfe_u32 s3, ttmp6, 0x4000c
	s_wait_xcnt 0x0
	s_and_b32 s1, ttmp6, 15
	s_add_co_i32 s3, s3, 1
	v_cmp_gt_u32_e32 vcc_lo, 24, v2
	s_mul_i32 s3, ttmp9, s3
	v_and_b32_e32 v1, 31, v0
	s_add_co_i32 s1, s1, s3
	s_cmp_eq_u32 s2, 0
	v_cndmask_b32_e64 v3, 0, 8, vcc_lo
	v_cmp_gt_u32_e32 vcc_lo, 28, v2
	s_cselect_b32 s22, ttmp9, s1
	s_mov_b32 s23, s17
	v_cmp_gt_u32_e64 s0, 32, v0
	v_add_lshl_u32 v14, v3, v2, 2
	v_cndmask_b32_e64 v4, 0, 4, vcc_lo
	v_cmp_gt_u32_e32 vcc_lo, 30, v2
	v_lshrrev_b32_e32 v3, 1, v0
	s_wait_kmcnt 0x0
	s_cmp_lg_u32 s18, 1
	v_lshl_or_b32 v13, v2, 2, 64
	s_cselect_b32 s30, -1, 0
	v_cndmask_b32_e64 v5, 0, 2, vcc_lo
	v_cmp_ne_u32_e32 vcc_lo, 31, v2
	s_lshl_b32 s20, s18, 9
	v_lshl_or_b32 v6, s22, 9, v0
	v_add_lshl_u32 v15, v4, v2, 2
	v_add_lshl_u32 v16, v5, v2, 2
	v_add_co_ci_u32_e64 v7, null, 0, v2, vcc_lo
	v_lshlrev_b32_e32 v12, 4, v1
	v_cmp_eq_u32_e64 s1, 0, v1
	v_and_b32_e32 v18, 0xf0, v3
	s_delay_alu instid0(VALU_DEP_4)
	v_lshlrev_b32_e32 v17, 2, v7
	v_cmp_gt_u32_e64 s2, 16, v0
	v_cmp_eq_u32_e64 s3, 0, v0
	v_mov_b32_e32 v0, 0
	s_lshl_b64 s[22:23], s[22:23], 4
	s_ashr_i32 s21, s20, 31
	s_mov_b32 s19, s17
	s_add_nc_u64 s[4:5], s[4:5], s[22:23]
	s_lshl_b64 s[14:15], s[14:15], 4
	s_lshl_b64 s[10:11], s[10:11], 4
	;; [unrolled: 1-line block ×3, first 2 shown]
	s_branch .LBB117_4
.LBB117_2:                              ;   in Loop: Header=BB117_4 Depth=1
	s_wait_dscnt 0x0
	global_store_b64 v0, v[4:5], s[24:25] offset:8
.LBB117_3:                              ;   in Loop: Header=BB117_4 Depth=1
	s_wait_xcnt 0x0
	s_or_b32 exec_lo, exec_lo, s21
	s_add_co_i32 s16, s16, 0x10000
	s_delay_alu instid0(SALU_CYCLE_1)
	s_cmp_lt_u32 s16, s28
	s_cbranch_scc0 .LBB117_21
.LBB117_4:                              ; =>This Inner Loop Header: Depth=1
	s_wait_dscnt 0x0
	v_mov_b64_e32 v[4:5], 0
	v_mov_b64_e32 v[8:9], 0
	s_mov_b32 s21, exec_lo
	v_cmpx_gt_i32_e64 s29, v6
	s_cbranch_execz .LBB117_8
; %bb.5:                                ;   in Loop: Header=BB117_4 Depth=1
	s_lshl_b64 s[24:25], s[16:17], 3
	s_mov_b32 s31, exec_lo
	s_add_nc_u64 s[26:27], s[8:9], s[24:25]
	s_add_nc_u64 s[24:25], s[12:13], s[24:25]
	s_load_b64 s[34:35], s[26:27], 0x0
	s_load_b64 s[36:37], s[24:25], 0x0
	v_add_nc_u32_e32 v1, s20, v6
	s_wait_kmcnt 0x0
	s_wait_xcnt 0x0
	s_add_nc_u64 s[26:27], s[34:35], s[10:11]
	s_add_nc_u64 s[24:25], s[36:37], s[14:15]
	s_clause 0x1
	flat_load_b128 v[2:5], v6, s[26:27] scale_offset
	flat_load_b128 v[8:11], v6, s[24:25] scale_offset
	s_wait_loadcnt_dscnt 0x0
	v_mul_f64_e32 v[20:21], v[4:5], v[10:11]
	v_mul_f64_e32 v[10:11], v[2:3], v[10:11]
	s_delay_alu instid0(VALU_DEP_2) | instskip(NEXT) | instid1(VALU_DEP_2)
	v_fma_f64 v[2:3], v[2:3], v[8:9], -v[20:21]
	v_fmac_f64_e32 v[10:11], v[4:5], v[8:9]
	s_delay_alu instid0(VALU_DEP_2) | instskip(NEXT) | instid1(VALU_DEP_2)
	v_add_f64_e32 v[4:5], 0, v[2:3]
	v_add_f64_e32 v[8:9], 0, v[10:11]
	s_wait_xcnt 0x0
	v_cmpx_gt_i32_e64 s29, v1
	s_cbranch_execz .LBB117_7
; %bb.6:                                ;   in Loop: Header=BB117_4 Depth=1
	v_dual_ashrrev_i32 v7, 31, v6 :: v_dual_add_nc_u32 v1, s20, v1
	s_delay_alu instid0(VALU_DEP_1) | instskip(NEXT) | instid1(VALU_DEP_1)
	v_lshlrev_b64_e32 v[2:3], 4, v[6:7]
	v_add_nc_u64_e32 v[6:7], s[26:27], v[2:3]
	v_add_nc_u64_e32 v[2:3], s[24:25], v[2:3]
	s_delay_alu instid0(VALU_DEP_2) | instskip(NEXT) | instid1(VALU_DEP_2)
	v_add_nc_u64_e32 v[6:7], s[22:23], v[6:7]
	v_add_nc_u64_e32 v[2:3], s[22:23], v[2:3]
	flat_load_b128 v[20:23], v[6:7]
	flat_load_b128 v[24:27], v[2:3]
	s_wait_loadcnt_dscnt 0x0
	s_wait_xcnt 0x0
	v_mul_f64_e32 v[2:3], v[20:21], v[26:27]
	v_mul_f64_e32 v[6:7], v[22:23], v[26:27]
	s_delay_alu instid0(VALU_DEP_2) | instskip(NEXT) | instid1(VALU_DEP_2)
	v_fmac_f64_e32 v[2:3], v[22:23], v[24:25]
	v_fma_f64 v[6:7], v[20:21], v[24:25], -v[6:7]
	s_delay_alu instid0(VALU_DEP_2) | instskip(NEXT) | instid1(VALU_DEP_2)
	v_add_f64_e32 v[8:9], v[8:9], v[2:3]
	v_add_f64_e32 v[4:5], v[4:5], v[6:7]
.LBB117_7:                              ;   in Loop: Header=BB117_4 Depth=1
	s_or_b32 exec_lo, exec_lo, s31
	v_mov_b32_e32 v6, v1
.LBB117_8:                              ;   in Loop: Header=BB117_4 Depth=1
	s_or_b32 exec_lo, exec_lo, s21
	s_and_saveexec_b32 s21, s0
; %bb.9:                                ;   in Loop: Header=BB117_4 Depth=1
	v_dual_mov_b32 v1, v0 :: v_dual_mov_b32 v2, v0
	v_mov_b32_e32 v3, v0
	ds_store_b128 v12, v[0:3]
; %bb.10:                               ;   in Loop: Header=BB117_4 Depth=1
	s_or_b32 exec_lo, exec_lo, s21
	ds_bpermute_b32 v2, v13, v4
	ds_bpermute_b32 v3, v13, v5
	;; [unrolled: 1-line block ×4, first 2 shown]
	s_wait_dscnt 0x0
	s_barrier_signal -1
	s_barrier_wait -1
	v_add_f64_e32 v[2:3], v[4:5], v[2:3]
	v_add_f64_e32 v[4:5], v[8:9], v[10:11]
	ds_bpermute_b32 v8, v14, v2
	ds_bpermute_b32 v9, v14, v3
	ds_bpermute_b32 v10, v14, v4
	ds_bpermute_b32 v11, v14, v5
	s_wait_dscnt 0x2
	v_add_f64_e32 v[2:3], v[2:3], v[8:9]
	s_wait_dscnt 0x0
	v_add_f64_e32 v[4:5], v[4:5], v[10:11]
	ds_bpermute_b32 v8, v15, v2
	ds_bpermute_b32 v9, v15, v3
	ds_bpermute_b32 v10, v15, v4
	ds_bpermute_b32 v11, v15, v5
	s_wait_dscnt 0x2
	v_add_f64_e32 v[2:3], v[2:3], v[8:9]
	s_wait_dscnt 0x0
	;; [unrolled: 8-line block ×3, first 2 shown]
	v_add_f64_e32 v[8:9], v[4:5], v[10:11]
	ds_bpermute_b32 v4, v17, v2
	ds_bpermute_b32 v5, v17, v3
	;; [unrolled: 1-line block ×4, first 2 shown]
	s_and_saveexec_b32 s21, s1
	s_cbranch_execz .LBB117_12
; %bb.11:                               ;   in Loop: Header=BB117_4 Depth=1
	s_wait_dscnt 0x0
	v_add_f64_e32 v[10:11], v[8:9], v[10:11]
	v_add_f64_e32 v[8:9], v[2:3], v[4:5]
	ds_store_b128 v18, v[8:11]
.LBB117_12:                             ;   in Loop: Header=BB117_4 Depth=1
	s_or_b32 exec_lo, exec_lo, s21
	s_wait_dscnt 0x2
	v_mov_b64_e32 v[4:5], 0
	v_mov_b64_e32 v[2:3], 0
	s_wait_dscnt 0x0
	s_barrier_signal -1
	s_barrier_wait -1
	s_and_saveexec_b32 s21, s2
	s_cbranch_execnz .LBB117_15
; %bb.13:                               ;   in Loop: Header=BB117_4 Depth=1
	s_or_b32 exec_lo, exec_lo, s21
	s_and_saveexec_b32 s21, s0
	s_cbranch_execnz .LBB117_16
.LBB117_14:                             ;   in Loop: Header=BB117_4 Depth=1
	s_or_b32 exec_lo, exec_lo, s21
	s_and_saveexec_b32 s21, s3
	s_cbranch_execz .LBB117_3
	s_branch .LBB117_17
.LBB117_15:                             ;   in Loop: Header=BB117_4 Depth=1
	ds_load_b128 v[2:5], v12
	s_or_b32 exec_lo, exec_lo, s21
	s_and_saveexec_b32 s21, s0
	s_cbranch_execz .LBB117_14
.LBB117_16:                             ;   in Loop: Header=BB117_4 Depth=1
	s_wait_dscnt 0x0
	ds_bpermute_b32 v8, v14, v2
	ds_bpermute_b32 v9, v14, v3
	ds_bpermute_b32 v10, v14, v4
	ds_bpermute_b32 v11, v14, v5
	s_wait_dscnt 0x2
	v_add_f64_e32 v[2:3], v[2:3], v[8:9]
	s_wait_dscnt 0x0
	v_add_f64_e32 v[4:5], v[4:5], v[10:11]
	ds_bpermute_b32 v8, v15, v2
	ds_bpermute_b32 v9, v15, v3
	ds_bpermute_b32 v10, v15, v4
	ds_bpermute_b32 v11, v15, v5
	s_wait_dscnt 0x2
	v_add_f64_e32 v[2:3], v[2:3], v[8:9]
	s_wait_dscnt 0x0
	v_add_f64_e32 v[4:5], v[4:5], v[10:11]
	;; [unrolled: 8-line block ×4, first 2 shown]
	s_or_b32 exec_lo, exec_lo, s21
	s_and_saveexec_b32 s21, s3
	s_cbranch_execz .LBB117_3
.LBB117_17:                             ;   in Loop: Header=BB117_4 Depth=1
	s_and_b32 vcc_lo, exec_lo, s30
	s_mov_b32 s26, -1
                                        ; implicit-def: $sgpr24_sgpr25
	s_cbranch_vccz .LBB117_19
; %bb.18:                               ;   in Loop: Header=BB117_4 Depth=1
	s_mul_u64 s[24:25], s[18:19], s[16:17]
	s_mov_b32 s26, 0
	s_lshl_b64 s[24:25], s[24:25], 4
	s_delay_alu instid0(SALU_CYCLE_1)
	s_add_nc_u64 s[24:25], s[4:5], s[24:25]
	s_wait_dscnt 0x0
	global_store_b64 v0, v[2:3], s[24:25]
.LBB117_19:                             ;   in Loop: Header=BB117_4 Depth=1
	s_and_not1_b32 vcc_lo, exec_lo, s26
	s_cbranch_vccnz .LBB117_2
; %bb.20:                               ;   in Loop: Header=BB117_4 Depth=1
	s_wait_xcnt 0x0
	s_lshl_b64 s[24:25], s[16:17], 4
	s_delay_alu instid0(SALU_CYCLE_1)
	s_add_nc_u64 s[24:25], s[6:7], s[24:25]
	s_wait_dscnt 0x0
	global_store_b64 v0, v[2:3], s[24:25]
	s_branch .LBB117_2
.LBB117_21:
	s_endpgm
	.section	.rodata,"a",@progbits
	.p2align	6, 0x0
	.amdhsa_kernel _ZL23rocblas_dot_kernel_inc1ILb0ELi512ELi2ELb0E19rocblas_complex_numIdEPKPKS1_S1_EviT4_llS6_lliPT5_PT3_
		.amdhsa_group_segment_fixed_size 512
		.amdhsa_private_segment_fixed_size 0
		.amdhsa_kernarg_size 336
		.amdhsa_user_sgpr_count 2
		.amdhsa_user_sgpr_dispatch_ptr 0
		.amdhsa_user_sgpr_queue_ptr 0
		.amdhsa_user_sgpr_kernarg_segment_ptr 1
		.amdhsa_user_sgpr_dispatch_id 0
		.amdhsa_user_sgpr_kernarg_preload_length 0
		.amdhsa_user_sgpr_kernarg_preload_offset 0
		.amdhsa_user_sgpr_private_segment_size 0
		.amdhsa_wavefront_size32 1
		.amdhsa_uses_dynamic_stack 0
		.amdhsa_enable_private_segment 0
		.amdhsa_system_sgpr_workgroup_id_x 1
		.amdhsa_system_sgpr_workgroup_id_y 0
		.amdhsa_system_sgpr_workgroup_id_z 1
		.amdhsa_system_sgpr_workgroup_info 0
		.amdhsa_system_vgpr_workitem_id 0
		.amdhsa_next_free_vgpr 28
		.amdhsa_next_free_sgpr 38
		.amdhsa_named_barrier_count 0
		.amdhsa_reserve_vcc 1
		.amdhsa_float_round_mode_32 0
		.amdhsa_float_round_mode_16_64 0
		.amdhsa_float_denorm_mode_32 3
		.amdhsa_float_denorm_mode_16_64 3
		.amdhsa_fp16_overflow 0
		.amdhsa_memory_ordered 1
		.amdhsa_forward_progress 1
		.amdhsa_inst_pref_size 11
		.amdhsa_round_robin_scheduling 0
		.amdhsa_exception_fp_ieee_invalid_op 0
		.amdhsa_exception_fp_denorm_src 0
		.amdhsa_exception_fp_ieee_div_zero 0
		.amdhsa_exception_fp_ieee_overflow 0
		.amdhsa_exception_fp_ieee_underflow 0
		.amdhsa_exception_fp_ieee_inexact 0
		.amdhsa_exception_int_div_zero 0
	.end_amdhsa_kernel
	.section	.text._ZL23rocblas_dot_kernel_inc1ILb0ELi512ELi2ELb0E19rocblas_complex_numIdEPKPKS1_S1_EviT4_llS6_lliPT5_PT3_,"axG",@progbits,_ZL23rocblas_dot_kernel_inc1ILb0ELi512ELi2ELb0E19rocblas_complex_numIdEPKPKS1_S1_EviT4_llS6_lliPT5_PT3_,comdat
.Lfunc_end117:
	.size	_ZL23rocblas_dot_kernel_inc1ILb0ELi512ELi2ELb0E19rocblas_complex_numIdEPKPKS1_S1_EviT4_llS6_lliPT5_PT3_, .Lfunc_end117-_ZL23rocblas_dot_kernel_inc1ILb0ELi512ELi2ELb0E19rocblas_complex_numIdEPKPKS1_S1_EviT4_llS6_lliPT5_PT3_
                                        ; -- End function
	.set _ZL23rocblas_dot_kernel_inc1ILb0ELi512ELi2ELb0E19rocblas_complex_numIdEPKPKS1_S1_EviT4_llS6_lliPT5_PT3_.num_vgpr, 28
	.set _ZL23rocblas_dot_kernel_inc1ILb0ELi512ELi2ELb0E19rocblas_complex_numIdEPKPKS1_S1_EviT4_llS6_lliPT5_PT3_.num_agpr, 0
	.set _ZL23rocblas_dot_kernel_inc1ILb0ELi512ELi2ELb0E19rocblas_complex_numIdEPKPKS1_S1_EviT4_llS6_lliPT5_PT3_.numbered_sgpr, 38
	.set _ZL23rocblas_dot_kernel_inc1ILb0ELi512ELi2ELb0E19rocblas_complex_numIdEPKPKS1_S1_EviT4_llS6_lliPT5_PT3_.num_named_barrier, 0
	.set _ZL23rocblas_dot_kernel_inc1ILb0ELi512ELi2ELb0E19rocblas_complex_numIdEPKPKS1_S1_EviT4_llS6_lliPT5_PT3_.private_seg_size, 0
	.set _ZL23rocblas_dot_kernel_inc1ILb0ELi512ELi2ELb0E19rocblas_complex_numIdEPKPKS1_S1_EviT4_llS6_lliPT5_PT3_.uses_vcc, 1
	.set _ZL23rocblas_dot_kernel_inc1ILb0ELi512ELi2ELb0E19rocblas_complex_numIdEPKPKS1_S1_EviT4_llS6_lliPT5_PT3_.uses_flat_scratch, 1
	.set _ZL23rocblas_dot_kernel_inc1ILb0ELi512ELi2ELb0E19rocblas_complex_numIdEPKPKS1_S1_EviT4_llS6_lliPT5_PT3_.has_dyn_sized_stack, 0
	.set _ZL23rocblas_dot_kernel_inc1ILb0ELi512ELi2ELb0E19rocblas_complex_numIdEPKPKS1_S1_EviT4_llS6_lliPT5_PT3_.has_recursion, 0
	.set _ZL23rocblas_dot_kernel_inc1ILb0ELi512ELi2ELb0E19rocblas_complex_numIdEPKPKS1_S1_EviT4_llS6_lliPT5_PT3_.has_indirect_call, 0
	.section	.AMDGPU.csdata,"",@progbits
; Kernel info:
; codeLenInByte = 1360
; TotalNumSgprs: 40
; NumVgprs: 28
; ScratchSize: 0
; MemoryBound: 0
; FloatMode: 240
; IeeeMode: 1
; LDSByteSize: 512 bytes/workgroup (compile time only)
; SGPRBlocks: 0
; VGPRBlocks: 1
; NumSGPRsForWavesPerEU: 40
; NumVGPRsForWavesPerEU: 28
; NamedBarCnt: 0
; Occupancy: 16
; WaveLimiterHint : 1
; COMPUTE_PGM_RSRC2:SCRATCH_EN: 0
; COMPUTE_PGM_RSRC2:USER_SGPR: 2
; COMPUTE_PGM_RSRC2:TRAP_HANDLER: 0
; COMPUTE_PGM_RSRC2:TGID_X_EN: 1
; COMPUTE_PGM_RSRC2:TGID_Y_EN: 0
; COMPUTE_PGM_RSRC2:TGID_Z_EN: 1
; COMPUTE_PGM_RSRC2:TIDIG_COMP_CNT: 0
	.section	.text._ZL18rocblas_dot_kernelIiLb0ELi512ELi2ELb0E19rocblas_complex_numIdEPKPKS1_S1_EviT5_lT_lS6_lS7_liPT6_PT4_,"axG",@progbits,_ZL18rocblas_dot_kernelIiLb0ELi512ELi2ELb0E19rocblas_complex_numIdEPKPKS1_S1_EviT5_lT_lS6_lS7_liPT6_PT4_,comdat
	.globl	_ZL18rocblas_dot_kernelIiLb0ELi512ELi2ELb0E19rocblas_complex_numIdEPKPKS1_S1_EviT5_lT_lS6_lS7_liPT6_PT4_ ; -- Begin function _ZL18rocblas_dot_kernelIiLb0ELi512ELi2ELb0E19rocblas_complex_numIdEPKPKS1_S1_EviT5_lT_lS6_lS7_liPT6_PT4_
	.p2align	8
	.type	_ZL18rocblas_dot_kernelIiLb0ELi512ELi2ELb0E19rocblas_complex_numIdEPKPKS1_S1_EviT5_lT_lS6_lS7_liPT6_PT4_,@function
_ZL18rocblas_dot_kernelIiLb0ELi512ELi2ELb0E19rocblas_complex_numIdEPKPKS1_S1_EviT5_lT_lS6_lS7_liPT6_PT4_: ; @_ZL18rocblas_dot_kernelIiLb0ELi512ELi2ELb0E19rocblas_complex_numIdEPKPKS1_S1_EviT5_lT_lS6_lS7_liPT6_PT4_
; %bb.0:
	s_load_b32 s28, s[0:1], 0x48
	s_bfe_u32 s2, ttmp6, 0x40014
	s_lshr_b32 s3, ttmp7, 16
	s_add_co_i32 s2, s2, 1
	s_bfe_u32 s5, ttmp6, 0x40008
	s_mul_i32 s4, s3, s2
	s_getreg_b32 s2, hwreg(HW_REG_IB_STS2, 6, 4)
	s_add_co_i32 s5, s5, s4
	s_cmp_eq_u32 s2, 0
	s_mov_b32 s17, 0
	s_cselect_b32 s16, s3, s5
	s_wait_kmcnt 0x0
	s_cmp_ge_u32 s16, s28
	s_cbranch_scc1 .LBB118_21
; %bb.1:
	v_mbcnt_lo_u32_b32 v2, -1, 0
	s_clause 0x6
	s_load_b32 s18, s[0:1], 0x18
	s_load_b32 s20, s[0:1], 0x38
	;; [unrolled: 1-line block ×3, first 2 shown]
	s_load_b128 s[4:7], s[0:1], 0x50
	s_load_b128 s[8:11], s[0:1], 0x28
	;; [unrolled: 1-line block ×3, first 2 shown]
	s_load_b32 s29, s[0:1], 0x0
	s_bfe_u32 s3, ttmp6, 0x4000c
	s_wait_xcnt 0x0
	s_and_b32 s1, ttmp6, 15
	s_add_co_i32 s3, s3, 1
	v_cmp_gt_u32_e32 vcc_lo, 24, v2
	s_mul_i32 s3, ttmp9, s3
	v_and_b32_e32 v1, 31, v0
	s_add_co_i32 s1, s1, s3
	s_mov_b32 s25, s17
	v_cndmask_b32_e64 v3, 0, 8, vcc_lo
	v_cmp_gt_u32_e32 vcc_lo, 28, v2
	v_cmp_gt_u32_e64 s0, 32, v0
	v_lshl_or_b32 v13, v2, 2, 64
	v_cmp_eq_u32_e64 s3, 0, v0
	s_wait_kmcnt 0x0
	s_ashr_i32 s19, s18, 31
	v_cndmask_b32_e64 v4, 0, 4, vcc_lo
	v_cmp_gt_u32_e32 vcc_lo, 30, v2
	s_ashr_i32 s21, s20, 31
	v_add_lshl_u32 v14, v3, v2, 2
	v_lshrrev_b32_e32 v3, 1, v0
	s_cmp_eq_u32 s2, 0
	v_cndmask_b32_e64 v5, 0, 2, vcc_lo
	v_cmp_ne_u32_e32 vcc_lo, 31, v2
	s_cselect_b32 s24, ttmp9, s1
	s_cmp_lg_u32 s22, 1
	v_lshl_or_b32 v6, s24, 9, v0
	v_add_lshl_u32 v15, v4, v2, 2
	v_add_co_ci_u32_e64 v7, null, 0, v2, vcc_lo
	v_lshlrev_b32_e32 v12, 4, v1
	v_add_lshl_u32 v16, v5, v2, 2
	v_cmp_eq_u32_e64 s1, 0, v1
	s_delay_alu instid0(VALU_DEP_4)
	v_lshlrev_b32_e32 v17, 2, v7
	v_and_b32_e32 v18, 0xf0, v3
	v_cmp_gt_u32_e64 s2, 16, v0
	v_mov_b32_e32 v0, 0
	s_cselect_b32 s30, -1, 0
	s_lshl_b64 s[24:25], s[24:25], 4
	s_mov_b32 s23, s17
	s_lshl_b32 s31, s22, 9
	s_add_nc_u64 s[4:5], s[4:5], s[24:25]
	s_lshl_b64 s[14:15], s[14:15], 4
	s_lshl_b64 s[10:11], s[10:11], 4
	s_branch .LBB118_4
.LBB118_2:                              ;   in Loop: Header=BB118_4 Depth=1
	s_wait_dscnt 0x0
	global_store_b64 v0, v[4:5], s[24:25] offset:8
.LBB118_3:                              ;   in Loop: Header=BB118_4 Depth=1
	s_wait_xcnt 0x0
	s_or_b32 exec_lo, exec_lo, s26
	s_add_co_i32 s16, s16, 0x10000
	s_delay_alu instid0(SALU_CYCLE_1)
	s_cmp_lt_u32 s16, s28
	s_cbranch_scc0 .LBB118_21
.LBB118_4:                              ; =>This Inner Loop Header: Depth=1
	s_wait_dscnt 0x0
	v_mov_b64_e32 v[4:5], 0
	v_mov_b64_e32 v[8:9], 0
	s_mov_b32 s33, exec_lo
	v_cmpx_gt_i32_e64 s29, v6
	s_cbranch_execz .LBB118_8
; %bb.5:                                ;   in Loop: Header=BB118_4 Depth=1
	v_ashrrev_i32_e32 v7, 31, v6
	s_lshl_b64 s[24:25], s[16:17], 3
	s_delay_alu instid0(SALU_CYCLE_1) | instskip(SKIP_1) | instid1(VALU_DEP_1)
	s_add_nc_u64 s[26:27], s[8:9], s[24:25]
	s_add_nc_u64 s[24:25], s[12:13], s[24:25]
	v_mul_u64_e32 v[2:3], s[20:21], v[6:7]
	v_mul_u64_e32 v[4:5], s[18:19], v[6:7]
	s_load_b64 s[34:35], s[26:27], 0x0
	s_load_b64 s[36:37], s[24:25], 0x0
	v_add_nc_u32_e32 v6, s31, v6
	s_wait_kmcnt 0x0
	s_wait_xcnt 0x0
	s_add_nc_u64 s[26:27], s[34:35], s[10:11]
	s_add_nc_u64 s[24:25], s[36:37], s[14:15]
	s_mov_b32 s34, exec_lo
	s_delay_alu instid0(VALU_DEP_3) | instskip(NEXT) | instid1(VALU_DEP_3)
	v_lshl_add_u64 v[20:21], v[2:3], 4, s[26:27]
	v_lshl_add_u64 v[22:23], v[4:5], 4, s[24:25]
	flat_load_b128 v[2:5], v[20:21]
	flat_load_b128 v[8:11], v[22:23]
	s_wait_loadcnt_dscnt 0x0
	s_wait_xcnt 0x1
	v_mul_f64_e32 v[20:21], v[4:5], v[10:11]
	v_mul_f64_e32 v[10:11], v[2:3], v[10:11]
	s_delay_alu instid0(VALU_DEP_2) | instskip(NEXT) | instid1(VALU_DEP_2)
	v_fma_f64 v[2:3], v[2:3], v[8:9], -v[20:21]
	v_fmac_f64_e32 v[10:11], v[4:5], v[8:9]
	s_delay_alu instid0(VALU_DEP_2) | instskip(NEXT) | instid1(VALU_DEP_2)
	v_add_f64_e32 v[4:5], 0, v[2:3]
	v_add_f64_e32 v[8:9], 0, v[10:11]
	s_wait_xcnt 0x0
	v_cmpx_gt_i32_e64 s29, v6
	s_cbranch_execz .LBB118_7
; %bb.6:                                ;   in Loop: Header=BB118_4 Depth=1
	v_ashrrev_i32_e32 v7, 31, v6
	s_delay_alu instid0(VALU_DEP_1) | instskip(SKIP_2) | instid1(VALU_DEP_3)
	v_mul_u64_e32 v[2:3], s[20:21], v[6:7]
	v_mul_u64_e32 v[10:11], s[18:19], v[6:7]
	v_add_nc_u32_e32 v6, s31, v6
	v_lshl_add_u64 v[2:3], v[2:3], 4, s[26:27]
	s_delay_alu instid0(VALU_DEP_3)
	v_lshl_add_u64 v[10:11], v[10:11], 4, s[24:25]
	flat_load_b128 v[20:23], v[2:3]
	flat_load_b128 v[24:27], v[10:11]
	s_wait_loadcnt_dscnt 0x0
	s_wait_xcnt 0x1
	v_mul_f64_e32 v[2:3], v[20:21], v[26:27]
	s_wait_xcnt 0x0
	v_mul_f64_e32 v[10:11], v[22:23], v[26:27]
	s_delay_alu instid0(VALU_DEP_2) | instskip(NEXT) | instid1(VALU_DEP_2)
	v_fmac_f64_e32 v[2:3], v[22:23], v[24:25]
	v_fma_f64 v[10:11], v[20:21], v[24:25], -v[10:11]
	s_delay_alu instid0(VALU_DEP_2) | instskip(NEXT) | instid1(VALU_DEP_2)
	v_add_f64_e32 v[8:9], v[8:9], v[2:3]
	v_add_f64_e32 v[4:5], v[4:5], v[10:11]
.LBB118_7:                              ;   in Loop: Header=BB118_4 Depth=1
	s_or_b32 exec_lo, exec_lo, s34
.LBB118_8:                              ;   in Loop: Header=BB118_4 Depth=1
	s_delay_alu instid0(SALU_CYCLE_1)
	s_or_b32 exec_lo, exec_lo, s33
	s_and_saveexec_b32 s24, s0
; %bb.9:                                ;   in Loop: Header=BB118_4 Depth=1
	v_dual_mov_b32 v1, v0 :: v_dual_mov_b32 v2, v0
	v_mov_b32_e32 v3, v0
	ds_store_b128 v12, v[0:3]
; %bb.10:                               ;   in Loop: Header=BB118_4 Depth=1
	s_or_b32 exec_lo, exec_lo, s24
	ds_bpermute_b32 v2, v13, v4
	ds_bpermute_b32 v3, v13, v5
	;; [unrolled: 1-line block ×4, first 2 shown]
	s_wait_dscnt 0x0
	s_barrier_signal -1
	s_barrier_wait -1
	v_add_f64_e32 v[2:3], v[4:5], v[2:3]
	v_add_f64_e32 v[4:5], v[8:9], v[10:11]
	ds_bpermute_b32 v8, v14, v2
	ds_bpermute_b32 v9, v14, v3
	ds_bpermute_b32 v10, v14, v4
	ds_bpermute_b32 v11, v14, v5
	s_wait_dscnt 0x2
	v_add_f64_e32 v[2:3], v[2:3], v[8:9]
	s_wait_dscnt 0x0
	v_add_f64_e32 v[4:5], v[4:5], v[10:11]
	ds_bpermute_b32 v8, v15, v2
	ds_bpermute_b32 v9, v15, v3
	ds_bpermute_b32 v10, v15, v4
	ds_bpermute_b32 v11, v15, v5
	s_wait_dscnt 0x2
	v_add_f64_e32 v[2:3], v[2:3], v[8:9]
	s_wait_dscnt 0x0
	;; [unrolled: 8-line block ×3, first 2 shown]
	v_add_f64_e32 v[8:9], v[4:5], v[10:11]
	ds_bpermute_b32 v4, v17, v2
	ds_bpermute_b32 v5, v17, v3
	;; [unrolled: 1-line block ×4, first 2 shown]
	s_and_saveexec_b32 s24, s1
	s_cbranch_execz .LBB118_12
; %bb.11:                               ;   in Loop: Header=BB118_4 Depth=1
	s_wait_dscnt 0x0
	v_add_f64_e32 v[10:11], v[8:9], v[10:11]
	v_add_f64_e32 v[8:9], v[2:3], v[4:5]
	ds_store_b128 v18, v[8:11]
.LBB118_12:                             ;   in Loop: Header=BB118_4 Depth=1
	s_or_b32 exec_lo, exec_lo, s24
	s_wait_dscnt 0x2
	v_mov_b64_e32 v[4:5], 0
	v_mov_b64_e32 v[2:3], 0
	s_wait_dscnt 0x0
	s_barrier_signal -1
	s_barrier_wait -1
	s_and_saveexec_b32 s24, s2
	s_cbranch_execnz .LBB118_15
; %bb.13:                               ;   in Loop: Header=BB118_4 Depth=1
	s_or_b32 exec_lo, exec_lo, s24
	s_and_saveexec_b32 s24, s0
	s_cbranch_execnz .LBB118_16
.LBB118_14:                             ;   in Loop: Header=BB118_4 Depth=1
	s_or_b32 exec_lo, exec_lo, s24
	s_and_saveexec_b32 s26, s3
	s_cbranch_execz .LBB118_3
	s_branch .LBB118_17
.LBB118_15:                             ;   in Loop: Header=BB118_4 Depth=1
	ds_load_b128 v[2:5], v12
	s_or_b32 exec_lo, exec_lo, s24
	s_and_saveexec_b32 s24, s0
	s_cbranch_execz .LBB118_14
.LBB118_16:                             ;   in Loop: Header=BB118_4 Depth=1
	s_wait_dscnt 0x0
	ds_bpermute_b32 v8, v14, v2
	ds_bpermute_b32 v9, v14, v3
	ds_bpermute_b32 v10, v14, v4
	ds_bpermute_b32 v11, v14, v5
	s_wait_dscnt 0x2
	v_add_f64_e32 v[2:3], v[2:3], v[8:9]
	s_wait_dscnt 0x0
	v_add_f64_e32 v[4:5], v[4:5], v[10:11]
	ds_bpermute_b32 v8, v15, v2
	ds_bpermute_b32 v9, v15, v3
	ds_bpermute_b32 v10, v15, v4
	ds_bpermute_b32 v11, v15, v5
	s_wait_dscnt 0x2
	v_add_f64_e32 v[2:3], v[2:3], v[8:9]
	s_wait_dscnt 0x0
	v_add_f64_e32 v[4:5], v[4:5], v[10:11]
	;; [unrolled: 8-line block ×4, first 2 shown]
	s_or_b32 exec_lo, exec_lo, s24
	s_and_saveexec_b32 s26, s3
	s_cbranch_execz .LBB118_3
.LBB118_17:                             ;   in Loop: Header=BB118_4 Depth=1
	s_and_b32 vcc_lo, exec_lo, s30
	s_mov_b32 s27, -1
                                        ; implicit-def: $sgpr24_sgpr25
	s_cbranch_vccz .LBB118_19
; %bb.18:                               ;   in Loop: Header=BB118_4 Depth=1
	s_mul_u64 s[24:25], s[22:23], s[16:17]
	s_mov_b32 s27, 0
	s_lshl_b64 s[24:25], s[24:25], 4
	s_delay_alu instid0(SALU_CYCLE_1)
	s_add_nc_u64 s[24:25], s[4:5], s[24:25]
	s_wait_dscnt 0x0
	global_store_b64 v0, v[2:3], s[24:25]
.LBB118_19:                             ;   in Loop: Header=BB118_4 Depth=1
	s_and_not1_b32 vcc_lo, exec_lo, s27
	s_cbranch_vccnz .LBB118_2
; %bb.20:                               ;   in Loop: Header=BB118_4 Depth=1
	s_wait_xcnt 0x0
	s_lshl_b64 s[24:25], s[16:17], 4
	s_delay_alu instid0(SALU_CYCLE_1)
	s_add_nc_u64 s[24:25], s[6:7], s[24:25]
	s_wait_dscnt 0x0
	global_store_b64 v0, v[2:3], s[24:25]
	s_branch .LBB118_2
.LBB118_21:
	s_endpgm
	.section	.rodata,"a",@progbits
	.p2align	6, 0x0
	.amdhsa_kernel _ZL18rocblas_dot_kernelIiLb0ELi512ELi2ELb0E19rocblas_complex_numIdEPKPKS1_S1_EviT5_lT_lS6_lS7_liPT6_PT4_
		.amdhsa_group_segment_fixed_size 512
		.amdhsa_private_segment_fixed_size 0
		.amdhsa_kernarg_size 352
		.amdhsa_user_sgpr_count 2
		.amdhsa_user_sgpr_dispatch_ptr 0
		.amdhsa_user_sgpr_queue_ptr 0
		.amdhsa_user_sgpr_kernarg_segment_ptr 1
		.amdhsa_user_sgpr_dispatch_id 0
		.amdhsa_user_sgpr_kernarg_preload_length 0
		.amdhsa_user_sgpr_kernarg_preload_offset 0
		.amdhsa_user_sgpr_private_segment_size 0
		.amdhsa_wavefront_size32 1
		.amdhsa_uses_dynamic_stack 0
		.amdhsa_enable_private_segment 0
		.amdhsa_system_sgpr_workgroup_id_x 1
		.amdhsa_system_sgpr_workgroup_id_y 0
		.amdhsa_system_sgpr_workgroup_id_z 1
		.amdhsa_system_sgpr_workgroup_info 0
		.amdhsa_system_vgpr_workitem_id 0
		.amdhsa_next_free_vgpr 28
		.amdhsa_next_free_sgpr 38
		.amdhsa_named_barrier_count 0
		.amdhsa_reserve_vcc 1
		.amdhsa_float_round_mode_32 0
		.amdhsa_float_round_mode_16_64 0
		.amdhsa_float_denorm_mode_32 3
		.amdhsa_float_denorm_mode_16_64 3
		.amdhsa_fp16_overflow 0
		.amdhsa_memory_ordered 1
		.amdhsa_forward_progress 1
		.amdhsa_inst_pref_size 12
		.amdhsa_round_robin_scheduling 0
		.amdhsa_exception_fp_ieee_invalid_op 0
		.amdhsa_exception_fp_denorm_src 0
		.amdhsa_exception_fp_ieee_div_zero 0
		.amdhsa_exception_fp_ieee_overflow 0
		.amdhsa_exception_fp_ieee_underflow 0
		.amdhsa_exception_fp_ieee_inexact 0
		.amdhsa_exception_int_div_zero 0
	.end_amdhsa_kernel
	.section	.text._ZL18rocblas_dot_kernelIiLb0ELi512ELi2ELb0E19rocblas_complex_numIdEPKPKS1_S1_EviT5_lT_lS6_lS7_liPT6_PT4_,"axG",@progbits,_ZL18rocblas_dot_kernelIiLb0ELi512ELi2ELb0E19rocblas_complex_numIdEPKPKS1_S1_EviT5_lT_lS6_lS7_liPT6_PT4_,comdat
.Lfunc_end118:
	.size	_ZL18rocblas_dot_kernelIiLb0ELi512ELi2ELb0E19rocblas_complex_numIdEPKPKS1_S1_EviT5_lT_lS6_lS7_liPT6_PT4_, .Lfunc_end118-_ZL18rocblas_dot_kernelIiLb0ELi512ELi2ELb0E19rocblas_complex_numIdEPKPKS1_S1_EviT5_lT_lS6_lS7_liPT6_PT4_
                                        ; -- End function
	.set _ZL18rocblas_dot_kernelIiLb0ELi512ELi2ELb0E19rocblas_complex_numIdEPKPKS1_S1_EviT5_lT_lS6_lS7_liPT6_PT4_.num_vgpr, 28
	.set _ZL18rocblas_dot_kernelIiLb0ELi512ELi2ELb0E19rocblas_complex_numIdEPKPKS1_S1_EviT5_lT_lS6_lS7_liPT6_PT4_.num_agpr, 0
	.set _ZL18rocblas_dot_kernelIiLb0ELi512ELi2ELb0E19rocblas_complex_numIdEPKPKS1_S1_EviT5_lT_lS6_lS7_liPT6_PT4_.numbered_sgpr, 38
	.set _ZL18rocblas_dot_kernelIiLb0ELi512ELi2ELb0E19rocblas_complex_numIdEPKPKS1_S1_EviT5_lT_lS6_lS7_liPT6_PT4_.num_named_barrier, 0
	.set _ZL18rocblas_dot_kernelIiLb0ELi512ELi2ELb0E19rocblas_complex_numIdEPKPKS1_S1_EviT5_lT_lS6_lS7_liPT6_PT4_.private_seg_size, 0
	.set _ZL18rocblas_dot_kernelIiLb0ELi512ELi2ELb0E19rocblas_complex_numIdEPKPKS1_S1_EviT5_lT_lS6_lS7_liPT6_PT4_.uses_vcc, 1
	.set _ZL18rocblas_dot_kernelIiLb0ELi512ELi2ELb0E19rocblas_complex_numIdEPKPKS1_S1_EviT5_lT_lS6_lS7_liPT6_PT4_.uses_flat_scratch, 0
	.set _ZL18rocblas_dot_kernelIiLb0ELi512ELi2ELb0E19rocblas_complex_numIdEPKPKS1_S1_EviT5_lT_lS6_lS7_liPT6_PT4_.has_dyn_sized_stack, 0
	.set _ZL18rocblas_dot_kernelIiLb0ELi512ELi2ELb0E19rocblas_complex_numIdEPKPKS1_S1_EviT5_lT_lS6_lS7_liPT6_PT4_.has_recursion, 0
	.set _ZL18rocblas_dot_kernelIiLb0ELi512ELi2ELb0E19rocblas_complex_numIdEPKPKS1_S1_EviT5_lT_lS6_lS7_liPT6_PT4_.has_indirect_call, 0
	.section	.AMDGPU.csdata,"",@progbits
; Kernel info:
; codeLenInByte = 1416
; TotalNumSgprs: 40
; NumVgprs: 28
; ScratchSize: 0
; MemoryBound: 0
; FloatMode: 240
; IeeeMode: 1
; LDSByteSize: 512 bytes/workgroup (compile time only)
; SGPRBlocks: 0
; VGPRBlocks: 1
; NumSGPRsForWavesPerEU: 40
; NumVGPRsForWavesPerEU: 28
; NamedBarCnt: 0
; Occupancy: 16
; WaveLimiterHint : 1
; COMPUTE_PGM_RSRC2:SCRATCH_EN: 0
; COMPUTE_PGM_RSRC2:USER_SGPR: 2
; COMPUTE_PGM_RSRC2:TRAP_HANDLER: 0
; COMPUTE_PGM_RSRC2:TGID_X_EN: 1
; COMPUTE_PGM_RSRC2:TGID_Y_EN: 0
; COMPUTE_PGM_RSRC2:TGID_Z_EN: 1
; COMPUTE_PGM_RSRC2:TIDIG_COMP_CNT: 0
	.section	.text._ZL24rocblas_dot_kernel_magsqIiLb0ELi512ELi2ELb0E19rocblas_complex_numIdEPKPKS1_S1_EviT5_lT_liPT6_PT4_,"axG",@progbits,_ZL24rocblas_dot_kernel_magsqIiLb0ELi512ELi2ELb0E19rocblas_complex_numIdEPKPKS1_S1_EviT5_lT_liPT6_PT4_,comdat
	.globl	_ZL24rocblas_dot_kernel_magsqIiLb0ELi512ELi2ELb0E19rocblas_complex_numIdEPKPKS1_S1_EviT5_lT_liPT6_PT4_ ; -- Begin function _ZL24rocblas_dot_kernel_magsqIiLb0ELi512ELi2ELb0E19rocblas_complex_numIdEPKPKS1_S1_EviT5_lT_liPT6_PT4_
	.p2align	8
	.type	_ZL24rocblas_dot_kernel_magsqIiLb0ELi512ELi2ELb0E19rocblas_complex_numIdEPKPKS1_S1_EviT5_lT_liPT6_PT4_,@function
_ZL24rocblas_dot_kernel_magsqIiLb0ELi512ELi2ELb0E19rocblas_complex_numIdEPKPKS1_S1_EviT5_lT_liPT6_PT4_: ; @_ZL24rocblas_dot_kernel_magsqIiLb0ELi512ELi2ELb0E19rocblas_complex_numIdEPKPKS1_S1_EviT5_lT_liPT6_PT4_
; %bb.0:
	s_load_b32 s20, s[0:1], 0x28
	s_bfe_u32 s2, ttmp6, 0x40014
	s_lshr_b32 s3, ttmp7, 16
	s_add_co_i32 s2, s2, 1
	s_bfe_u32 s5, ttmp6, 0x40008
	s_mul_i32 s4, s3, s2
	s_getreg_b32 s2, hwreg(HW_REG_IB_STS2, 6, 4)
	s_add_co_i32 s5, s5, s4
	s_cmp_eq_u32 s2, 0
	s_mov_b32 s13, 0
	s_cselect_b32 s12, s3, s5
	s_wait_kmcnt 0x0
	s_cmp_ge_u32 s12, s20
	s_cbranch_scc1 .LBB119_21
; %bb.1:
	v_mbcnt_lo_u32_b32 v2, -1, 0
	s_clause 0x4
	s_load_b32 s14, s[0:1], 0x18
	s_load_b128 s[4:7], s[0:1], 0x30
	s_load_b32 s16, s[0:1], 0x40
	s_load_b128 s[8:11], s[0:1], 0x8
	s_load_b32 s21, s[0:1], 0x0
	s_wait_xcnt 0x0
	s_bfe_u32 s0, ttmp6, 0x4000c
	s_and_b32 s1, ttmp6, 15
	s_add_co_i32 s3, s0, 1
	v_cmp_gt_u32_e32 vcc_lo, 24, v2
	s_mul_i32 s3, ttmp9, s3
	v_and_b32_e32 v1, 31, v0
	s_add_co_i32 s1, s1, s3
	s_mov_b32 s19, s13
	v_cndmask_b32_e64 v3, 0, 8, vcc_lo
	v_cmp_gt_u32_e32 vcc_lo, 28, v2
	v_cmp_gt_u32_e64 s0, 32, v0
	v_lshl_or_b32 v13, v2, 2, 64
	v_cmp_eq_u32_e64 s3, 0, v0
	v_add_lshl_u32 v14, v3, v2, 2
	v_cndmask_b32_e64 v4, 0, 4, vcc_lo
	v_cmp_gt_u32_e32 vcc_lo, 30, v2
	s_wait_kmcnt 0x0
	s_ashr_i32 s15, s14, 31
	v_lshrrev_b32_e32 v3, 1, v0
	s_cmp_eq_u32 s2, 0
	v_add_lshl_u32 v15, v4, v2, 2
	v_cndmask_b32_e64 v5, 0, 2, vcc_lo
	v_cmp_ne_u32_e32 vcc_lo, 31, v2
	s_cselect_b32 s18, ttmp9, s1
	s_cmp_lg_u32 s16, 1
	v_lshl_or_b32 v6, s18, 9, v0
	v_add_lshl_u32 v16, v5, v2, 2
	v_add_co_ci_u32_e64 v7, null, 0, v2, vcc_lo
	v_lshlrev_b32_e32 v12, 4, v1
	v_cmp_eq_u32_e64 s1, 0, v1
	v_and_b32_e32 v18, 0xf0, v3
	s_delay_alu instid0(VALU_DEP_4)
	v_lshlrev_b32_e32 v17, 2, v7
	v_cmp_gt_u32_e64 s2, 16, v0
	v_mov_b32_e32 v0, 0
	s_cselect_b32 s22, -1, 0
	s_lshl_b64 s[18:19], s[18:19], 4
	s_mov_b32 s17, s13
	s_lshl_b32 s23, s16, 9
	s_add_nc_u64 s[4:5], s[4:5], s[18:19]
	s_lshl_b64 s[10:11], s[10:11], 4
	s_branch .LBB119_4
.LBB119_2:                              ;   in Loop: Header=BB119_4 Depth=1
	s_wait_dscnt 0x0
	global_store_b64 v0, v[4:5], s[18:19] offset:8
.LBB119_3:                              ;   in Loop: Header=BB119_4 Depth=1
	s_wait_xcnt 0x0
	s_or_b32 exec_lo, exec_lo, s24
	s_add_co_i32 s12, s12, 0x10000
	s_delay_alu instid0(SALU_CYCLE_1)
	s_cmp_lt_u32 s12, s20
	s_cbranch_scc0 .LBB119_21
.LBB119_4:                              ; =>This Inner Loop Header: Depth=1
	v_mov_b64_e32 v[8:9], 0
	s_wait_dscnt 0x0
	v_mov_b64_e32 v[4:5], 0
	s_mov_b32 s24, exec_lo
	v_cmpx_gt_i32_e64 s21, v6
	s_cbranch_execz .LBB119_8
; %bb.5:                                ;   in Loop: Header=BB119_4 Depth=1
	v_ashrrev_i32_e32 v7, 31, v6
	s_lshl_b64 s[18:19], s[12:13], 3
	s_mov_b32 s25, exec_lo
	s_add_nc_u64 s[18:19], s[8:9], s[18:19]
	s_load_b64 s[18:19], s[18:19], 0x0
	v_mul_u64_e32 v[2:3], s[14:15], v[6:7]
	v_add_nc_u32_e32 v6, s23, v6
	s_wait_kmcnt 0x0
	s_wait_xcnt 0x0
	s_add_nc_u64 s[18:19], s[18:19], s[10:11]
	s_delay_alu instid0(VALU_DEP_2) | instid1(SALU_CYCLE_1)
	v_lshl_add_u64 v[2:3], v[2:3], 4, s[18:19]
	flat_load_b128 v[2:5], v[2:3]
	s_wait_loadcnt_dscnt 0x0
	v_mul_f64_e32 v[8:9], v[4:5], v[4:5]
	v_mul_f64_e32 v[4:5], v[2:3], v[4:5]
	s_delay_alu instid0(VALU_DEP_2) | instskip(NEXT) | instid1(VALU_DEP_2)
	v_fma_f64 v[8:9], v[2:3], v[2:3], -v[8:9]
	v_fma_f64 v[4:5], v[4:5], 2.0, 0
	s_wait_xcnt 0x0
	v_cmpx_gt_i32_e64 s21, v6
	s_cbranch_execz .LBB119_7
; %bb.6:                                ;   in Loop: Header=BB119_4 Depth=1
	v_ashrrev_i32_e32 v7, 31, v6
	s_delay_alu instid0(VALU_DEP_1) | instskip(SKIP_1) | instid1(VALU_DEP_2)
	v_mul_u64_e32 v[2:3], s[14:15], v[6:7]
	v_add_nc_u32_e32 v6, s23, v6
	v_lshl_add_u64 v[2:3], v[2:3], 4, s[18:19]
	flat_load_b128 v[20:23], v[2:3]
	s_wait_loadcnt_dscnt 0x0
	s_wait_xcnt 0x0
	v_mul_f64_e32 v[2:3], v[22:23], v[22:23]
	v_mul_f64_e32 v[10:11], v[20:21], v[22:23]
	s_delay_alu instid0(VALU_DEP_2) | instskip(NEXT) | instid1(VALU_DEP_2)
	v_fma_f64 v[2:3], v[20:21], v[20:21], -v[2:3]
	v_fmac_f64_e32 v[4:5], 2.0, v[10:11]
	s_delay_alu instid0(VALU_DEP_2)
	v_add_f64_e32 v[8:9], v[8:9], v[2:3]
.LBB119_7:                              ;   in Loop: Header=BB119_4 Depth=1
	s_or_b32 exec_lo, exec_lo, s25
.LBB119_8:                              ;   in Loop: Header=BB119_4 Depth=1
	s_delay_alu instid0(SALU_CYCLE_1)
	s_or_b32 exec_lo, exec_lo, s24
	s_and_saveexec_b32 s18, s0
; %bb.9:                                ;   in Loop: Header=BB119_4 Depth=1
	v_dual_mov_b32 v1, v0 :: v_dual_mov_b32 v2, v0
	v_mov_b32_e32 v3, v0
	ds_store_b128 v12, v[0:3]
; %bb.10:                               ;   in Loop: Header=BB119_4 Depth=1
	s_or_b32 exec_lo, exec_lo, s18
	ds_bpermute_b32 v2, v13, v8
	ds_bpermute_b32 v3, v13, v9
	;; [unrolled: 1-line block ×4, first 2 shown]
	s_wait_dscnt 0x0
	s_barrier_signal -1
	s_barrier_wait -1
	v_add_f64_e32 v[2:3], v[8:9], v[2:3]
	v_add_f64_e32 v[4:5], v[4:5], v[10:11]
	ds_bpermute_b32 v8, v14, v2
	ds_bpermute_b32 v9, v14, v3
	ds_bpermute_b32 v10, v14, v4
	ds_bpermute_b32 v11, v14, v5
	s_wait_dscnt 0x2
	v_add_f64_e32 v[2:3], v[2:3], v[8:9]
	s_wait_dscnt 0x0
	v_add_f64_e32 v[4:5], v[4:5], v[10:11]
	ds_bpermute_b32 v8, v15, v2
	ds_bpermute_b32 v9, v15, v3
	ds_bpermute_b32 v10, v15, v4
	ds_bpermute_b32 v11, v15, v5
	s_wait_dscnt 0x2
	v_add_f64_e32 v[2:3], v[2:3], v[8:9]
	s_wait_dscnt 0x0
	;; [unrolled: 8-line block ×3, first 2 shown]
	v_add_f64_e32 v[8:9], v[4:5], v[10:11]
	ds_bpermute_b32 v4, v17, v2
	ds_bpermute_b32 v5, v17, v3
	;; [unrolled: 1-line block ×4, first 2 shown]
	s_and_saveexec_b32 s18, s1
	s_cbranch_execz .LBB119_12
; %bb.11:                               ;   in Loop: Header=BB119_4 Depth=1
	s_wait_dscnt 0x0
	v_add_f64_e32 v[10:11], v[8:9], v[10:11]
	v_add_f64_e32 v[8:9], v[2:3], v[4:5]
	ds_store_b128 v18, v[8:11]
.LBB119_12:                             ;   in Loop: Header=BB119_4 Depth=1
	s_or_b32 exec_lo, exec_lo, s18
	s_wait_dscnt 0x2
	v_mov_b64_e32 v[4:5], 0
	v_mov_b64_e32 v[2:3], 0
	s_wait_dscnt 0x0
	s_barrier_signal -1
	s_barrier_wait -1
	s_and_saveexec_b32 s18, s2
	s_cbranch_execnz .LBB119_15
; %bb.13:                               ;   in Loop: Header=BB119_4 Depth=1
	s_or_b32 exec_lo, exec_lo, s18
	s_and_saveexec_b32 s18, s0
	s_cbranch_execnz .LBB119_16
.LBB119_14:                             ;   in Loop: Header=BB119_4 Depth=1
	s_or_b32 exec_lo, exec_lo, s18
	s_and_saveexec_b32 s24, s3
	s_cbranch_execz .LBB119_3
	s_branch .LBB119_17
.LBB119_15:                             ;   in Loop: Header=BB119_4 Depth=1
	ds_load_b128 v[2:5], v12
	s_or_b32 exec_lo, exec_lo, s18
	s_and_saveexec_b32 s18, s0
	s_cbranch_execz .LBB119_14
.LBB119_16:                             ;   in Loop: Header=BB119_4 Depth=1
	s_wait_dscnt 0x0
	ds_bpermute_b32 v8, v14, v2
	ds_bpermute_b32 v9, v14, v3
	ds_bpermute_b32 v10, v14, v4
	ds_bpermute_b32 v11, v14, v5
	s_wait_dscnt 0x2
	v_add_f64_e32 v[2:3], v[2:3], v[8:9]
	s_wait_dscnt 0x0
	v_add_f64_e32 v[4:5], v[4:5], v[10:11]
	ds_bpermute_b32 v8, v15, v2
	ds_bpermute_b32 v9, v15, v3
	ds_bpermute_b32 v10, v15, v4
	ds_bpermute_b32 v11, v15, v5
	s_wait_dscnt 0x2
	v_add_f64_e32 v[2:3], v[2:3], v[8:9]
	s_wait_dscnt 0x0
	v_add_f64_e32 v[4:5], v[4:5], v[10:11]
	;; [unrolled: 8-line block ×4, first 2 shown]
	s_or_b32 exec_lo, exec_lo, s18
	s_and_saveexec_b32 s24, s3
	s_cbranch_execz .LBB119_3
.LBB119_17:                             ;   in Loop: Header=BB119_4 Depth=1
	s_and_b32 vcc_lo, exec_lo, s22
	s_mov_b32 s25, -1
                                        ; implicit-def: $sgpr18_sgpr19
	s_cbranch_vccz .LBB119_19
; %bb.18:                               ;   in Loop: Header=BB119_4 Depth=1
	s_mul_u64 s[18:19], s[16:17], s[12:13]
	s_mov_b32 s25, 0
	s_lshl_b64 s[18:19], s[18:19], 4
	s_delay_alu instid0(SALU_CYCLE_1)
	s_add_nc_u64 s[18:19], s[4:5], s[18:19]
	s_wait_dscnt 0x0
	global_store_b64 v0, v[2:3], s[18:19]
.LBB119_19:                             ;   in Loop: Header=BB119_4 Depth=1
	s_and_not1_b32 vcc_lo, exec_lo, s25
	s_cbranch_vccnz .LBB119_2
; %bb.20:                               ;   in Loop: Header=BB119_4 Depth=1
	s_wait_xcnt 0x0
	s_lshl_b64 s[18:19], s[12:13], 4
	s_delay_alu instid0(SALU_CYCLE_1)
	s_add_nc_u64 s[18:19], s[6:7], s[18:19]
	s_wait_dscnt 0x0
	global_store_b64 v0, v[2:3], s[18:19]
	s_branch .LBB119_2
.LBB119_21:
	s_endpgm
	.section	.rodata,"a",@progbits
	.p2align	6, 0x0
	.amdhsa_kernel _ZL24rocblas_dot_kernel_magsqIiLb0ELi512ELi2ELb0E19rocblas_complex_numIdEPKPKS1_S1_EviT5_lT_liPT6_PT4_
		.amdhsa_group_segment_fixed_size 512
		.amdhsa_private_segment_fixed_size 0
		.amdhsa_kernarg_size 320
		.amdhsa_user_sgpr_count 2
		.amdhsa_user_sgpr_dispatch_ptr 0
		.amdhsa_user_sgpr_queue_ptr 0
		.amdhsa_user_sgpr_kernarg_segment_ptr 1
		.amdhsa_user_sgpr_dispatch_id 0
		.amdhsa_user_sgpr_kernarg_preload_length 0
		.amdhsa_user_sgpr_kernarg_preload_offset 0
		.amdhsa_user_sgpr_private_segment_size 0
		.amdhsa_wavefront_size32 1
		.amdhsa_uses_dynamic_stack 0
		.amdhsa_enable_private_segment 0
		.amdhsa_system_sgpr_workgroup_id_x 1
		.amdhsa_system_sgpr_workgroup_id_y 0
		.amdhsa_system_sgpr_workgroup_id_z 1
		.amdhsa_system_sgpr_workgroup_info 0
		.amdhsa_system_vgpr_workitem_id 0
		.amdhsa_next_free_vgpr 24
		.amdhsa_next_free_sgpr 26
		.amdhsa_named_barrier_count 0
		.amdhsa_reserve_vcc 1
		.amdhsa_float_round_mode_32 0
		.amdhsa_float_round_mode_16_64 0
		.amdhsa_float_denorm_mode_32 3
		.amdhsa_float_denorm_mode_16_64 3
		.amdhsa_fp16_overflow 0
		.amdhsa_memory_ordered 1
		.amdhsa_forward_progress 1
		.amdhsa_inst_pref_size 11
		.amdhsa_round_robin_scheduling 0
		.amdhsa_exception_fp_ieee_invalid_op 0
		.amdhsa_exception_fp_denorm_src 0
		.amdhsa_exception_fp_ieee_div_zero 0
		.amdhsa_exception_fp_ieee_overflow 0
		.amdhsa_exception_fp_ieee_underflow 0
		.amdhsa_exception_fp_ieee_inexact 0
		.amdhsa_exception_int_div_zero 0
	.end_amdhsa_kernel
	.section	.text._ZL24rocblas_dot_kernel_magsqIiLb0ELi512ELi2ELb0E19rocblas_complex_numIdEPKPKS1_S1_EviT5_lT_liPT6_PT4_,"axG",@progbits,_ZL24rocblas_dot_kernel_magsqIiLb0ELi512ELi2ELb0E19rocblas_complex_numIdEPKPKS1_S1_EviT5_lT_liPT6_PT4_,comdat
.Lfunc_end119:
	.size	_ZL24rocblas_dot_kernel_magsqIiLb0ELi512ELi2ELb0E19rocblas_complex_numIdEPKPKS1_S1_EviT5_lT_liPT6_PT4_, .Lfunc_end119-_ZL24rocblas_dot_kernel_magsqIiLb0ELi512ELi2ELb0E19rocblas_complex_numIdEPKPKS1_S1_EviT5_lT_liPT6_PT4_
                                        ; -- End function
	.set _ZL24rocblas_dot_kernel_magsqIiLb0ELi512ELi2ELb0E19rocblas_complex_numIdEPKPKS1_S1_EviT5_lT_liPT6_PT4_.num_vgpr, 24
	.set _ZL24rocblas_dot_kernel_magsqIiLb0ELi512ELi2ELb0E19rocblas_complex_numIdEPKPKS1_S1_EviT5_lT_liPT6_PT4_.num_agpr, 0
	.set _ZL24rocblas_dot_kernel_magsqIiLb0ELi512ELi2ELb0E19rocblas_complex_numIdEPKPKS1_S1_EviT5_lT_liPT6_PT4_.numbered_sgpr, 26
	.set _ZL24rocblas_dot_kernel_magsqIiLb0ELi512ELi2ELb0E19rocblas_complex_numIdEPKPKS1_S1_EviT5_lT_liPT6_PT4_.num_named_barrier, 0
	.set _ZL24rocblas_dot_kernel_magsqIiLb0ELi512ELi2ELb0E19rocblas_complex_numIdEPKPKS1_S1_EviT5_lT_liPT6_PT4_.private_seg_size, 0
	.set _ZL24rocblas_dot_kernel_magsqIiLb0ELi512ELi2ELb0E19rocblas_complex_numIdEPKPKS1_S1_EviT5_lT_liPT6_PT4_.uses_vcc, 1
	.set _ZL24rocblas_dot_kernel_magsqIiLb0ELi512ELi2ELb0E19rocblas_complex_numIdEPKPKS1_S1_EviT5_lT_liPT6_PT4_.uses_flat_scratch, 0
	.set _ZL24rocblas_dot_kernel_magsqIiLb0ELi512ELi2ELb0E19rocblas_complex_numIdEPKPKS1_S1_EviT5_lT_liPT6_PT4_.has_dyn_sized_stack, 0
	.set _ZL24rocblas_dot_kernel_magsqIiLb0ELi512ELi2ELb0E19rocblas_complex_numIdEPKPKS1_S1_EviT5_lT_liPT6_PT4_.has_recursion, 0
	.set _ZL24rocblas_dot_kernel_magsqIiLb0ELi512ELi2ELb0E19rocblas_complex_numIdEPKPKS1_S1_EviT5_lT_liPT6_PT4_.has_indirect_call, 0
	.section	.AMDGPU.csdata,"",@progbits
; Kernel info:
; codeLenInByte = 1300
; TotalNumSgprs: 28
; NumVgprs: 24
; ScratchSize: 0
; MemoryBound: 0
; FloatMode: 240
; IeeeMode: 1
; LDSByteSize: 512 bytes/workgroup (compile time only)
; SGPRBlocks: 0
; VGPRBlocks: 1
; NumSGPRsForWavesPerEU: 28
; NumVGPRsForWavesPerEU: 24
; NamedBarCnt: 0
; Occupancy: 16
; WaveLimiterHint : 1
; COMPUTE_PGM_RSRC2:SCRATCH_EN: 0
; COMPUTE_PGM_RSRC2:USER_SGPR: 2
; COMPUTE_PGM_RSRC2:TRAP_HANDLER: 0
; COMPUTE_PGM_RSRC2:TGID_X_EN: 1
; COMPUTE_PGM_RSRC2:TGID_Y_EN: 0
; COMPUTE_PGM_RSRC2:TGID_Z_EN: 1
; COMPUTE_PGM_RSRC2:TIDIG_COMP_CNT: 0
	.section	.text._ZL28rocblas_dot_batched_4_kernelIiLi32ELi4ELb1E19rocblas_complex_numIfES1_PKPKS1_EviT5_lT_lS6_lS7_liPT4_,"axG",@progbits,_ZL28rocblas_dot_batched_4_kernelIiLi32ELi4ELb1E19rocblas_complex_numIfES1_PKPKS1_EviT5_lT_lS6_lS7_liPT4_,comdat
	.globl	_ZL28rocblas_dot_batched_4_kernelIiLi32ELi4ELb1E19rocblas_complex_numIfES1_PKPKS1_EviT5_lT_lS6_lS7_liPT4_ ; -- Begin function _ZL28rocblas_dot_batched_4_kernelIiLi32ELi4ELb1E19rocblas_complex_numIfES1_PKPKS1_EviT5_lT_lS6_lS7_liPT4_
	.p2align	8
	.type	_ZL28rocblas_dot_batched_4_kernelIiLi32ELi4ELb1E19rocblas_complex_numIfES1_PKPKS1_EviT5_lT_lS6_lS7_liPT4_,@function
_ZL28rocblas_dot_batched_4_kernelIiLi32ELi4ELb1E19rocblas_complex_numIfES1_PKPKS1_EviT5_lT_lS6_lS7_liPT4_: ; @_ZL28rocblas_dot_batched_4_kernelIiLi32ELi4ELb1E19rocblas_complex_numIfES1_PKPKS1_EviT5_lT_lS6_lS7_liPT4_
; %bb.0:
	s_load_b32 s2, s[0:1], 0x48
	s_bfe_u32 s3, ttmp6, 0x4000c
	s_and_b32 s4, ttmp6, 15
	s_add_co_i32 s3, s3, 1
	v_bfe_u32 v1, v0, 10, 10
	s_mul_i32 s3, ttmp9, s3
	s_delay_alu instid0(SALU_CYCLE_1) | instskip(SKIP_1) | instid1(SALU_CYCLE_1)
	s_add_co_i32 s4, s4, s3
	s_getreg_b32 s3, hwreg(HW_REG_IB_STS2, 6, 4)
	s_cmp_eq_u32 s3, 0
	s_cselect_b32 s3, ttmp9, s4
	s_delay_alu instid0(SALU_CYCLE_1) | instskip(SKIP_1) | instid1(VALU_DEP_1)
	v_lshl_add_u32 v2, s3, 2, v1
	s_wait_kmcnt 0x0
	v_cmp_gt_u32_e32 vcc_lo, s2, v2
	s_and_saveexec_b32 s2, vcc_lo
	s_cbranch_execz .LBB120_7
; %bb.1:
	s_load_b32 s6, s[0:1], 0x0
	v_mov_b32_e32 v3, 0
	v_and_b32_e32 v0, 0x3ff, v0
	s_mov_b32 s7, exec_lo
	s_delay_alu instid0(VALU_DEP_2) | instskip(SKIP_1) | instid1(VALU_DEP_2)
	v_dual_mov_b32 v5, v3 :: v_dual_mov_b32 v4, v3
	s_wait_kmcnt 0x0
	v_cmpx_gt_i32_e64 s6, v0
	s_cbranch_execz .LBB120_5
; %bb.2:
	s_clause 0x1
	s_load_b128 s[8:11], s[0:1], 0x8
	s_load_b128 s[12:15], s[0:1], 0x28
	v_lshlrev_b64_e32 v[4:5], 3, v[2:3]
	s_clause 0x1
	s_load_b32 s2, s[0:1], 0x18
	s_load_b32 s4, s[0:1], 0x38
	v_mov_b32_e32 v1, 0
	s_wait_kmcnt 0x0
	s_delay_alu instid0(VALU_DEP_2)
	v_add_nc_u64_e32 v[6:7], s[8:9], v[4:5]
	v_add_nc_u64_e32 v[4:5], s[12:13], v[4:5]
	s_lshl_b64 s[8:9], s[10:11], 3
	s_ashr_i32 s3, s2, 31
	s_ashr_i32 s5, s4, 31
	global_load_b64 v[8:9], v[6:7], off
	global_load_b64 v[10:11], v[4:5], off
	s_wait_xcnt 0x0
	v_mul_u64_e32 v[4:5], s[2:3], v[0:1]
	v_mul_u64_e32 v[6:7], s[4:5], v[0:1]
	s_lshl_b64 s[2:3], s[2:3], 8
	s_lshl_b64 s[4:5], s[4:5], 8
	s_delay_alu instid0(VALU_DEP_2)
	v_lshl_add_u64 v[4:5], v[4:5], 3, s[8:9]
	s_lshl_b64 s[8:9], s[14:15], 3
	s_delay_alu instid0(VALU_DEP_2) | instid1(SALU_CYCLE_1)
	v_lshl_add_u64 v[6:7], v[6:7], 3, s[8:9]
	s_mov_b32 s8, 0
	s_wait_loadcnt 0x1
	v_add_nc_u64_e32 v[4:5], v[8:9], v[4:5]
	s_wait_loadcnt 0x0
	v_add_nc_u64_e32 v[6:7], v[10:11], v[6:7]
	v_mov_b32_e32 v10, v0
	s_delay_alu instid0(VALU_DEP_3)
	v_add_nc_u64_e32 v[8:9], 4, v[4:5]
	v_dual_mov_b32 v4, v1 :: v_dual_mov_b32 v5, v1
.LBB120_3:                              ; =>This Inner Loop Header: Depth=1
	flat_load_b64 v[12:13], v[8:9] offset:-4
	flat_load_b64 v[14:15], v[6:7]
	s_wait_xcnt 0x1
	v_add_nc_u64_e32 v[8:9], s[2:3], v[8:9]
	s_wait_xcnt 0x0
	v_add_nc_u64_e32 v[6:7], s[4:5], v[6:7]
	s_wait_loadcnt_dscnt 0x0
	v_pk_mul_f32 v[16:17], v[12:13], v[14:15] op_sel:[1,1] op_sel_hi:[1,0]
	s_delay_alu instid0(VALU_DEP_1) | instskip(SKIP_2) | instid1(VALU_DEP_3)
	v_pk_fma_f32 v[18:19], v[12:13], v[14:15], v[16:17] op_sel_hi:[0,1,1] neg_lo:[0,0,1] neg_hi:[0,0,1]
	v_add_nc_u32_e32 v10, 32, v10
	v_pk_fma_f32 v[12:13], v[12:13], v[14:15], v[16:17]
	v_mov_b32_e32 v13, v19
	s_delay_alu instid0(VALU_DEP_3) | instskip(NEXT) | instid1(VALU_DEP_2)
	v_cmp_le_i32_e32 vcc_lo, s6, v10
	v_pk_add_f32 v[4:5], v[4:5], v[12:13]
	s_or_b32 s8, vcc_lo, s8
	s_delay_alu instid0(SALU_CYCLE_1)
	s_and_not1_b32 exec_lo, exec_lo, s8
	s_cbranch_execnz .LBB120_3
; %bb.4:
	s_or_b32 exec_lo, exec_lo, s8
.LBB120_5:
	s_delay_alu instid0(SALU_CYCLE_1) | instskip(SKIP_4) | instid1(VALU_DEP_1)
	s_or_b32 exec_lo, exec_lo, s7
	v_mbcnt_lo_u32_b32 v1, -1, 0
	s_load_b64 s[0:1], s[0:1], 0x50
	s_barrier_signal -1
	s_barrier_wait -1
	v_lshl_or_b32 v7, v1, 2, 64
	v_cmp_gt_u32_e32 vcc_lo, 24, v1
	ds_bpermute_b32 v6, v7, v4
	ds_bpermute_b32 v7, v7, v5
	v_cndmask_b32_e64 v8, 0, 8, vcc_lo
	v_cmp_gt_u32_e32 vcc_lo, 28, v1
	s_delay_alu instid0(VALU_DEP_2)
	v_add_lshl_u32 v8, v8, v1, 2
	s_wait_dscnt 0x0
	v_pk_add_f32 v[4:5], v[4:5], v[6:7]
	ds_bpermute_b32 v6, v8, v4
	ds_bpermute_b32 v7, v8, v5
	v_cndmask_b32_e64 v8, 0, 4, vcc_lo
	v_cmp_gt_u32_e32 vcc_lo, 30, v1
	s_delay_alu instid0(VALU_DEP_2)
	v_add_lshl_u32 v8, v8, v1, 2
	s_wait_dscnt 0x0
	v_pk_add_f32 v[4:5], v[4:5], v[6:7]
	ds_bpermute_b32 v6, v8, v4
	ds_bpermute_b32 v7, v8, v5
	v_cndmask_b32_e64 v8, 0, 2, vcc_lo
	v_cmp_ne_u32_e32 vcc_lo, 31, v1
	s_delay_alu instid0(VALU_DEP_2) | instskip(SKIP_2) | instid1(VALU_DEP_2)
	v_add_lshl_u32 v8, v8, v1, 2
	v_add_co_ci_u32_e64 v1, null, 0, v1, vcc_lo
	v_cmp_eq_u32_e32 vcc_lo, 0, v0
	v_lshlrev_b32_e32 v1, 2, v1
	s_wait_dscnt 0x0
	v_pk_add_f32 v[4:5], v[4:5], v[6:7]
	ds_bpermute_b32 v6, v8, v4
	ds_bpermute_b32 v7, v8, v5
	s_wait_dscnt 0x0
	v_pk_add_f32 v[4:5], v[4:5], v[6:7]
	ds_bpermute_b32 v6, v1, v4
	ds_bpermute_b32 v7, v1, v5
	s_and_b32 exec_lo, exec_lo, vcc_lo
	s_cbranch_execz .LBB120_7
; %bb.6:
	s_wait_kmcnt 0x0
	v_lshl_add_u64 v[0:1], v[2:3], 3, s[0:1]
	s_wait_dscnt 0x0
	v_pk_add_f32 v[2:3], v[4:5], v[6:7]
	global_store_b64 v[0:1], v[2:3], off
.LBB120_7:
	s_endpgm
	.section	.rodata,"a",@progbits
	.p2align	6, 0x0
	.amdhsa_kernel _ZL28rocblas_dot_batched_4_kernelIiLi32ELi4ELb1E19rocblas_complex_numIfES1_PKPKS1_EviT5_lT_lS6_lS7_liPT4_
		.amdhsa_group_segment_fixed_size 0
		.amdhsa_private_segment_fixed_size 0
		.amdhsa_kernarg_size 88
		.amdhsa_user_sgpr_count 2
		.amdhsa_user_sgpr_dispatch_ptr 0
		.amdhsa_user_sgpr_queue_ptr 0
		.amdhsa_user_sgpr_kernarg_segment_ptr 1
		.amdhsa_user_sgpr_dispatch_id 0
		.amdhsa_user_sgpr_kernarg_preload_length 0
		.amdhsa_user_sgpr_kernarg_preload_offset 0
		.amdhsa_user_sgpr_private_segment_size 0
		.amdhsa_wavefront_size32 1
		.amdhsa_uses_dynamic_stack 0
		.amdhsa_enable_private_segment 0
		.amdhsa_system_sgpr_workgroup_id_x 1
		.amdhsa_system_sgpr_workgroup_id_y 0
		.amdhsa_system_sgpr_workgroup_id_z 0
		.amdhsa_system_sgpr_workgroup_info 0
		.amdhsa_system_vgpr_workitem_id 1
		.amdhsa_next_free_vgpr 20
		.amdhsa_next_free_sgpr 16
		.amdhsa_named_barrier_count 0
		.amdhsa_reserve_vcc 1
		.amdhsa_float_round_mode_32 0
		.amdhsa_float_round_mode_16_64 0
		.amdhsa_float_denorm_mode_32 3
		.amdhsa_float_denorm_mode_16_64 3
		.amdhsa_fp16_overflow 0
		.amdhsa_memory_ordered 1
		.amdhsa_forward_progress 1
		.amdhsa_inst_pref_size 6
		.amdhsa_round_robin_scheduling 0
		.amdhsa_exception_fp_ieee_invalid_op 0
		.amdhsa_exception_fp_denorm_src 0
		.amdhsa_exception_fp_ieee_div_zero 0
		.amdhsa_exception_fp_ieee_overflow 0
		.amdhsa_exception_fp_ieee_underflow 0
		.amdhsa_exception_fp_ieee_inexact 0
		.amdhsa_exception_int_div_zero 0
	.end_amdhsa_kernel
	.section	.text._ZL28rocblas_dot_batched_4_kernelIiLi32ELi4ELb1E19rocblas_complex_numIfES1_PKPKS1_EviT5_lT_lS6_lS7_liPT4_,"axG",@progbits,_ZL28rocblas_dot_batched_4_kernelIiLi32ELi4ELb1E19rocblas_complex_numIfES1_PKPKS1_EviT5_lT_lS6_lS7_liPT4_,comdat
.Lfunc_end120:
	.size	_ZL28rocblas_dot_batched_4_kernelIiLi32ELi4ELb1E19rocblas_complex_numIfES1_PKPKS1_EviT5_lT_lS6_lS7_liPT4_, .Lfunc_end120-_ZL28rocblas_dot_batched_4_kernelIiLi32ELi4ELb1E19rocblas_complex_numIfES1_PKPKS1_EviT5_lT_lS6_lS7_liPT4_
                                        ; -- End function
	.set _ZL28rocblas_dot_batched_4_kernelIiLi32ELi4ELb1E19rocblas_complex_numIfES1_PKPKS1_EviT5_lT_lS6_lS7_liPT4_.num_vgpr, 20
	.set _ZL28rocblas_dot_batched_4_kernelIiLi32ELi4ELb1E19rocblas_complex_numIfES1_PKPKS1_EviT5_lT_lS6_lS7_liPT4_.num_agpr, 0
	.set _ZL28rocblas_dot_batched_4_kernelIiLi32ELi4ELb1E19rocblas_complex_numIfES1_PKPKS1_EviT5_lT_lS6_lS7_liPT4_.numbered_sgpr, 16
	.set _ZL28rocblas_dot_batched_4_kernelIiLi32ELi4ELb1E19rocblas_complex_numIfES1_PKPKS1_EviT5_lT_lS6_lS7_liPT4_.num_named_barrier, 0
	.set _ZL28rocblas_dot_batched_4_kernelIiLi32ELi4ELb1E19rocblas_complex_numIfES1_PKPKS1_EviT5_lT_lS6_lS7_liPT4_.private_seg_size, 0
	.set _ZL28rocblas_dot_batched_4_kernelIiLi32ELi4ELb1E19rocblas_complex_numIfES1_PKPKS1_EviT5_lT_lS6_lS7_liPT4_.uses_vcc, 1
	.set _ZL28rocblas_dot_batched_4_kernelIiLi32ELi4ELb1E19rocblas_complex_numIfES1_PKPKS1_EviT5_lT_lS6_lS7_liPT4_.uses_flat_scratch, 0
	.set _ZL28rocblas_dot_batched_4_kernelIiLi32ELi4ELb1E19rocblas_complex_numIfES1_PKPKS1_EviT5_lT_lS6_lS7_liPT4_.has_dyn_sized_stack, 0
	.set _ZL28rocblas_dot_batched_4_kernelIiLi32ELi4ELb1E19rocblas_complex_numIfES1_PKPKS1_EviT5_lT_lS6_lS7_liPT4_.has_recursion, 0
	.set _ZL28rocblas_dot_batched_4_kernelIiLi32ELi4ELb1E19rocblas_complex_numIfES1_PKPKS1_EviT5_lT_lS6_lS7_liPT4_.has_indirect_call, 0
	.section	.AMDGPU.csdata,"",@progbits
; Kernel info:
; codeLenInByte = 748
; TotalNumSgprs: 18
; NumVgprs: 20
; ScratchSize: 0
; MemoryBound: 0
; FloatMode: 240
; IeeeMode: 1
; LDSByteSize: 0 bytes/workgroup (compile time only)
; SGPRBlocks: 0
; VGPRBlocks: 1
; NumSGPRsForWavesPerEU: 18
; NumVGPRsForWavesPerEU: 20
; NamedBarCnt: 0
; Occupancy: 16
; WaveLimiterHint : 0
; COMPUTE_PGM_RSRC2:SCRATCH_EN: 0
; COMPUTE_PGM_RSRC2:USER_SGPR: 2
; COMPUTE_PGM_RSRC2:TRAP_HANDLER: 0
; COMPUTE_PGM_RSRC2:TGID_X_EN: 1
; COMPUTE_PGM_RSRC2:TGID_Y_EN: 0
; COMPUTE_PGM_RSRC2:TGID_Z_EN: 0
; COMPUTE_PGM_RSRC2:TIDIG_COMP_CNT: 1
	.section	.text._ZL28rocblas_dot_batched_4_kernelIiLi64ELi4ELb1E19rocblas_complex_numIfES1_PKPKS1_EviT5_lT_lS6_lS7_liPT4_,"axG",@progbits,_ZL28rocblas_dot_batched_4_kernelIiLi64ELi4ELb1E19rocblas_complex_numIfES1_PKPKS1_EviT5_lT_lS6_lS7_liPT4_,comdat
	.globl	_ZL28rocblas_dot_batched_4_kernelIiLi64ELi4ELb1E19rocblas_complex_numIfES1_PKPKS1_EviT5_lT_lS6_lS7_liPT4_ ; -- Begin function _ZL28rocblas_dot_batched_4_kernelIiLi64ELi4ELb1E19rocblas_complex_numIfES1_PKPKS1_EviT5_lT_lS6_lS7_liPT4_
	.p2align	8
	.type	_ZL28rocblas_dot_batched_4_kernelIiLi64ELi4ELb1E19rocblas_complex_numIfES1_PKPKS1_EviT5_lT_lS6_lS7_liPT4_,@function
_ZL28rocblas_dot_batched_4_kernelIiLi64ELi4ELb1E19rocblas_complex_numIfES1_PKPKS1_EviT5_lT_lS6_lS7_liPT4_: ; @_ZL28rocblas_dot_batched_4_kernelIiLi64ELi4ELb1E19rocblas_complex_numIfES1_PKPKS1_EviT5_lT_lS6_lS7_liPT4_
; %bb.0:
	s_load_b32 s2, s[0:1], 0x48
	s_bfe_u32 s3, ttmp6, 0x4000c
	s_and_b32 s4, ttmp6, 15
	s_add_co_i32 s3, s3, 1
	v_bfe_u32 v1, v0, 10, 10
	s_mul_i32 s3, ttmp9, s3
	s_delay_alu instid0(SALU_CYCLE_1) | instskip(SKIP_1) | instid1(SALU_CYCLE_1)
	s_add_co_i32 s4, s4, s3
	s_getreg_b32 s3, hwreg(HW_REG_IB_STS2, 6, 4)
	s_cmp_eq_u32 s3, 0
	s_cselect_b32 s3, ttmp9, s4
	s_delay_alu instid0(SALU_CYCLE_1) | instskip(SKIP_1) | instid1(VALU_DEP_1)
	v_lshl_add_u32 v2, s3, 2, v1
	s_wait_kmcnt 0x0
	v_cmp_gt_u32_e32 vcc_lo, s2, v2
	s_and_saveexec_b32 s2, vcc_lo
	s_cbranch_execz .LBB121_7
; %bb.1:
	s_load_b32 s6, s[0:1], 0x0
	v_mov_b32_e32 v3, 0
	v_and_b32_e32 v0, 0x3ff, v0
	s_mov_b32 s7, exec_lo
	s_delay_alu instid0(VALU_DEP_2) | instskip(SKIP_1) | instid1(VALU_DEP_2)
	v_dual_mov_b32 v5, v3 :: v_dual_mov_b32 v4, v3
	s_wait_kmcnt 0x0
	v_cmpx_gt_i32_e64 s6, v0
	s_cbranch_execz .LBB121_5
; %bb.2:
	s_clause 0x1
	s_load_b128 s[8:11], s[0:1], 0x8
	s_load_b128 s[12:15], s[0:1], 0x28
	v_lshlrev_b64_e32 v[4:5], 3, v[2:3]
	s_clause 0x1
	s_load_b32 s2, s[0:1], 0x18
	s_load_b32 s4, s[0:1], 0x38
	v_mov_b32_e32 v1, 0
	s_wait_kmcnt 0x0
	s_delay_alu instid0(VALU_DEP_2)
	v_add_nc_u64_e32 v[6:7], s[8:9], v[4:5]
	v_add_nc_u64_e32 v[4:5], s[12:13], v[4:5]
	s_lshl_b64 s[8:9], s[10:11], 3
	s_ashr_i32 s3, s2, 31
	s_ashr_i32 s5, s4, 31
	global_load_b64 v[8:9], v[6:7], off
	global_load_b64 v[10:11], v[4:5], off
	s_wait_xcnt 0x0
	v_mul_u64_e32 v[4:5], s[2:3], v[0:1]
	v_mul_u64_e32 v[6:7], s[4:5], v[0:1]
	s_lshl_b64 s[2:3], s[2:3], 9
	s_lshl_b64 s[4:5], s[4:5], 9
	s_delay_alu instid0(VALU_DEP_2)
	v_lshl_add_u64 v[4:5], v[4:5], 3, s[8:9]
	s_lshl_b64 s[8:9], s[14:15], 3
	s_delay_alu instid0(VALU_DEP_2) | instid1(SALU_CYCLE_1)
	v_lshl_add_u64 v[6:7], v[6:7], 3, s[8:9]
	s_mov_b32 s8, 0
	s_wait_loadcnt 0x1
	v_add_nc_u64_e32 v[4:5], v[8:9], v[4:5]
	s_wait_loadcnt 0x0
	v_add_nc_u64_e32 v[6:7], v[10:11], v[6:7]
	v_mov_b32_e32 v10, v0
	s_delay_alu instid0(VALU_DEP_3)
	v_add_nc_u64_e32 v[8:9], 4, v[4:5]
	v_dual_mov_b32 v4, v1 :: v_dual_mov_b32 v5, v1
.LBB121_3:                              ; =>This Inner Loop Header: Depth=1
	flat_load_b64 v[12:13], v[8:9] offset:-4
	flat_load_b64 v[14:15], v[6:7]
	s_wait_xcnt 0x1
	v_add_nc_u64_e32 v[8:9], s[2:3], v[8:9]
	s_wait_xcnt 0x0
	v_add_nc_u64_e32 v[6:7], s[4:5], v[6:7]
	s_wait_loadcnt_dscnt 0x0
	v_pk_mul_f32 v[16:17], v[12:13], v[14:15] op_sel:[1,1] op_sel_hi:[1,0]
	s_delay_alu instid0(VALU_DEP_1) | instskip(SKIP_2) | instid1(VALU_DEP_3)
	v_pk_fma_f32 v[18:19], v[12:13], v[14:15], v[16:17] op_sel_hi:[0,1,1] neg_lo:[0,0,1] neg_hi:[0,0,1]
	v_add_nc_u32_e32 v10, 64, v10
	v_pk_fma_f32 v[12:13], v[12:13], v[14:15], v[16:17]
	v_mov_b32_e32 v13, v19
	s_delay_alu instid0(VALU_DEP_3) | instskip(NEXT) | instid1(VALU_DEP_2)
	v_cmp_le_i32_e32 vcc_lo, s6, v10
	v_pk_add_f32 v[4:5], v[4:5], v[12:13]
	s_or_b32 s8, vcc_lo, s8
	s_delay_alu instid0(SALU_CYCLE_1)
	s_and_not1_b32 exec_lo, exec_lo, s8
	s_cbranch_execnz .LBB121_3
; %bb.4:
	s_or_b32 exec_lo, exec_lo, s8
.LBB121_5:
	s_delay_alu instid0(SALU_CYCLE_1) | instskip(SKIP_4) | instid1(VALU_DEP_1)
	s_or_b32 exec_lo, exec_lo, s7
	v_mbcnt_lo_u32_b32 v1, -1, 0
	s_load_b64 s[0:1], s[0:1], 0x50
	s_barrier_signal -1
	s_barrier_wait -1
	v_lshlrev_b32_e32 v8, 2, v1
	v_cmp_gt_u32_e32 vcc_lo, 24, v1
	ds_bpermute_b32 v6, v8, v4
	ds_bpermute_b32 v7, v8, v5
	v_or_b32_e32 v8, 64, v8
	s_wait_dscnt 0x0
	v_pk_add_f32 v[4:5], v[4:5], v[6:7]
	ds_bpermute_b32 v6, v8, v4
	ds_bpermute_b32 v7, v8, v5
	v_cndmask_b32_e64 v8, 0, 8, vcc_lo
	v_cmp_gt_u32_e32 vcc_lo, 28, v1
	s_delay_alu instid0(VALU_DEP_2)
	v_add_lshl_u32 v8, v8, v1, 2
	s_wait_dscnt 0x0
	v_pk_add_f32 v[4:5], v[4:5], v[6:7]
	ds_bpermute_b32 v6, v8, v4
	ds_bpermute_b32 v7, v8, v5
	v_cndmask_b32_e64 v8, 0, 4, vcc_lo
	v_cmp_gt_u32_e32 vcc_lo, 30, v1
	s_delay_alu instid0(VALU_DEP_2)
	v_add_lshl_u32 v8, v8, v1, 2
	s_wait_dscnt 0x0
	v_pk_add_f32 v[4:5], v[4:5], v[6:7]
	ds_bpermute_b32 v6, v8, v4
	ds_bpermute_b32 v7, v8, v5
	v_cndmask_b32_e64 v8, 0, 2, vcc_lo
	v_cmp_ne_u32_e32 vcc_lo, 31, v1
	s_delay_alu instid0(VALU_DEP_2) | instskip(SKIP_2) | instid1(VALU_DEP_2)
	v_add_lshl_u32 v8, v8, v1, 2
	v_add_co_ci_u32_e64 v1, null, 0, v1, vcc_lo
	v_cmp_eq_u32_e32 vcc_lo, 0, v0
	v_lshlrev_b32_e32 v1, 2, v1
	s_wait_dscnt 0x0
	v_pk_add_f32 v[4:5], v[4:5], v[6:7]
	ds_bpermute_b32 v6, v8, v4
	ds_bpermute_b32 v7, v8, v5
	s_wait_dscnt 0x0
	v_pk_add_f32 v[4:5], v[4:5], v[6:7]
	ds_bpermute_b32 v6, v1, v4
	ds_bpermute_b32 v7, v1, v5
	s_and_b32 exec_lo, exec_lo, vcc_lo
	s_cbranch_execz .LBB121_7
; %bb.6:
	s_wait_kmcnt 0x0
	v_lshl_add_u64 v[0:1], v[2:3], 3, s[0:1]
	s_wait_dscnt 0x0
	v_pk_add_f32 v[2:3], v[4:5], v[6:7]
	global_store_b64 v[0:1], v[2:3], off
.LBB121_7:
	s_endpgm
	.section	.rodata,"a",@progbits
	.p2align	6, 0x0
	.amdhsa_kernel _ZL28rocblas_dot_batched_4_kernelIiLi64ELi4ELb1E19rocblas_complex_numIfES1_PKPKS1_EviT5_lT_lS6_lS7_liPT4_
		.amdhsa_group_segment_fixed_size 0
		.amdhsa_private_segment_fixed_size 0
		.amdhsa_kernarg_size 88
		.amdhsa_user_sgpr_count 2
		.amdhsa_user_sgpr_dispatch_ptr 0
		.amdhsa_user_sgpr_queue_ptr 0
		.amdhsa_user_sgpr_kernarg_segment_ptr 1
		.amdhsa_user_sgpr_dispatch_id 0
		.amdhsa_user_sgpr_kernarg_preload_length 0
		.amdhsa_user_sgpr_kernarg_preload_offset 0
		.amdhsa_user_sgpr_private_segment_size 0
		.amdhsa_wavefront_size32 1
		.amdhsa_uses_dynamic_stack 0
		.amdhsa_enable_private_segment 0
		.amdhsa_system_sgpr_workgroup_id_x 1
		.amdhsa_system_sgpr_workgroup_id_y 0
		.amdhsa_system_sgpr_workgroup_id_z 0
		.amdhsa_system_sgpr_workgroup_info 0
		.amdhsa_system_vgpr_workitem_id 1
		.amdhsa_next_free_vgpr 20
		.amdhsa_next_free_sgpr 16
		.amdhsa_named_barrier_count 0
		.amdhsa_reserve_vcc 1
		.amdhsa_float_round_mode_32 0
		.amdhsa_float_round_mode_16_64 0
		.amdhsa_float_denorm_mode_32 3
		.amdhsa_float_denorm_mode_16_64 3
		.amdhsa_fp16_overflow 0
		.amdhsa_memory_ordered 1
		.amdhsa_forward_progress 1
		.amdhsa_inst_pref_size 7
		.amdhsa_round_robin_scheduling 0
		.amdhsa_exception_fp_ieee_invalid_op 0
		.amdhsa_exception_fp_denorm_src 0
		.amdhsa_exception_fp_ieee_div_zero 0
		.amdhsa_exception_fp_ieee_overflow 0
		.amdhsa_exception_fp_ieee_underflow 0
		.amdhsa_exception_fp_ieee_inexact 0
		.amdhsa_exception_int_div_zero 0
	.end_amdhsa_kernel
	.section	.text._ZL28rocblas_dot_batched_4_kernelIiLi64ELi4ELb1E19rocblas_complex_numIfES1_PKPKS1_EviT5_lT_lS6_lS7_liPT4_,"axG",@progbits,_ZL28rocblas_dot_batched_4_kernelIiLi64ELi4ELb1E19rocblas_complex_numIfES1_PKPKS1_EviT5_lT_lS6_lS7_liPT4_,comdat
.Lfunc_end121:
	.size	_ZL28rocblas_dot_batched_4_kernelIiLi64ELi4ELb1E19rocblas_complex_numIfES1_PKPKS1_EviT5_lT_lS6_lS7_liPT4_, .Lfunc_end121-_ZL28rocblas_dot_batched_4_kernelIiLi64ELi4ELb1E19rocblas_complex_numIfES1_PKPKS1_EviT5_lT_lS6_lS7_liPT4_
                                        ; -- End function
	.set _ZL28rocblas_dot_batched_4_kernelIiLi64ELi4ELb1E19rocblas_complex_numIfES1_PKPKS1_EviT5_lT_lS6_lS7_liPT4_.num_vgpr, 20
	.set _ZL28rocblas_dot_batched_4_kernelIiLi64ELi4ELb1E19rocblas_complex_numIfES1_PKPKS1_EviT5_lT_lS6_lS7_liPT4_.num_agpr, 0
	.set _ZL28rocblas_dot_batched_4_kernelIiLi64ELi4ELb1E19rocblas_complex_numIfES1_PKPKS1_EviT5_lT_lS6_lS7_liPT4_.numbered_sgpr, 16
	.set _ZL28rocblas_dot_batched_4_kernelIiLi64ELi4ELb1E19rocblas_complex_numIfES1_PKPKS1_EviT5_lT_lS6_lS7_liPT4_.num_named_barrier, 0
	.set _ZL28rocblas_dot_batched_4_kernelIiLi64ELi4ELb1E19rocblas_complex_numIfES1_PKPKS1_EviT5_lT_lS6_lS7_liPT4_.private_seg_size, 0
	.set _ZL28rocblas_dot_batched_4_kernelIiLi64ELi4ELb1E19rocblas_complex_numIfES1_PKPKS1_EviT5_lT_lS6_lS7_liPT4_.uses_vcc, 1
	.set _ZL28rocblas_dot_batched_4_kernelIiLi64ELi4ELb1E19rocblas_complex_numIfES1_PKPKS1_EviT5_lT_lS6_lS7_liPT4_.uses_flat_scratch, 0
	.set _ZL28rocblas_dot_batched_4_kernelIiLi64ELi4ELb1E19rocblas_complex_numIfES1_PKPKS1_EviT5_lT_lS6_lS7_liPT4_.has_dyn_sized_stack, 0
	.set _ZL28rocblas_dot_batched_4_kernelIiLi64ELi4ELb1E19rocblas_complex_numIfES1_PKPKS1_EviT5_lT_lS6_lS7_liPT4_.has_recursion, 0
	.set _ZL28rocblas_dot_batched_4_kernelIiLi64ELi4ELb1E19rocblas_complex_numIfES1_PKPKS1_EviT5_lT_lS6_lS7_liPT4_.has_indirect_call, 0
	.section	.AMDGPU.csdata,"",@progbits
; Kernel info:
; codeLenInByte = 776
; TotalNumSgprs: 18
; NumVgprs: 20
; ScratchSize: 0
; MemoryBound: 0
; FloatMode: 240
; IeeeMode: 1
; LDSByteSize: 0 bytes/workgroup (compile time only)
; SGPRBlocks: 0
; VGPRBlocks: 1
; NumSGPRsForWavesPerEU: 18
; NumVGPRsForWavesPerEU: 20
; NamedBarCnt: 0
; Occupancy: 16
; WaveLimiterHint : 0
; COMPUTE_PGM_RSRC2:SCRATCH_EN: 0
; COMPUTE_PGM_RSRC2:USER_SGPR: 2
; COMPUTE_PGM_RSRC2:TRAP_HANDLER: 0
; COMPUTE_PGM_RSRC2:TGID_X_EN: 1
; COMPUTE_PGM_RSRC2:TGID_Y_EN: 0
; COMPUTE_PGM_RSRC2:TGID_Z_EN: 0
; COMPUTE_PGM_RSRC2:TIDIG_COMP_CNT: 1
	.section	.text._ZL26rocblas_dot_kernel_inc1by2ILb1ELi1024ELi32ELb1E19rocblas_complex_numIfEPKPKS1_S1_EviT4_llS6_lliPT5_PT3_,"axG",@progbits,_ZL26rocblas_dot_kernel_inc1by2ILb1ELi1024ELi32ELb1E19rocblas_complex_numIfEPKPKS1_S1_EviT4_llS6_lliPT5_PT3_,comdat
	.globl	_ZL26rocblas_dot_kernel_inc1by2ILb1ELi1024ELi32ELb1E19rocblas_complex_numIfEPKPKS1_S1_EviT4_llS6_lliPT5_PT3_ ; -- Begin function _ZL26rocblas_dot_kernel_inc1by2ILb1ELi1024ELi32ELb1E19rocblas_complex_numIfEPKPKS1_S1_EviT4_llS6_lliPT5_PT3_
	.p2align	8
	.type	_ZL26rocblas_dot_kernel_inc1by2ILb1ELi1024ELi32ELb1E19rocblas_complex_numIfEPKPKS1_S1_EviT4_llS6_lliPT5_PT3_,@function
_ZL26rocblas_dot_kernel_inc1by2ILb1ELi1024ELi32ELb1E19rocblas_complex_numIfEPKPKS1_S1_EviT4_llS6_lliPT5_PT3_: ; @_ZL26rocblas_dot_kernel_inc1by2ILb1ELi1024ELi32ELb1E19rocblas_complex_numIfEPKPKS1_S1_EviT4_llS6_lliPT5_PT3_
; %bb.0:
	s_load_b32 s3, s[0:1], 0x38
	s_bfe_u32 s2, ttmp6, 0x40014
	s_lshr_b32 s4, ttmp7, 16
	s_add_co_i32 s2, s2, 1
	s_bfe_u32 s5, ttmp6, 0x40008
	s_mul_i32 s2, s4, s2
	s_getreg_b32 s6, hwreg(HW_REG_IB_STS2, 6, 4)
	s_add_co_i32 s5, s5, s2
	s_cmp_eq_u32 s6, 0
	s_mov_b32 s13, 0
	s_cselect_b32 s12, s4, s5
	s_wait_kmcnt 0x0
	s_cmp_ge_u32 s12, s3
	s_cbranch_scc1 .LBB122_17
; %bb.1:
	v_mbcnt_lo_u32_b32 v2, -1, 0
	s_clause 0x3
	s_load_b64 s[14:15], s[0:1], 0x48
	s_load_b128 s[4:7], s[0:1], 0x20
	s_load_b128 s[8:11], s[0:1], 0x8
	s_load_b32 s16, s[0:1], 0x0
	v_and_b32_e32 v1, 31, v0
	s_wait_xcnt 0x0
	v_cmp_eq_u32_e64 s1, 0, v0
	v_cmp_gt_u32_e64 s0, 24, v2
	v_lshl_or_b32 v11, v2, 2, 64
	v_mov_b32_e32 v17, 0
	v_cmp_gt_u32_e32 vcc_lo, 32, v0
	s_delay_alu instid0(VALU_DEP_4) | instskip(SKIP_1) | instid1(VALU_DEP_2)
	v_cndmask_b32_e64 v3, 0, 8, s0
	v_cmp_gt_u32_e64 s0, 28, v2
	v_add_lshl_u32 v12, v3, v2, 2
	s_delay_alu instid0(VALU_DEP_2)
	v_cndmask_b32_e64 v4, 0, 4, s0
	v_cmp_gt_u32_e64 s0, 30, v2
	v_lshrrev_b32_e32 v3, 2, v0
	s_wait_kmcnt 0x0
	s_lshl_b64 s[10:11], s[10:11], 3
	v_cndmask_b32_e64 v5, 0, 2, s0
	v_cmp_ne_u32_e64 s0, 31, v2
	v_add_lshl_u32 v13, v4, v2, 2
	v_and_b32_e32 v16, 0xf8, v3
	s_lshl_b64 s[6:7], s[6:7], 3
	v_add_lshl_u32 v14, v5, v2, 2
	v_add_co_ci_u32_e64 v6, null, 0, v2, s0
	v_mov_b64_e32 v[2:3], 0
	v_lshlrev_b32_e32 v10, 3, v1
	v_cmp_eq_u32_e64 s0, 0, v1
	s_delay_alu instid0(VALU_DEP_4)
	v_lshlrev_b32_e32 v15, 2, v6
	s_branch .LBB122_3
.LBB122_2:                              ;   in Loop: Header=BB122_3 Depth=1
	s_wait_xcnt 0x0
	s_or_b32 exec_lo, exec_lo, s2
	s_add_co_i32 s12, s12, 0x10000
	s_delay_alu instid0(SALU_CYCLE_1)
	s_cmp_lt_u32 s12, s3
	s_cbranch_scc0 .LBB122_17
.LBB122_3:                              ; =>This Loop Header: Depth=1
                                        ;     Child Loop BB122_5 Depth 2
	s_wait_dscnt 0x0
	v_dual_mov_b32 v5, 0 :: v_dual_mov_b32 v4, 0
	s_mov_b32 s17, exec_lo
	v_cmpx_gt_i32_e64 s16, v0
	s_cbranch_execz .LBB122_7
; %bb.4:                                ;   in Loop: Header=BB122_3 Depth=1
	s_lshl_b64 s[18:19], s[12:13], 3
	v_dual_mov_b32 v4, 0 :: v_dual_ashrrev_i32 v1, 31, v0
	s_add_nc_u64 s[20:21], s[8:9], s[18:19]
	s_add_nc_u64 s[18:19], s[4:5], s[18:19]
	s_load_b64 s[22:23], s[20:21], 0x0
	s_load_b64 s[24:25], s[18:19], 0x0
	v_lshlrev_b64_e32 v[8:9], 3, v[0:1]
	v_mov_b32_e32 v5, v4
	s_mov_b32 s2, 0
	s_wait_kmcnt 0x0
	s_wait_xcnt 0x0
	s_add_nc_u64 s[18:19], s[22:23], s[10:11]
	s_add_nc_u64 s[20:21], s[24:25], s[6:7]
	v_add_nc_u64_e32 v[6:7], s[18:19], v[8:9]
	v_add_nc_u64_e32 v[8:9], s[20:21], v[8:9]
	s_mov_b32 s18, 0
.LBB122_5:                              ;   Parent Loop BB122_3 Depth=1
                                        ; =>  This Inner Loop Header: Depth=2
	flat_load_b64 v[18:19], v[8:9]
	flat_load_b64 v[20:21], v[6:7]
	s_add_co_i32 s19, s2, 1
	s_cmp_gt_u32 s2, 30
	s_wait_xcnt 0x0
	v_add_nc_u64_e32 v[6:7], 0x2000, v[6:7]
	s_cselect_b32 s20, -1, 0
	v_add_nc_u64_e32 v[8:9], 0x2000, v[8:9]
	s_wait_loadcnt_dscnt 0x101
	v_mov_b32_e32 v24, v19
	s_wait_loadcnt_dscnt 0x0
	v_pk_mul_f32 v[22:23], v[20:21], v[18:19] op_sel_hi:[1,0]
	s_delay_alu instid0(VALU_DEP_1) | instskip(SKIP_2) | instid1(VALU_DEP_3)
	v_pk_fma_f32 v[18:19], v[20:21], v[18:19], v[22:23] op_sel:[1,1,0] op_sel_hi:[0,1,1] neg_lo:[0,0,1] neg_hi:[0,0,1]
	v_add_nc_u32_e32 v0, 0x400, v0
	v_pk_fma_f32 v[20:21], v[20:21], v[24:25], v[22:23] op_sel:[1,0,0] op_sel_hi:[0,1,1]
	v_mov_b32_e32 v21, v19
	s_delay_alu instid0(VALU_DEP_3) | instskip(NEXT) | instid1(VALU_DEP_2)
	v_cmp_le_i32_e64 s2, s16, v0
	v_pk_add_f32 v[4:5], v[4:5], v[20:21]
	s_or_b32 s2, s20, s2
	s_delay_alu instid0(SALU_CYCLE_1) | instskip(NEXT) | instid1(SALU_CYCLE_1)
	s_and_b32 s2, exec_lo, s2
	s_or_b32 s18, s2, s18
	s_mov_b32 s2, s19
	s_and_not1_b32 exec_lo, exec_lo, s18
	s_cbranch_execnz .LBB122_5
; %bb.6:                                ;   in Loop: Header=BB122_3 Depth=1
	s_or_b32 exec_lo, exec_lo, s18
.LBB122_7:                              ;   in Loop: Header=BB122_3 Depth=1
	s_delay_alu instid0(SALU_CYCLE_1)
	s_or_b32 exec_lo, exec_lo, s17
	s_and_saveexec_b32 s2, vcc_lo
; %bb.8:                                ;   in Loop: Header=BB122_3 Depth=1
	ds_store_b64 v10, v[2:3]
; %bb.9:                                ;   in Loop: Header=BB122_3 Depth=1
	s_or_b32 exec_lo, exec_lo, s2
	ds_bpermute_b32 v6, v11, v4
	ds_bpermute_b32 v7, v11, v5
	s_wait_dscnt 0x0
	s_barrier_signal -1
	s_barrier_wait -1
	v_pk_add_f32 v[4:5], v[4:5], v[6:7]
	ds_bpermute_b32 v6, v12, v4
	ds_bpermute_b32 v7, v12, v5
	s_wait_dscnt 0x0
	v_pk_add_f32 v[4:5], v[4:5], v[6:7]
	ds_bpermute_b32 v6, v13, v4
	ds_bpermute_b32 v7, v13, v5
	s_wait_dscnt 0x0
	;; [unrolled: 4-line block ×3, first 2 shown]
	v_pk_add_f32 v[4:5], v[4:5], v[6:7]
	ds_bpermute_b32 v6, v15, v4
	ds_bpermute_b32 v7, v15, v5
	s_and_saveexec_b32 s2, s0
	s_cbranch_execz .LBB122_11
; %bb.10:                               ;   in Loop: Header=BB122_3 Depth=1
	s_wait_dscnt 0x0
	v_pk_add_f32 v[4:5], v[4:5], v[6:7]
	ds_store_b64 v16, v[4:5]
.LBB122_11:                             ;   in Loop: Header=BB122_3 Depth=1
	s_or_b32 exec_lo, exec_lo, s2
	v_mov_b64_e32 v[4:5], 0
	s_wait_dscnt 0x0
	s_barrier_signal -1
	s_barrier_wait -1
	s_and_saveexec_b32 s2, vcc_lo
	s_cbranch_execnz .LBB122_14
; %bb.12:                               ;   in Loop: Header=BB122_3 Depth=1
	s_or_b32 exec_lo, exec_lo, s2
	s_and_saveexec_b32 s2, vcc_lo
	s_cbranch_execnz .LBB122_15
.LBB122_13:                             ;   in Loop: Header=BB122_3 Depth=1
	s_or_b32 exec_lo, exec_lo, s2
	s_and_saveexec_b32 s2, s1
	s_cbranch_execz .LBB122_2
	s_branch .LBB122_16
.LBB122_14:                             ;   in Loop: Header=BB122_3 Depth=1
	ds_load_b64 v[4:5], v10
	s_or_b32 exec_lo, exec_lo, s2
	s_and_saveexec_b32 s2, vcc_lo
	s_cbranch_execz .LBB122_13
.LBB122_15:                             ;   in Loop: Header=BB122_3 Depth=1
	s_wait_dscnt 0x0
	ds_bpermute_b32 v6, v11, v4
	ds_bpermute_b32 v7, v11, v5
	s_wait_dscnt 0x0
	v_pk_add_f32 v[4:5], v[4:5], v[6:7]
	ds_bpermute_b32 v6, v12, v4
	ds_bpermute_b32 v7, v12, v5
	s_wait_dscnt 0x0
	v_pk_add_f32 v[4:5], v[4:5], v[6:7]
	;; [unrolled: 4-line block ×5, first 2 shown]
	s_or_b32 exec_lo, exec_lo, s2
	s_and_saveexec_b32 s2, s1
	s_cbranch_execz .LBB122_2
.LBB122_16:                             ;   in Loop: Header=BB122_3 Depth=1
	s_lshl_b64 s[18:19], s[12:13], 3
	s_delay_alu instid0(SALU_CYCLE_1)
	s_add_nc_u64 s[18:19], s[14:15], s[18:19]
	s_wait_dscnt 0x0
	global_store_b64 v17, v[4:5], s[18:19]
	s_branch .LBB122_2
.LBB122_17:
	s_endpgm
	.section	.rodata,"a",@progbits
	.p2align	6, 0x0
	.amdhsa_kernel _ZL26rocblas_dot_kernel_inc1by2ILb1ELi1024ELi32ELb1E19rocblas_complex_numIfEPKPKS1_S1_EviT4_llS6_lliPT5_PT3_
		.amdhsa_group_segment_fixed_size 256
		.amdhsa_private_segment_fixed_size 0
		.amdhsa_kernarg_size 80
		.amdhsa_user_sgpr_count 2
		.amdhsa_user_sgpr_dispatch_ptr 0
		.amdhsa_user_sgpr_queue_ptr 0
		.amdhsa_user_sgpr_kernarg_segment_ptr 1
		.amdhsa_user_sgpr_dispatch_id 0
		.amdhsa_user_sgpr_kernarg_preload_length 0
		.amdhsa_user_sgpr_kernarg_preload_offset 0
		.amdhsa_user_sgpr_private_segment_size 0
		.amdhsa_wavefront_size32 1
		.amdhsa_uses_dynamic_stack 0
		.amdhsa_enable_private_segment 0
		.amdhsa_system_sgpr_workgroup_id_x 1
		.amdhsa_system_sgpr_workgroup_id_y 0
		.amdhsa_system_sgpr_workgroup_id_z 1
		.amdhsa_system_sgpr_workgroup_info 0
		.amdhsa_system_vgpr_workitem_id 0
		.amdhsa_next_free_vgpr 26
		.amdhsa_next_free_sgpr 26
		.amdhsa_named_barrier_count 0
		.amdhsa_reserve_vcc 1
		.amdhsa_float_round_mode_32 0
		.amdhsa_float_round_mode_16_64 0
		.amdhsa_float_denorm_mode_32 3
		.amdhsa_float_denorm_mode_16_64 3
		.amdhsa_fp16_overflow 0
		.amdhsa_memory_ordered 1
		.amdhsa_forward_progress 1
		.amdhsa_inst_pref_size 9
		.amdhsa_round_robin_scheduling 0
		.amdhsa_exception_fp_ieee_invalid_op 0
		.amdhsa_exception_fp_denorm_src 0
		.amdhsa_exception_fp_ieee_div_zero 0
		.amdhsa_exception_fp_ieee_overflow 0
		.amdhsa_exception_fp_ieee_underflow 0
		.amdhsa_exception_fp_ieee_inexact 0
		.amdhsa_exception_int_div_zero 0
	.end_amdhsa_kernel
	.section	.text._ZL26rocblas_dot_kernel_inc1by2ILb1ELi1024ELi32ELb1E19rocblas_complex_numIfEPKPKS1_S1_EviT4_llS6_lliPT5_PT3_,"axG",@progbits,_ZL26rocblas_dot_kernel_inc1by2ILb1ELi1024ELi32ELb1E19rocblas_complex_numIfEPKPKS1_S1_EviT4_llS6_lliPT5_PT3_,comdat
.Lfunc_end122:
	.size	_ZL26rocblas_dot_kernel_inc1by2ILb1ELi1024ELi32ELb1E19rocblas_complex_numIfEPKPKS1_S1_EviT4_llS6_lliPT5_PT3_, .Lfunc_end122-_ZL26rocblas_dot_kernel_inc1by2ILb1ELi1024ELi32ELb1E19rocblas_complex_numIfEPKPKS1_S1_EviT4_llS6_lliPT5_PT3_
                                        ; -- End function
	.set _ZL26rocblas_dot_kernel_inc1by2ILb1ELi1024ELi32ELb1E19rocblas_complex_numIfEPKPKS1_S1_EviT4_llS6_lliPT5_PT3_.num_vgpr, 26
	.set _ZL26rocblas_dot_kernel_inc1by2ILb1ELi1024ELi32ELb1E19rocblas_complex_numIfEPKPKS1_S1_EviT4_llS6_lliPT5_PT3_.num_agpr, 0
	.set _ZL26rocblas_dot_kernel_inc1by2ILb1ELi1024ELi32ELb1E19rocblas_complex_numIfEPKPKS1_S1_EviT4_llS6_lliPT5_PT3_.numbered_sgpr, 26
	.set _ZL26rocblas_dot_kernel_inc1by2ILb1ELi1024ELi32ELb1E19rocblas_complex_numIfEPKPKS1_S1_EviT4_llS6_lliPT5_PT3_.num_named_barrier, 0
	.set _ZL26rocblas_dot_kernel_inc1by2ILb1ELi1024ELi32ELb1E19rocblas_complex_numIfEPKPKS1_S1_EviT4_llS6_lliPT5_PT3_.private_seg_size, 0
	.set _ZL26rocblas_dot_kernel_inc1by2ILb1ELi1024ELi32ELb1E19rocblas_complex_numIfEPKPKS1_S1_EviT4_llS6_lliPT5_PT3_.uses_vcc, 1
	.set _ZL26rocblas_dot_kernel_inc1by2ILb1ELi1024ELi32ELb1E19rocblas_complex_numIfEPKPKS1_S1_EviT4_llS6_lliPT5_PT3_.uses_flat_scratch, 0
	.set _ZL26rocblas_dot_kernel_inc1by2ILb1ELi1024ELi32ELb1E19rocblas_complex_numIfEPKPKS1_S1_EviT4_llS6_lliPT5_PT3_.has_dyn_sized_stack, 0
	.set _ZL26rocblas_dot_kernel_inc1by2ILb1ELi1024ELi32ELb1E19rocblas_complex_numIfEPKPKS1_S1_EviT4_llS6_lliPT5_PT3_.has_recursion, 0
	.set _ZL26rocblas_dot_kernel_inc1by2ILb1ELi1024ELi32ELb1E19rocblas_complex_numIfEPKPKS1_S1_EviT4_llS6_lliPT5_PT3_.has_indirect_call, 0
	.section	.AMDGPU.csdata,"",@progbits
; Kernel info:
; codeLenInByte = 1040
; TotalNumSgprs: 28
; NumVgprs: 26
; ScratchSize: 0
; MemoryBound: 0
; FloatMode: 240
; IeeeMode: 1
; LDSByteSize: 256 bytes/workgroup (compile time only)
; SGPRBlocks: 0
; VGPRBlocks: 1
; NumSGPRsForWavesPerEU: 28
; NumVGPRsForWavesPerEU: 26
; NamedBarCnt: 0
; Occupancy: 16
; WaveLimiterHint : 0
; COMPUTE_PGM_RSRC2:SCRATCH_EN: 0
; COMPUTE_PGM_RSRC2:USER_SGPR: 2
; COMPUTE_PGM_RSRC2:TRAP_HANDLER: 0
; COMPUTE_PGM_RSRC2:TGID_X_EN: 1
; COMPUTE_PGM_RSRC2:TGID_Y_EN: 0
; COMPUTE_PGM_RSRC2:TGID_Z_EN: 1
; COMPUTE_PGM_RSRC2:TIDIG_COMP_CNT: 0
	.section	.text._ZL18rocblas_dot_kernelIiLb1ELi1024ELi32ELb1E19rocblas_complex_numIfEPKPKS1_S1_EviT5_lT_lS6_lS7_liPT6_PT4_,"axG",@progbits,_ZL18rocblas_dot_kernelIiLb1ELi1024ELi32ELb1E19rocblas_complex_numIfEPKPKS1_S1_EviT5_lT_lS6_lS7_liPT6_PT4_,comdat
	.globl	_ZL18rocblas_dot_kernelIiLb1ELi1024ELi32ELb1E19rocblas_complex_numIfEPKPKS1_S1_EviT5_lT_lS6_lS7_liPT6_PT4_ ; -- Begin function _ZL18rocblas_dot_kernelIiLb1ELi1024ELi32ELb1E19rocblas_complex_numIfEPKPKS1_S1_EviT5_lT_lS6_lS7_liPT6_PT4_
	.p2align	8
	.type	_ZL18rocblas_dot_kernelIiLb1ELi1024ELi32ELb1E19rocblas_complex_numIfEPKPKS1_S1_EviT5_lT_lS6_lS7_liPT6_PT4_,@function
_ZL18rocblas_dot_kernelIiLb1ELi1024ELi32ELb1E19rocblas_complex_numIfEPKPKS1_S1_EviT5_lT_lS6_lS7_liPT6_PT4_: ; @_ZL18rocblas_dot_kernelIiLb1ELi1024ELi32ELb1E19rocblas_complex_numIfEPKPKS1_S1_EviT5_lT_lS6_lS7_liPT6_PT4_
; %bb.0:
	s_load_b32 s3, s[0:1], 0x48
	s_bfe_u32 s2, ttmp6, 0x40014
	s_lshr_b32 s4, ttmp7, 16
	s_add_co_i32 s2, s2, 1
	s_bfe_u32 s5, ttmp6, 0x40008
	s_mul_i32 s2, s4, s2
	s_getreg_b32 s6, hwreg(HW_REG_IB_STS2, 6, 4)
	s_add_co_i32 s5, s5, s2
	s_cmp_eq_u32 s6, 0
	s_mov_b32 s17, 0
	s_cselect_b32 s16, s4, s5
	s_wait_kmcnt 0x0
	s_cmp_ge_u32 s16, s3
	s_cbranch_scc1 .LBB123_17
; %bb.1:
	v_mbcnt_lo_u32_b32 v3, -1, 0
	s_clause 0x5
	s_load_b32 s18, s[0:1], 0x18
	s_load_b32 s22, s[0:1], 0x38
	s_load_b96 s[12:14], s[0:1], 0x58
	s_load_b128 s[4:7], s[0:1], 0x28
	s_load_b128 s[8:11], s[0:1], 0x8
	s_load_b32 s26, s[0:1], 0x0
	v_and_b32_e32 v2, 31, v0
	s_wait_xcnt 0x0
	v_cmp_eq_u32_e64 s1, 0, v0
	v_cmp_gt_u32_e64 s0, 24, v3
	v_lshl_or_b32 v10, v3, 2, 64
	v_mov_b32_e32 v16, 0
	v_cmp_gt_u32_e32 vcc_lo, 32, v0
	s_delay_alu instid0(VALU_DEP_4) | instskip(SKIP_1) | instid1(VALU_DEP_2)
	v_cndmask_b32_e64 v4, 0, 8, s0
	v_cmp_gt_u32_e64 s0, 28, v3
	v_add_lshl_u32 v11, v4, v3, 2
	s_delay_alu instid0(VALU_DEP_2)
	v_cndmask_b32_e64 v5, 0, 4, s0
	v_cmp_gt_u32_e64 s0, 30, v3
	v_lshrrev_b32_e32 v4, 2, v0
	s_wait_kmcnt 0x0
	s_ashr_i32 s19, s18, 31
	s_lshl_b32 s14, s14, 10
	v_add_lshl_u32 v12, v5, v3, 2
	v_cndmask_b32_e64 v6, 0, 2, s0
	v_cmp_ne_u32_e64 s0, 31, v3
	s_ashr_i32 s23, s22, 31
	s_ashr_i32 s15, s14, 31
	v_and_b32_e32 v15, 0xf8, v4
	v_add_lshl_u32 v13, v6, v3, 2
	v_add_co_ci_u32_e64 v7, null, 0, v3, s0
	v_lshlrev_b32_e32 v1, 3, v2
	v_cmp_eq_u32_e64 s0, 0, v2
	v_mov_b64_e32 v[2:3], 0
	s_delay_alu instid0(VALU_DEP_4)
	v_lshlrev_b32_e32 v14, 2, v7
	s_mul_u64 s[20:21], s[18:19], s[14:15]
	s_mul_u64 s[24:25], s[22:23], s[14:15]
	s_lshl_b64 s[10:11], s[10:11], 3
	s_lshl_b64 s[18:19], s[18:19], 3
	;; [unrolled: 1-line block ×6, first 2 shown]
	s_branch .LBB123_3
.LBB123_2:                              ;   in Loop: Header=BB123_3 Depth=1
	s_wait_xcnt 0x0
	s_or_b32 exec_lo, exec_lo, s2
	s_add_co_i32 s16, s16, 0x10000
	s_delay_alu instid0(SALU_CYCLE_1)
	s_cmp_lt_u32 s16, s3
	s_cbranch_scc0 .LBB123_17
.LBB123_3:                              ; =>This Loop Header: Depth=1
                                        ;     Child Loop BB123_5 Depth 2
	s_wait_dscnt 0x0
	v_dual_mov_b32 v5, 0 :: v_dual_mov_b32 v4, 0
	s_mov_b32 s15, exec_lo
	v_cmpx_gt_i32_e64 s26, v0
	s_cbranch_execz .LBB123_7
; %bb.4:                                ;   in Loop: Header=BB123_3 Depth=1
	s_lshl_b64 s[28:29], s[16:17], 3
	s_mov_b32 s27, 0
	s_add_nc_u64 s[30:31], s[8:9], s[28:29]
	s_add_nc_u64 s[28:29], s[4:5], s[28:29]
	s_load_b64 s[34:35], s[30:31], 0x0
	s_load_b64 s[36:37], s[28:29], 0x0
	s_mov_b32 s2, 0
	s_wait_kmcnt 0x0
	s_wait_xcnt 0x0
	s_add_nc_u64 s[28:29], s[34:35], s[10:11]
	s_add_nc_u64 s[30:31], s[36:37], s[6:7]
	v_mad_nc_u64_u32 v[6:7], s18, v0, s[28:29]
	v_mad_nc_u64_u32 v[8:9], s22, v0, s[30:31]
	s_delay_alu instid0(VALU_DEP_2) | instskip(NEXT) | instid1(VALU_DEP_2)
	v_mad_u32 v4, s19, v0, v7
	v_mad_u32 v5, s23, v0, v9
	v_ashrrev_i32_e32 v9, 31, v0
	s_delay_alu instid0(VALU_DEP_1) | instskip(SKIP_1) | instid1(VALU_DEP_4)
	v_mad_u32 v7, s18, v9, v4
	v_mov_b32_e32 v4, 0
	v_mad_u32 v9, s22, v9, v5
	s_delay_alu instid0(VALU_DEP_2)
	v_mov_b32_e32 v5, v4
.LBB123_5:                              ;   Parent Loop BB123_3 Depth=1
                                        ; =>  This Inner Loop Header: Depth=2
	flat_load_b64 v[18:19], v[8:9]
	flat_load_b64 v[20:21], v[6:7]
	v_add_nc_u32_e32 v0, s14, v0
	s_add_co_i32 s28, s2, 1
	s_cmp_gt_u32 s2, 30
	s_wait_xcnt 0x0
	v_add_nc_u64_e32 v[6:7], s[20:21], v[6:7]
	s_cselect_b32 s29, -1, 0
	v_add_nc_u64_e32 v[8:9], s[24:25], v[8:9]
	s_wait_loadcnt_dscnt 0x101
	v_mov_b32_e32 v24, v19
	s_wait_loadcnt_dscnt 0x0
	v_pk_mul_f32 v[22:23], v[20:21], v[18:19] op_sel_hi:[1,0]
	v_cmp_le_i32_e64 s2, s26, v0
	s_delay_alu instid0(VALU_DEP_2) | instskip(SKIP_2) | instid1(SALU_CYCLE_1)
	v_pk_fma_f32 v[18:19], v[20:21], v[18:19], v[22:23] op_sel:[1,1,0] op_sel_hi:[0,1,1] neg_lo:[0,0,1] neg_hi:[0,0,1]
	v_pk_fma_f32 v[20:21], v[20:21], v[24:25], v[22:23] op_sel:[1,0,0] op_sel_hi:[0,1,1]
	s_or_b32 s2, s29, s2
	s_and_b32 s2, exec_lo, s2
	s_delay_alu instid0(VALU_DEP_2) | instskip(SKIP_2) | instid1(VALU_DEP_1)
	v_mov_b32_e32 v21, v19
	s_or_b32 s27, s2, s27
	s_mov_b32 s2, s28
	v_pk_add_f32 v[4:5], v[4:5], v[20:21]
	s_and_not1_b32 exec_lo, exec_lo, s27
	s_cbranch_execnz .LBB123_5
; %bb.6:                                ;   in Loop: Header=BB123_3 Depth=1
	s_or_b32 exec_lo, exec_lo, s27
.LBB123_7:                              ;   in Loop: Header=BB123_3 Depth=1
	s_delay_alu instid0(SALU_CYCLE_1)
	s_or_b32 exec_lo, exec_lo, s15
	s_and_saveexec_b32 s2, vcc_lo
; %bb.8:                                ;   in Loop: Header=BB123_3 Depth=1
	ds_store_b64 v1, v[2:3]
; %bb.9:                                ;   in Loop: Header=BB123_3 Depth=1
	s_or_b32 exec_lo, exec_lo, s2
	ds_bpermute_b32 v6, v10, v4
	ds_bpermute_b32 v7, v10, v5
	s_wait_dscnt 0x0
	s_barrier_signal -1
	s_barrier_wait -1
	v_pk_add_f32 v[4:5], v[4:5], v[6:7]
	ds_bpermute_b32 v6, v11, v4
	ds_bpermute_b32 v7, v11, v5
	s_wait_dscnt 0x0
	v_pk_add_f32 v[4:5], v[4:5], v[6:7]
	ds_bpermute_b32 v6, v12, v4
	ds_bpermute_b32 v7, v12, v5
	s_wait_dscnt 0x0
	;; [unrolled: 4-line block ×3, first 2 shown]
	v_pk_add_f32 v[4:5], v[4:5], v[6:7]
	ds_bpermute_b32 v6, v14, v4
	ds_bpermute_b32 v7, v14, v5
	s_and_saveexec_b32 s2, s0
	s_cbranch_execz .LBB123_11
; %bb.10:                               ;   in Loop: Header=BB123_3 Depth=1
	s_wait_dscnt 0x0
	v_pk_add_f32 v[4:5], v[4:5], v[6:7]
	ds_store_b64 v15, v[4:5]
.LBB123_11:                             ;   in Loop: Header=BB123_3 Depth=1
	s_or_b32 exec_lo, exec_lo, s2
	v_mov_b64_e32 v[4:5], 0
	s_wait_dscnt 0x0
	s_barrier_signal -1
	s_barrier_wait -1
	s_and_saveexec_b32 s2, vcc_lo
	s_cbranch_execnz .LBB123_14
; %bb.12:                               ;   in Loop: Header=BB123_3 Depth=1
	s_or_b32 exec_lo, exec_lo, s2
	s_and_saveexec_b32 s2, vcc_lo
	s_cbranch_execnz .LBB123_15
.LBB123_13:                             ;   in Loop: Header=BB123_3 Depth=1
	s_or_b32 exec_lo, exec_lo, s2
	s_and_saveexec_b32 s2, s1
	s_cbranch_execz .LBB123_2
	s_branch .LBB123_16
.LBB123_14:                             ;   in Loop: Header=BB123_3 Depth=1
	ds_load_b64 v[4:5], v1
	s_or_b32 exec_lo, exec_lo, s2
	s_and_saveexec_b32 s2, vcc_lo
	s_cbranch_execz .LBB123_13
.LBB123_15:                             ;   in Loop: Header=BB123_3 Depth=1
	s_wait_dscnt 0x0
	ds_bpermute_b32 v6, v10, v4
	ds_bpermute_b32 v7, v10, v5
	s_wait_dscnt 0x0
	v_pk_add_f32 v[4:5], v[4:5], v[6:7]
	ds_bpermute_b32 v6, v11, v4
	ds_bpermute_b32 v7, v11, v5
	s_wait_dscnt 0x0
	v_pk_add_f32 v[4:5], v[4:5], v[6:7]
	;; [unrolled: 4-line block ×5, first 2 shown]
	s_or_b32 exec_lo, exec_lo, s2
	s_and_saveexec_b32 s2, s1
	s_cbranch_execz .LBB123_2
.LBB123_16:                             ;   in Loop: Header=BB123_3 Depth=1
	s_lshl_b64 s[28:29], s[16:17], 3
	s_delay_alu instid0(SALU_CYCLE_1)
	s_add_nc_u64 s[28:29], s[12:13], s[28:29]
	s_wait_dscnt 0x0
	global_store_b64 v16, v[4:5], s[28:29]
	s_branch .LBB123_2
.LBB123_17:
	s_endpgm
	.section	.rodata,"a",@progbits
	.p2align	6, 0x0
	.amdhsa_kernel _ZL18rocblas_dot_kernelIiLb1ELi1024ELi32ELb1E19rocblas_complex_numIfEPKPKS1_S1_EviT5_lT_lS6_lS7_liPT6_PT4_
		.amdhsa_group_segment_fixed_size 256
		.amdhsa_private_segment_fixed_size 0
		.amdhsa_kernarg_size 352
		.amdhsa_user_sgpr_count 2
		.amdhsa_user_sgpr_dispatch_ptr 0
		.amdhsa_user_sgpr_queue_ptr 0
		.amdhsa_user_sgpr_kernarg_segment_ptr 1
		.amdhsa_user_sgpr_dispatch_id 0
		.amdhsa_user_sgpr_kernarg_preload_length 0
		.amdhsa_user_sgpr_kernarg_preload_offset 0
		.amdhsa_user_sgpr_private_segment_size 0
		.amdhsa_wavefront_size32 1
		.amdhsa_uses_dynamic_stack 0
		.amdhsa_enable_private_segment 0
		.amdhsa_system_sgpr_workgroup_id_x 1
		.amdhsa_system_sgpr_workgroup_id_y 0
		.amdhsa_system_sgpr_workgroup_id_z 1
		.amdhsa_system_sgpr_workgroup_info 0
		.amdhsa_system_vgpr_workitem_id 0
		.amdhsa_next_free_vgpr 26
		.amdhsa_next_free_sgpr 38
		.amdhsa_named_barrier_count 0
		.amdhsa_reserve_vcc 1
		.amdhsa_float_round_mode_32 0
		.amdhsa_float_round_mode_16_64 0
		.amdhsa_float_denorm_mode_32 3
		.amdhsa_float_denorm_mode_16_64 3
		.amdhsa_fp16_overflow 0
		.amdhsa_memory_ordered 1
		.amdhsa_forward_progress 1
		.amdhsa_inst_pref_size 9
		.amdhsa_round_robin_scheduling 0
		.amdhsa_exception_fp_ieee_invalid_op 0
		.amdhsa_exception_fp_denorm_src 0
		.amdhsa_exception_fp_ieee_div_zero 0
		.amdhsa_exception_fp_ieee_overflow 0
		.amdhsa_exception_fp_ieee_underflow 0
		.amdhsa_exception_fp_ieee_inexact 0
		.amdhsa_exception_int_div_zero 0
	.end_amdhsa_kernel
	.section	.text._ZL18rocblas_dot_kernelIiLb1ELi1024ELi32ELb1E19rocblas_complex_numIfEPKPKS1_S1_EviT5_lT_lS6_lS7_liPT6_PT4_,"axG",@progbits,_ZL18rocblas_dot_kernelIiLb1ELi1024ELi32ELb1E19rocblas_complex_numIfEPKPKS1_S1_EviT5_lT_lS6_lS7_liPT6_PT4_,comdat
.Lfunc_end123:
	.size	_ZL18rocblas_dot_kernelIiLb1ELi1024ELi32ELb1E19rocblas_complex_numIfEPKPKS1_S1_EviT5_lT_lS6_lS7_liPT6_PT4_, .Lfunc_end123-_ZL18rocblas_dot_kernelIiLb1ELi1024ELi32ELb1E19rocblas_complex_numIfEPKPKS1_S1_EviT5_lT_lS6_lS7_liPT6_PT4_
                                        ; -- End function
	.set _ZL18rocblas_dot_kernelIiLb1ELi1024ELi32ELb1E19rocblas_complex_numIfEPKPKS1_S1_EviT5_lT_lS6_lS7_liPT6_PT4_.num_vgpr, 26
	.set _ZL18rocblas_dot_kernelIiLb1ELi1024ELi32ELb1E19rocblas_complex_numIfEPKPKS1_S1_EviT5_lT_lS6_lS7_liPT6_PT4_.num_agpr, 0
	.set _ZL18rocblas_dot_kernelIiLb1ELi1024ELi32ELb1E19rocblas_complex_numIfEPKPKS1_S1_EviT5_lT_lS6_lS7_liPT6_PT4_.numbered_sgpr, 38
	.set _ZL18rocblas_dot_kernelIiLb1ELi1024ELi32ELb1E19rocblas_complex_numIfEPKPKS1_S1_EviT5_lT_lS6_lS7_liPT6_PT4_.num_named_barrier, 0
	.set _ZL18rocblas_dot_kernelIiLb1ELi1024ELi32ELb1E19rocblas_complex_numIfEPKPKS1_S1_EviT5_lT_lS6_lS7_liPT6_PT4_.private_seg_size, 0
	.set _ZL18rocblas_dot_kernelIiLb1ELi1024ELi32ELb1E19rocblas_complex_numIfEPKPKS1_S1_EviT5_lT_lS6_lS7_liPT6_PT4_.uses_vcc, 1
	.set _ZL18rocblas_dot_kernelIiLb1ELi1024ELi32ELb1E19rocblas_complex_numIfEPKPKS1_S1_EviT5_lT_lS6_lS7_liPT6_PT4_.uses_flat_scratch, 0
	.set _ZL18rocblas_dot_kernelIiLb1ELi1024ELi32ELb1E19rocblas_complex_numIfEPKPKS1_S1_EviT5_lT_lS6_lS7_liPT6_PT4_.has_dyn_sized_stack, 0
	.set _ZL18rocblas_dot_kernelIiLb1ELi1024ELi32ELb1E19rocblas_complex_numIfEPKPKS1_S1_EviT5_lT_lS6_lS7_liPT6_PT4_.has_recursion, 0
	.set _ZL18rocblas_dot_kernelIiLb1ELi1024ELi32ELb1E19rocblas_complex_numIfEPKPKS1_S1_EviT5_lT_lS6_lS7_liPT6_PT4_.has_indirect_call, 0
	.section	.AMDGPU.csdata,"",@progbits
; Kernel info:
; codeLenInByte = 1128
; TotalNumSgprs: 40
; NumVgprs: 26
; ScratchSize: 0
; MemoryBound: 0
; FloatMode: 240
; IeeeMode: 1
; LDSByteSize: 256 bytes/workgroup (compile time only)
; SGPRBlocks: 0
; VGPRBlocks: 1
; NumSGPRsForWavesPerEU: 40
; NumVGPRsForWavesPerEU: 26
; NamedBarCnt: 0
; Occupancy: 16
; WaveLimiterHint : 0
; COMPUTE_PGM_RSRC2:SCRATCH_EN: 0
; COMPUTE_PGM_RSRC2:USER_SGPR: 2
; COMPUTE_PGM_RSRC2:TRAP_HANDLER: 0
; COMPUTE_PGM_RSRC2:TGID_X_EN: 1
; COMPUTE_PGM_RSRC2:TGID_Y_EN: 0
; COMPUTE_PGM_RSRC2:TGID_Z_EN: 1
; COMPUTE_PGM_RSRC2:TIDIG_COMP_CNT: 0
	.section	.text._ZL24rocblas_dot_kernel_magsqIiLb1ELi1024ELi32ELb1E19rocblas_complex_numIfEPKPKS1_S1_EviT5_lT_liPT6_PT4_,"axG",@progbits,_ZL24rocblas_dot_kernel_magsqIiLb1ELi1024ELi32ELb1E19rocblas_complex_numIfEPKPKS1_S1_EviT5_lT_liPT6_PT4_,comdat
	.globl	_ZL24rocblas_dot_kernel_magsqIiLb1ELi1024ELi32ELb1E19rocblas_complex_numIfEPKPKS1_S1_EviT5_lT_liPT6_PT4_ ; -- Begin function _ZL24rocblas_dot_kernel_magsqIiLb1ELi1024ELi32ELb1E19rocblas_complex_numIfEPKPKS1_S1_EviT5_lT_liPT6_PT4_
	.p2align	8
	.type	_ZL24rocblas_dot_kernel_magsqIiLb1ELi1024ELi32ELb1E19rocblas_complex_numIfEPKPKS1_S1_EviT5_lT_liPT6_PT4_,@function
_ZL24rocblas_dot_kernel_magsqIiLb1ELi1024ELi32ELb1E19rocblas_complex_numIfEPKPKS1_S1_EviT5_lT_liPT6_PT4_: ; @_ZL24rocblas_dot_kernel_magsqIiLb1ELi1024ELi32ELb1E19rocblas_complex_numIfEPKPKS1_S1_EviT5_lT_liPT6_PT4_
; %bb.0:
	s_load_b32 s3, s[0:1], 0x28
	s_bfe_u32 s2, ttmp6, 0x40014
	s_lshr_b32 s4, ttmp7, 16
	s_add_co_i32 s2, s2, 1
	s_bfe_u32 s5, ttmp6, 0x40008
	s_mul_i32 s2, s4, s2
	s_getreg_b32 s6, hwreg(HW_REG_IB_STS2, 6, 4)
	s_add_co_i32 s5, s5, s2
	s_cmp_eq_u32 s6, 0
	s_mov_b32 s13, 0
	s_cselect_b32 s12, s4, s5
	s_wait_kmcnt 0x0
	s_cmp_ge_u32 s12, s3
	s_cbranch_scc1 .LBB124_17
; %bb.1:
	v_mbcnt_lo_u32_b32 v3, -1, 0
	s_clause 0x3
	s_load_b32 s14, s[0:1], 0x18
	s_load_b96 s[8:10], s[0:1], 0x38
	s_load_b128 s[4:7], s[0:1], 0x8
	s_load_b32 s18, s[0:1], 0x0
	v_and_b32_e32 v2, 31, v0
	s_wait_xcnt 0x0
	v_cmp_eq_u32_e64 s1, 0, v0
	v_cmp_gt_u32_e64 s0, 24, v3
	v_lshl_or_b32 v8, v3, 2, 64
	v_mov_b32_e32 v14, 0
	v_cmp_gt_u32_e32 vcc_lo, 32, v0
	s_delay_alu instid0(VALU_DEP_4) | instskip(SKIP_1) | instid1(VALU_DEP_2)
	v_cndmask_b32_e64 v4, 0, 8, s0
	v_cmp_gt_u32_e64 s0, 28, v3
	v_add_lshl_u32 v9, v4, v3, 2
	s_delay_alu instid0(VALU_DEP_2)
	v_cndmask_b32_e64 v5, 0, 4, s0
	v_cmp_gt_u32_e64 s0, 30, v3
	v_lshrrev_b32_e32 v4, 2, v0
	s_wait_kmcnt 0x0
	s_ashr_i32 s15, s14, 31
	s_lshl_b32 s10, s10, 10
	v_cndmask_b32_e64 v6, 0, 2, s0
	v_cmp_ne_u32_e64 s0, 31, v3
	v_add_lshl_u32 v10, v5, v3, 2
	s_ashr_i32 s11, s10, 31
	v_and_b32_e32 v13, 0xf8, v4
	v_add_lshl_u32 v11, v6, v3, 2
	v_add_co_ci_u32_e64 v7, null, 0, v3, s0
	v_lshlrev_b32_e32 v1, 3, v2
	v_cmp_eq_u32_e64 s0, 0, v2
	v_mov_b64_e32 v[2:3], 0
	s_delay_alu instid0(VALU_DEP_4)
	v_lshlrev_b32_e32 v12, 2, v7
	s_mul_u64 s[16:17], s[14:15], s[10:11]
	s_lshl_b64 s[6:7], s[6:7], 3
	s_lshl_b64 s[14:15], s[14:15], 3
	s_lshl_b64 s[16:17], s[16:17], 3
	s_branch .LBB124_3
.LBB124_2:                              ;   in Loop: Header=BB124_3 Depth=1
	s_wait_xcnt 0x0
	s_or_b32 exec_lo, exec_lo, s2
	s_add_co_i32 s12, s12, 0x10000
	s_delay_alu instid0(SALU_CYCLE_1)
	s_cmp_lt_u32 s12, s3
	s_cbranch_scc0 .LBB124_17
.LBB124_3:                              ; =>This Loop Header: Depth=1
                                        ;     Child Loop BB124_5 Depth 2
	s_wait_dscnt 0x0
	v_dual_mov_b32 v5, 0 :: v_dual_mov_b32 v4, 0
	s_mov_b32 s11, exec_lo
	v_cmpx_gt_i32_e64 s18, v0
	s_cbranch_execz .LBB124_7
; %bb.4:                                ;   in Loop: Header=BB124_3 Depth=1
	s_lshl_b64 s[20:21], s[12:13], 3
	v_ashrrev_i32_e32 v5, 31, v0
	s_add_nc_u64 s[20:21], s[4:5], s[20:21]
	s_mov_b32 s19, 0
	s_load_b64 s[20:21], s[20:21], 0x0
	s_mov_b32 s2, 0
	s_wait_kmcnt 0x0
	s_wait_xcnt 0x0
	s_add_nc_u64 s[20:21], s[20:21], s[6:7]
	s_delay_alu instid0(SALU_CYCLE_1) | instskip(NEXT) | instid1(VALU_DEP_1)
	v_mad_nc_u64_u32 v[6:7], s14, v0, s[20:21]
	v_mad_u32 v4, s15, v0, v7
	s_delay_alu instid0(VALU_DEP_1) | instskip(SKIP_1) | instid1(VALU_DEP_1)
	v_mad_u32 v7, s14, v5, v4
	v_mov_b32_e32 v4, 0
	v_mov_b32_e32 v5, v4
.LBB124_5:                              ;   Parent Loop BB124_3 Depth=1
                                        ; =>  This Inner Loop Header: Depth=2
	flat_load_b64 v[16:17], v[6:7]
	s_add_co_i32 s20, s2, 1
	s_cmp_gt_u32 s2, 30
	s_wait_xcnt 0x0
	v_add_nc_u64_e32 v[6:7], s[16:17], v[6:7]
	s_cselect_b32 s21, -1, 0
	s_wait_loadcnt_dscnt 0x0
	v_pk_mul_f32 v[18:19], v[16:17], v[16:17] op_sel:[1,1] op_sel_hi:[0,1]
	s_delay_alu instid0(VALU_DEP_1) | instskip(SKIP_2) | instid1(VALU_DEP_3)
	v_pk_fma_f32 v[20:21], v[16:17], v[16:17], v[18:19] op_sel_hi:[0,1,1] neg_lo:[0,0,1] neg_hi:[0,0,1]
	v_add_nc_u32_e32 v0, s10, v0
	v_pk_fma_f32 v[16:17], v[16:17], v[16:17], v[18:19]
	v_mov_b32_e32 v17, v21
	s_delay_alu instid0(VALU_DEP_3) | instskip(NEXT) | instid1(VALU_DEP_2)
	v_cmp_le_i32_e64 s2, s18, v0
	v_pk_add_f32 v[4:5], v[4:5], v[16:17]
	s_or_b32 s2, s21, s2
	s_delay_alu instid0(SALU_CYCLE_1) | instskip(NEXT) | instid1(SALU_CYCLE_1)
	s_and_b32 s2, exec_lo, s2
	s_or_b32 s19, s2, s19
	s_mov_b32 s2, s20
	s_and_not1_b32 exec_lo, exec_lo, s19
	s_cbranch_execnz .LBB124_5
; %bb.6:                                ;   in Loop: Header=BB124_3 Depth=1
	s_or_b32 exec_lo, exec_lo, s19
.LBB124_7:                              ;   in Loop: Header=BB124_3 Depth=1
	s_delay_alu instid0(SALU_CYCLE_1)
	s_or_b32 exec_lo, exec_lo, s11
	s_and_saveexec_b32 s2, vcc_lo
; %bb.8:                                ;   in Loop: Header=BB124_3 Depth=1
	ds_store_b64 v1, v[2:3]
; %bb.9:                                ;   in Loop: Header=BB124_3 Depth=1
	s_or_b32 exec_lo, exec_lo, s2
	ds_bpermute_b32 v6, v8, v4
	ds_bpermute_b32 v7, v8, v5
	s_wait_dscnt 0x0
	s_barrier_signal -1
	s_barrier_wait -1
	v_pk_add_f32 v[4:5], v[4:5], v[6:7]
	ds_bpermute_b32 v6, v9, v4
	ds_bpermute_b32 v7, v9, v5
	s_wait_dscnt 0x0
	v_pk_add_f32 v[4:5], v[4:5], v[6:7]
	ds_bpermute_b32 v6, v10, v4
	ds_bpermute_b32 v7, v10, v5
	s_wait_dscnt 0x0
	;; [unrolled: 4-line block ×3, first 2 shown]
	v_pk_add_f32 v[4:5], v[4:5], v[6:7]
	ds_bpermute_b32 v6, v12, v4
	ds_bpermute_b32 v7, v12, v5
	s_and_saveexec_b32 s2, s0
	s_cbranch_execz .LBB124_11
; %bb.10:                               ;   in Loop: Header=BB124_3 Depth=1
	s_wait_dscnt 0x0
	v_pk_add_f32 v[4:5], v[4:5], v[6:7]
	ds_store_b64 v13, v[4:5]
.LBB124_11:                             ;   in Loop: Header=BB124_3 Depth=1
	s_or_b32 exec_lo, exec_lo, s2
	v_mov_b64_e32 v[4:5], 0
	s_wait_dscnt 0x0
	s_barrier_signal -1
	s_barrier_wait -1
	s_and_saveexec_b32 s2, vcc_lo
	s_cbranch_execnz .LBB124_14
; %bb.12:                               ;   in Loop: Header=BB124_3 Depth=1
	s_or_b32 exec_lo, exec_lo, s2
	s_and_saveexec_b32 s2, vcc_lo
	s_cbranch_execnz .LBB124_15
.LBB124_13:                             ;   in Loop: Header=BB124_3 Depth=1
	s_or_b32 exec_lo, exec_lo, s2
	s_and_saveexec_b32 s2, s1
	s_cbranch_execz .LBB124_2
	s_branch .LBB124_16
.LBB124_14:                             ;   in Loop: Header=BB124_3 Depth=1
	ds_load_b64 v[4:5], v1
	s_or_b32 exec_lo, exec_lo, s2
	s_and_saveexec_b32 s2, vcc_lo
	s_cbranch_execz .LBB124_13
.LBB124_15:                             ;   in Loop: Header=BB124_3 Depth=1
	s_wait_dscnt 0x0
	ds_bpermute_b32 v6, v8, v4
	ds_bpermute_b32 v7, v8, v5
	s_wait_dscnt 0x0
	v_pk_add_f32 v[4:5], v[4:5], v[6:7]
	ds_bpermute_b32 v6, v9, v4
	ds_bpermute_b32 v7, v9, v5
	s_wait_dscnt 0x0
	v_pk_add_f32 v[4:5], v[4:5], v[6:7]
	;; [unrolled: 4-line block ×5, first 2 shown]
	s_or_b32 exec_lo, exec_lo, s2
	s_and_saveexec_b32 s2, s1
	s_cbranch_execz .LBB124_2
.LBB124_16:                             ;   in Loop: Header=BB124_3 Depth=1
	s_lshl_b64 s[20:21], s[12:13], 3
	s_delay_alu instid0(SALU_CYCLE_1)
	s_add_nc_u64 s[20:21], s[8:9], s[20:21]
	s_wait_dscnt 0x0
	global_store_b64 v14, v[4:5], s[20:21]
	s_branch .LBB124_2
.LBB124_17:
	s_endpgm
	.section	.rodata,"a",@progbits
	.p2align	6, 0x0
	.amdhsa_kernel _ZL24rocblas_dot_kernel_magsqIiLb1ELi1024ELi32ELb1E19rocblas_complex_numIfEPKPKS1_S1_EviT5_lT_liPT6_PT4_
		.amdhsa_group_segment_fixed_size 256
		.amdhsa_private_segment_fixed_size 0
		.amdhsa_kernarg_size 320
		.amdhsa_user_sgpr_count 2
		.amdhsa_user_sgpr_dispatch_ptr 0
		.amdhsa_user_sgpr_queue_ptr 0
		.amdhsa_user_sgpr_kernarg_segment_ptr 1
		.amdhsa_user_sgpr_dispatch_id 0
		.amdhsa_user_sgpr_kernarg_preload_length 0
		.amdhsa_user_sgpr_kernarg_preload_offset 0
		.amdhsa_user_sgpr_private_segment_size 0
		.amdhsa_wavefront_size32 1
		.amdhsa_uses_dynamic_stack 0
		.amdhsa_enable_private_segment 0
		.amdhsa_system_sgpr_workgroup_id_x 1
		.amdhsa_system_sgpr_workgroup_id_y 0
		.amdhsa_system_sgpr_workgroup_id_z 1
		.amdhsa_system_sgpr_workgroup_info 0
		.amdhsa_system_vgpr_workitem_id 0
		.amdhsa_next_free_vgpr 22
		.amdhsa_next_free_sgpr 22
		.amdhsa_named_barrier_count 0
		.amdhsa_reserve_vcc 1
		.amdhsa_float_round_mode_32 0
		.amdhsa_float_round_mode_16_64 0
		.amdhsa_float_denorm_mode_32 3
		.amdhsa_float_denorm_mode_16_64 3
		.amdhsa_fp16_overflow 0
		.amdhsa_memory_ordered 1
		.amdhsa_forward_progress 1
		.amdhsa_inst_pref_size 9
		.amdhsa_round_robin_scheduling 0
		.amdhsa_exception_fp_ieee_invalid_op 0
		.amdhsa_exception_fp_denorm_src 0
		.amdhsa_exception_fp_ieee_div_zero 0
		.amdhsa_exception_fp_ieee_overflow 0
		.amdhsa_exception_fp_ieee_underflow 0
		.amdhsa_exception_fp_ieee_inexact 0
		.amdhsa_exception_int_div_zero 0
	.end_amdhsa_kernel
	.section	.text._ZL24rocblas_dot_kernel_magsqIiLb1ELi1024ELi32ELb1E19rocblas_complex_numIfEPKPKS1_S1_EviT5_lT_liPT6_PT4_,"axG",@progbits,_ZL24rocblas_dot_kernel_magsqIiLb1ELi1024ELi32ELb1E19rocblas_complex_numIfEPKPKS1_S1_EviT5_lT_liPT6_PT4_,comdat
.Lfunc_end124:
	.size	_ZL24rocblas_dot_kernel_magsqIiLb1ELi1024ELi32ELb1E19rocblas_complex_numIfEPKPKS1_S1_EviT5_lT_liPT6_PT4_, .Lfunc_end124-_ZL24rocblas_dot_kernel_magsqIiLb1ELi1024ELi32ELb1E19rocblas_complex_numIfEPKPKS1_S1_EviT5_lT_liPT6_PT4_
                                        ; -- End function
	.set _ZL24rocblas_dot_kernel_magsqIiLb1ELi1024ELi32ELb1E19rocblas_complex_numIfEPKPKS1_S1_EviT5_lT_liPT6_PT4_.num_vgpr, 22
	.set _ZL24rocblas_dot_kernel_magsqIiLb1ELi1024ELi32ELb1E19rocblas_complex_numIfEPKPKS1_S1_EviT5_lT_liPT6_PT4_.num_agpr, 0
	.set _ZL24rocblas_dot_kernel_magsqIiLb1ELi1024ELi32ELb1E19rocblas_complex_numIfEPKPKS1_S1_EviT5_lT_liPT6_PT4_.numbered_sgpr, 22
	.set _ZL24rocblas_dot_kernel_magsqIiLb1ELi1024ELi32ELb1E19rocblas_complex_numIfEPKPKS1_S1_EviT5_lT_liPT6_PT4_.num_named_barrier, 0
	.set _ZL24rocblas_dot_kernel_magsqIiLb1ELi1024ELi32ELb1E19rocblas_complex_numIfEPKPKS1_S1_EviT5_lT_liPT6_PT4_.private_seg_size, 0
	.set _ZL24rocblas_dot_kernel_magsqIiLb1ELi1024ELi32ELb1E19rocblas_complex_numIfEPKPKS1_S1_EviT5_lT_liPT6_PT4_.uses_vcc, 1
	.set _ZL24rocblas_dot_kernel_magsqIiLb1ELi1024ELi32ELb1E19rocblas_complex_numIfEPKPKS1_S1_EviT5_lT_liPT6_PT4_.uses_flat_scratch, 0
	.set _ZL24rocblas_dot_kernel_magsqIiLb1ELi1024ELi32ELb1E19rocblas_complex_numIfEPKPKS1_S1_EviT5_lT_liPT6_PT4_.has_dyn_sized_stack, 0
	.set _ZL24rocblas_dot_kernel_magsqIiLb1ELi1024ELi32ELb1E19rocblas_complex_numIfEPKPKS1_S1_EviT5_lT_liPT6_PT4_.has_recursion, 0
	.set _ZL24rocblas_dot_kernel_magsqIiLb1ELi1024ELi32ELb1E19rocblas_complex_numIfEPKPKS1_S1_EviT5_lT_liPT6_PT4_.has_indirect_call, 0
	.section	.AMDGPU.csdata,"",@progbits
; Kernel info:
; codeLenInByte = 1028
; TotalNumSgprs: 24
; NumVgprs: 22
; ScratchSize: 0
; MemoryBound: 0
; FloatMode: 240
; IeeeMode: 1
; LDSByteSize: 256 bytes/workgroup (compile time only)
; SGPRBlocks: 0
; VGPRBlocks: 1
; NumSGPRsForWavesPerEU: 24
; NumVGPRsForWavesPerEU: 22
; NamedBarCnt: 0
; Occupancy: 16
; WaveLimiterHint : 0
; COMPUTE_PGM_RSRC2:SCRATCH_EN: 0
; COMPUTE_PGM_RSRC2:USER_SGPR: 2
; COMPUTE_PGM_RSRC2:TRAP_HANDLER: 0
; COMPUTE_PGM_RSRC2:TGID_X_EN: 1
; COMPUTE_PGM_RSRC2:TGID_Y_EN: 0
; COMPUTE_PGM_RSRC2:TGID_Z_EN: 1
; COMPUTE_PGM_RSRC2:TIDIG_COMP_CNT: 0
	.section	.text._ZL23rocblas_dot_kernel_inc1ILb0ELi512ELi2ELb1E19rocblas_complex_numIfEPKPKS1_S1_EviT4_llS6_lliPT5_PT3_,"axG",@progbits,_ZL23rocblas_dot_kernel_inc1ILb0ELi512ELi2ELb1E19rocblas_complex_numIfEPKPKS1_S1_EviT4_llS6_lliPT5_PT3_,comdat
	.globl	_ZL23rocblas_dot_kernel_inc1ILb0ELi512ELi2ELb1E19rocblas_complex_numIfEPKPKS1_S1_EviT4_llS6_lliPT5_PT3_ ; -- Begin function _ZL23rocblas_dot_kernel_inc1ILb0ELi512ELi2ELb1E19rocblas_complex_numIfEPKPKS1_S1_EviT4_llS6_lliPT5_PT3_
	.p2align	8
	.type	_ZL23rocblas_dot_kernel_inc1ILb0ELi512ELi2ELb1E19rocblas_complex_numIfEPKPKS1_S1_EviT4_llS6_lliPT5_PT3_,@function
_ZL23rocblas_dot_kernel_inc1ILb0ELi512ELi2ELb1E19rocblas_complex_numIfEPKPKS1_S1_EviT4_llS6_lliPT5_PT3_: ; @_ZL23rocblas_dot_kernel_inc1ILb0ELi512ELi2ELb1E19rocblas_complex_numIfEPKPKS1_S1_EviT4_llS6_lliPT5_PT3_
; %bb.0:
	s_load_b32 s28, s[0:1], 0x38
	s_bfe_u32 s2, ttmp6, 0x40014
	s_lshr_b32 s3, ttmp7, 16
	s_add_co_i32 s2, s2, 1
	s_bfe_u32 s5, ttmp6, 0x40008
	s_mul_i32 s4, s3, s2
	s_getreg_b32 s2, hwreg(HW_REG_IB_STS2, 6, 4)
	s_add_co_i32 s5, s5, s4
	s_cmp_eq_u32 s2, 0
	s_mov_b32 s17, 0
	s_cselect_b32 s16, s3, s5
	s_wait_kmcnt 0x0
	s_cmp_ge_u32 s16, s28
	s_cbranch_scc1 .LBB125_21
; %bb.1:
	v_mbcnt_lo_u32_b32 v3, -1, 0
	s_clause 0x4
	s_load_b32 s18, s[0:1], 0x50
	s_load_b128 s[4:7], s[0:1], 0x40
	s_load_b128 s[8:11], s[0:1], 0x20
	;; [unrolled: 1-line block ×3, first 2 shown]
	s_load_b32 s29, s[0:1], 0x0
	s_bfe_u32 s3, ttmp6, 0x4000c
	s_wait_xcnt 0x0
	s_and_b32 s1, ttmp6, 15
	s_add_co_i32 s3, s3, 1
	v_cmp_gt_u32_e32 vcc_lo, 24, v3
	s_mul_i32 s3, ttmp9, s3
	v_and_b32_e32 v1, 31, v0
	s_add_co_i32 s1, s1, s3
	s_cmp_eq_u32 s2, 0
	v_cndmask_b32_e64 v4, 0, 8, vcc_lo
	v_cmp_gt_u32_e32 vcc_lo, 28, v3
	s_cselect_b32 s22, ttmp9, s1
	v_cmp_gt_u32_e64 s0, 32, v0
	v_lshl_or_b32 v2, s22, 9, v0
	v_add_lshl_u32 v10, v4, v3, 2
	v_cndmask_b32_e64 v5, 0, 4, vcc_lo
	v_cmp_gt_u32_e32 vcc_lo, 30, v3
	v_lshrrev_b32_e32 v4, 2, v0
	s_wait_kmcnt 0x0
	s_cmp_lg_u32 s18, 1
	v_cmp_eq_u32_e64 s1, 0, v1
	v_cmp_gt_u32_e64 s2, 16, v0
	v_cndmask_b32_e64 v6, 0, 2, vcc_lo
	v_cmp_ne_u32_e32 vcc_lo, 31, v3
	v_cmp_eq_u32_e64 s3, 0, v0
	s_cselect_b32 s30, -1, 0
	s_lshl_b32 s20, s18, 9
	s_mov_b32 s23, s17
	v_add_co_ci_u32_e64 v7, null, 0, v3, vcc_lo
	v_lshlrev_b32_e32 v8, 3, v1
	v_mov_b64_e32 v[0:1], 0
	v_lshl_or_b32 v9, v3, 2, 64
	v_add_lshl_u32 v11, v5, v3, 2
	v_add_lshl_u32 v12, v6, v3, 2
	v_lshlrev_b32_e32 v13, 2, v7
	v_and_b32_e32 v14, 0x78, v4
	v_mov_b32_e32 v15, 0
	s_lshl_b64 s[22:23], s[22:23], 3
	s_ashr_i32 s21, s20, 31
	s_mov_b32 s19, s17
	s_add_nc_u64 s[4:5], s[4:5], s[22:23]
	s_lshl_b64 s[14:15], s[14:15], 3
	s_lshl_b64 s[10:11], s[10:11], 3
	;; [unrolled: 1-line block ×3, first 2 shown]
	s_branch .LBB125_4
.LBB125_2:                              ;   in Loop: Header=BB125_4 Depth=1
	s_wait_dscnt 0x0
	global_store_b32 v15, v5, s[24:25] offset:4
.LBB125_3:                              ;   in Loop: Header=BB125_4 Depth=1
	s_wait_xcnt 0x0
	s_or_b32 exec_lo, exec_lo, s21
	s_add_co_i32 s16, s16, 0x10000
	s_delay_alu instid0(SALU_CYCLE_1)
	s_cmp_lt_u32 s16, s28
	s_cbranch_scc0 .LBB125_21
.LBB125_4:                              ; =>This Inner Loop Header: Depth=1
	s_wait_dscnt 0x0
	v_dual_mov_b32 v4, 0 :: v_dual_mov_b32 v5, 0
	s_mov_b32 s21, exec_lo
	v_cmpx_gt_i32_e64 s29, v2
	s_cbranch_execz .LBB125_8
; %bb.5:                                ;   in Loop: Header=BB125_4 Depth=1
	s_lshl_b64 s[24:25], s[16:17], 3
	s_mov_b32 s31, exec_lo
	s_add_nc_u64 s[26:27], s[8:9], s[24:25]
	s_add_nc_u64 s[24:25], s[12:13], s[24:25]
	s_load_b64 s[34:35], s[26:27], 0x0
	s_load_b64 s[36:37], s[24:25], 0x0
	s_wait_kmcnt 0x0
	s_wait_xcnt 0x0
	s_add_nc_u64 s[24:25], s[34:35], s[10:11]
	s_add_nc_u64 s[26:27], s[36:37], s[14:15]
	s_clause 0x1
	flat_load_b64 v[4:5], v2, s[24:25] scale_offset
	flat_load_b64 v[6:7], v2, s[26:27] scale_offset
	s_wait_loadcnt_dscnt 0x101
	v_mov_b32_e32 v18, v5
	s_wait_loadcnt_dscnt 0x0
	v_pk_mul_f32 v[16:17], v[6:7], v[4:5] op_sel_hi:[1,0]
	s_delay_alu instid0(VALU_DEP_1) | instskip(NEXT) | instid1(VALU_DEP_3)
	v_pk_fma_f32 v[4:5], v[6:7], v[4:5], v[16:17] op_sel:[1,1,0] op_sel_hi:[0,1,1] neg_lo:[0,0,1] neg_hi:[0,0,1]
	v_pk_fma_f32 v[16:17], v[6:7], v[18:19], v[16:17] op_sel:[1,0,0] op_sel_hi:[0,1,1]
	s_delay_alu instid0(VALU_DEP_2) | instskip(NEXT) | instid1(VALU_DEP_1)
	v_dual_mov_b32 v17, v5 :: v_dual_add_nc_u32 v6, s20, v2
	v_pk_add_f32 v[4:5], v[16:17], 0 op_sel_hi:[1,0]
	s_wait_xcnt 0x0
	s_delay_alu instid0(VALU_DEP_2)
	v_cmpx_gt_i32_e64 s29, v6
	s_cbranch_execz .LBB125_7
; %bb.6:                                ;   in Loop: Header=BB125_4 Depth=1
	v_ashrrev_i32_e32 v3, 31, v2
	v_add_nc_u32_e32 v6, s20, v6
	s_delay_alu instid0(VALU_DEP_2) | instskip(NEXT) | instid1(VALU_DEP_1)
	v_lshlrev_b64_e32 v[2:3], 3, v[2:3]
	v_add_nc_u64_e32 v[16:17], s[26:27], v[2:3]
	v_add_nc_u64_e32 v[2:3], s[24:25], v[2:3]
	s_delay_alu instid0(VALU_DEP_2) | instskip(NEXT) | instid1(VALU_DEP_2)
	v_add_nc_u64_e32 v[16:17], s[22:23], v[16:17]
	v_add_nc_u64_e32 v[2:3], s[22:23], v[2:3]
	flat_load_b64 v[18:19], v[16:17]
	flat_load_b64 v[20:21], v[2:3]
	s_wait_loadcnt_dscnt 0x0
	s_wait_xcnt 0x0
	v_pk_mul_f32 v[2:3], v[18:19], v[20:21] op_sel_hi:[1,0]
	v_mov_b32_e32 v16, v21
	s_delay_alu instid0(VALU_DEP_2) | instskip(NEXT) | instid1(VALU_DEP_2)
	v_pk_fma_f32 v[20:21], v[18:19], v[20:21], v[2:3] op_sel:[1,1,0] op_sel_hi:[0,1,1] neg_lo:[0,0,1] neg_hi:[0,0,1]
	v_pk_fma_f32 v[2:3], v[18:19], v[16:17], v[2:3] op_sel:[1,0,0] op_sel_hi:[0,1,1]
	s_delay_alu instid0(VALU_DEP_2) | instskip(NEXT) | instid1(VALU_DEP_1)
	v_mov_b32_e32 v3, v21
	v_pk_add_f32 v[4:5], v[4:5], v[2:3]
.LBB125_7:                              ;   in Loop: Header=BB125_4 Depth=1
	s_or_b32 exec_lo, exec_lo, s31
	v_mov_b32_e32 v2, v6
.LBB125_8:                              ;   in Loop: Header=BB125_4 Depth=1
	s_or_b32 exec_lo, exec_lo, s21
	s_and_saveexec_b32 s21, s0
; %bb.9:                                ;   in Loop: Header=BB125_4 Depth=1
	ds_store_b64 v8, v[0:1]
; %bb.10:                               ;   in Loop: Header=BB125_4 Depth=1
	s_or_b32 exec_lo, exec_lo, s21
	ds_bpermute_b32 v6, v9, v4
	ds_bpermute_b32 v7, v9, v5
	s_wait_dscnt 0x0
	s_barrier_signal -1
	s_barrier_wait -1
	v_pk_add_f32 v[4:5], v[4:5], v[6:7]
	ds_bpermute_b32 v6, v10, v4
	ds_bpermute_b32 v7, v10, v5
	s_wait_dscnt 0x0
	v_pk_add_f32 v[4:5], v[4:5], v[6:7]
	ds_bpermute_b32 v6, v11, v4
	ds_bpermute_b32 v7, v11, v5
	s_wait_dscnt 0x0
	;; [unrolled: 4-line block ×3, first 2 shown]
	v_pk_add_f32 v[4:5], v[4:5], v[6:7]
	ds_bpermute_b32 v6, v13, v4
	ds_bpermute_b32 v7, v13, v5
	s_and_saveexec_b32 s21, s1
	s_cbranch_execz .LBB125_12
; %bb.11:                               ;   in Loop: Header=BB125_4 Depth=1
	s_wait_dscnt 0x0
	v_pk_add_f32 v[4:5], v[4:5], v[6:7]
	ds_store_b64 v14, v[4:5]
.LBB125_12:                             ;   in Loop: Header=BB125_4 Depth=1
	s_or_b32 exec_lo, exec_lo, s21
	v_mov_b64_e32 v[4:5], 0
	s_wait_dscnt 0x0
	s_barrier_signal -1
	s_barrier_wait -1
	s_and_saveexec_b32 s21, s2
	s_cbranch_execnz .LBB125_15
; %bb.13:                               ;   in Loop: Header=BB125_4 Depth=1
	s_or_b32 exec_lo, exec_lo, s21
	s_and_saveexec_b32 s21, s0
	s_cbranch_execnz .LBB125_16
.LBB125_14:                             ;   in Loop: Header=BB125_4 Depth=1
	s_or_b32 exec_lo, exec_lo, s21
	s_and_saveexec_b32 s21, s3
	s_cbranch_execz .LBB125_3
	s_branch .LBB125_17
.LBB125_15:                             ;   in Loop: Header=BB125_4 Depth=1
	ds_load_b64 v[4:5], v8
	s_or_b32 exec_lo, exec_lo, s21
	s_and_saveexec_b32 s21, s0
	s_cbranch_execz .LBB125_14
.LBB125_16:                             ;   in Loop: Header=BB125_4 Depth=1
	s_wait_dscnt 0x0
	ds_bpermute_b32 v6, v10, v4
	ds_bpermute_b32 v7, v10, v5
	s_wait_dscnt 0x0
	v_pk_add_f32 v[4:5], v[4:5], v[6:7]
	ds_bpermute_b32 v6, v11, v4
	ds_bpermute_b32 v7, v11, v5
	s_wait_dscnt 0x0
	v_pk_add_f32 v[4:5], v[4:5], v[6:7]
	;; [unrolled: 4-line block ×4, first 2 shown]
	s_or_b32 exec_lo, exec_lo, s21
	s_and_saveexec_b32 s21, s3
	s_cbranch_execz .LBB125_3
.LBB125_17:                             ;   in Loop: Header=BB125_4 Depth=1
	s_and_b32 vcc_lo, exec_lo, s30
	s_mov_b32 s26, -1
                                        ; implicit-def: $sgpr24_sgpr25
	s_cbranch_vccz .LBB125_19
; %bb.18:                               ;   in Loop: Header=BB125_4 Depth=1
	s_mul_u64 s[24:25], s[18:19], s[16:17]
	s_mov_b32 s26, 0
	s_lshl_b64 s[24:25], s[24:25], 3
	s_delay_alu instid0(SALU_CYCLE_1)
	s_add_nc_u64 s[24:25], s[4:5], s[24:25]
	s_wait_dscnt 0x0
	global_store_b32 v15, v4, s[24:25]
.LBB125_19:                             ;   in Loop: Header=BB125_4 Depth=1
	s_and_not1_b32 vcc_lo, exec_lo, s26
	s_cbranch_vccnz .LBB125_2
; %bb.20:                               ;   in Loop: Header=BB125_4 Depth=1
	s_wait_xcnt 0x0
	s_lshl_b64 s[24:25], s[16:17], 3
	s_delay_alu instid0(SALU_CYCLE_1)
	s_add_nc_u64 s[24:25], s[6:7], s[24:25]
	s_wait_dscnt 0x0
	global_store_b32 v15, v4, s[24:25]
	s_branch .LBB125_2
.LBB125_21:
	s_endpgm
	.section	.rodata,"a",@progbits
	.p2align	6, 0x0
	.amdhsa_kernel _ZL23rocblas_dot_kernel_inc1ILb0ELi512ELi2ELb1E19rocblas_complex_numIfEPKPKS1_S1_EviT4_llS6_lliPT5_PT3_
		.amdhsa_group_segment_fixed_size 256
		.amdhsa_private_segment_fixed_size 0
		.amdhsa_kernarg_size 336
		.amdhsa_user_sgpr_count 2
		.amdhsa_user_sgpr_dispatch_ptr 0
		.amdhsa_user_sgpr_queue_ptr 0
		.amdhsa_user_sgpr_kernarg_segment_ptr 1
		.amdhsa_user_sgpr_dispatch_id 0
		.amdhsa_user_sgpr_kernarg_preload_length 0
		.amdhsa_user_sgpr_kernarg_preload_offset 0
		.amdhsa_user_sgpr_private_segment_size 0
		.amdhsa_wavefront_size32 1
		.amdhsa_uses_dynamic_stack 0
		.amdhsa_enable_private_segment 0
		.amdhsa_system_sgpr_workgroup_id_x 1
		.amdhsa_system_sgpr_workgroup_id_y 0
		.amdhsa_system_sgpr_workgroup_id_z 1
		.amdhsa_system_sgpr_workgroup_info 0
		.amdhsa_system_vgpr_workitem_id 0
		.amdhsa_next_free_vgpr 22
		.amdhsa_next_free_sgpr 38
		.amdhsa_named_barrier_count 0
		.amdhsa_reserve_vcc 1
		.amdhsa_float_round_mode_32 0
		.amdhsa_float_round_mode_16_64 0
		.amdhsa_float_denorm_mode_32 3
		.amdhsa_float_denorm_mode_16_64 3
		.amdhsa_fp16_overflow 0
		.amdhsa_memory_ordered 1
		.amdhsa_forward_progress 1
		.amdhsa_inst_pref_size 10
		.amdhsa_round_robin_scheduling 0
		.amdhsa_exception_fp_ieee_invalid_op 0
		.amdhsa_exception_fp_denorm_src 0
		.amdhsa_exception_fp_ieee_div_zero 0
		.amdhsa_exception_fp_ieee_overflow 0
		.amdhsa_exception_fp_ieee_underflow 0
		.amdhsa_exception_fp_ieee_inexact 0
		.amdhsa_exception_int_div_zero 0
	.end_amdhsa_kernel
	.section	.text._ZL23rocblas_dot_kernel_inc1ILb0ELi512ELi2ELb1E19rocblas_complex_numIfEPKPKS1_S1_EviT4_llS6_lliPT5_PT3_,"axG",@progbits,_ZL23rocblas_dot_kernel_inc1ILb0ELi512ELi2ELb1E19rocblas_complex_numIfEPKPKS1_S1_EviT4_llS6_lliPT5_PT3_,comdat
.Lfunc_end125:
	.size	_ZL23rocblas_dot_kernel_inc1ILb0ELi512ELi2ELb1E19rocblas_complex_numIfEPKPKS1_S1_EviT4_llS6_lliPT5_PT3_, .Lfunc_end125-_ZL23rocblas_dot_kernel_inc1ILb0ELi512ELi2ELb1E19rocblas_complex_numIfEPKPKS1_S1_EviT4_llS6_lliPT5_PT3_
                                        ; -- End function
	.set _ZL23rocblas_dot_kernel_inc1ILb0ELi512ELi2ELb1E19rocblas_complex_numIfEPKPKS1_S1_EviT4_llS6_lliPT5_PT3_.num_vgpr, 22
	.set _ZL23rocblas_dot_kernel_inc1ILb0ELi512ELi2ELb1E19rocblas_complex_numIfEPKPKS1_S1_EviT4_llS6_lliPT5_PT3_.num_agpr, 0
	.set _ZL23rocblas_dot_kernel_inc1ILb0ELi512ELi2ELb1E19rocblas_complex_numIfEPKPKS1_S1_EviT4_llS6_lliPT5_PT3_.numbered_sgpr, 38
	.set _ZL23rocblas_dot_kernel_inc1ILb0ELi512ELi2ELb1E19rocblas_complex_numIfEPKPKS1_S1_EviT4_llS6_lliPT5_PT3_.num_named_barrier, 0
	.set _ZL23rocblas_dot_kernel_inc1ILb0ELi512ELi2ELb1E19rocblas_complex_numIfEPKPKS1_S1_EviT4_llS6_lliPT5_PT3_.private_seg_size, 0
	.set _ZL23rocblas_dot_kernel_inc1ILb0ELi512ELi2ELb1E19rocblas_complex_numIfEPKPKS1_S1_EviT4_llS6_lliPT5_PT3_.uses_vcc, 1
	.set _ZL23rocblas_dot_kernel_inc1ILb0ELi512ELi2ELb1E19rocblas_complex_numIfEPKPKS1_S1_EviT4_llS6_lliPT5_PT3_.uses_flat_scratch, 1
	.set _ZL23rocblas_dot_kernel_inc1ILb0ELi512ELi2ELb1E19rocblas_complex_numIfEPKPKS1_S1_EviT4_llS6_lliPT5_PT3_.has_dyn_sized_stack, 0
	.set _ZL23rocblas_dot_kernel_inc1ILb0ELi512ELi2ELb1E19rocblas_complex_numIfEPKPKS1_S1_EviT4_llS6_lliPT5_PT3_.has_recursion, 0
	.set _ZL23rocblas_dot_kernel_inc1ILb0ELi512ELi2ELb1E19rocblas_complex_numIfEPKPKS1_S1_EviT4_llS6_lliPT5_PT3_.has_indirect_call, 0
	.section	.AMDGPU.csdata,"",@progbits
; Kernel info:
; codeLenInByte = 1196
; TotalNumSgprs: 40
; NumVgprs: 22
; ScratchSize: 0
; MemoryBound: 0
; FloatMode: 240
; IeeeMode: 1
; LDSByteSize: 256 bytes/workgroup (compile time only)
; SGPRBlocks: 0
; VGPRBlocks: 1
; NumSGPRsForWavesPerEU: 40
; NumVGPRsForWavesPerEU: 22
; NamedBarCnt: 0
; Occupancy: 16
; WaveLimiterHint : 1
; COMPUTE_PGM_RSRC2:SCRATCH_EN: 0
; COMPUTE_PGM_RSRC2:USER_SGPR: 2
; COMPUTE_PGM_RSRC2:TRAP_HANDLER: 0
; COMPUTE_PGM_RSRC2:TGID_X_EN: 1
; COMPUTE_PGM_RSRC2:TGID_Y_EN: 0
; COMPUTE_PGM_RSRC2:TGID_Z_EN: 1
; COMPUTE_PGM_RSRC2:TIDIG_COMP_CNT: 0
	.section	.text._ZL18rocblas_dot_kernelIiLb0ELi512ELi2ELb1E19rocblas_complex_numIfEPKPKS1_S1_EviT5_lT_lS6_lS7_liPT6_PT4_,"axG",@progbits,_ZL18rocblas_dot_kernelIiLb0ELi512ELi2ELb1E19rocblas_complex_numIfEPKPKS1_S1_EviT5_lT_lS6_lS7_liPT6_PT4_,comdat
	.globl	_ZL18rocblas_dot_kernelIiLb0ELi512ELi2ELb1E19rocblas_complex_numIfEPKPKS1_S1_EviT5_lT_lS6_lS7_liPT6_PT4_ ; -- Begin function _ZL18rocblas_dot_kernelIiLb0ELi512ELi2ELb1E19rocblas_complex_numIfEPKPKS1_S1_EviT5_lT_lS6_lS7_liPT6_PT4_
	.p2align	8
	.type	_ZL18rocblas_dot_kernelIiLb0ELi512ELi2ELb1E19rocblas_complex_numIfEPKPKS1_S1_EviT5_lT_lS6_lS7_liPT6_PT4_,@function
_ZL18rocblas_dot_kernelIiLb0ELi512ELi2ELb1E19rocblas_complex_numIfEPKPKS1_S1_EviT5_lT_lS6_lS7_liPT6_PT4_: ; @_ZL18rocblas_dot_kernelIiLb0ELi512ELi2ELb1E19rocblas_complex_numIfEPKPKS1_S1_EviT5_lT_lS6_lS7_liPT6_PT4_
; %bb.0:
	s_load_b32 s28, s[0:1], 0x48
	s_bfe_u32 s2, ttmp6, 0x40014
	s_lshr_b32 s3, ttmp7, 16
	s_add_co_i32 s2, s2, 1
	s_bfe_u32 s5, ttmp6, 0x40008
	s_mul_i32 s4, s3, s2
	s_getreg_b32 s2, hwreg(HW_REG_IB_STS2, 6, 4)
	s_add_co_i32 s5, s5, s4
	s_cmp_eq_u32 s2, 0
	s_mov_b32 s17, 0
	s_cselect_b32 s16, s3, s5
	s_wait_kmcnt 0x0
	s_cmp_ge_u32 s16, s28
	s_cbranch_scc1 .LBB126_21
; %bb.1:
	v_mbcnt_lo_u32_b32 v3, -1, 0
	s_clause 0x6
	s_load_b32 s18, s[0:1], 0x18
	s_load_b32 s20, s[0:1], 0x38
	;; [unrolled: 1-line block ×3, first 2 shown]
	s_load_b128 s[4:7], s[0:1], 0x50
	s_load_b128 s[8:11], s[0:1], 0x28
	;; [unrolled: 1-line block ×3, first 2 shown]
	s_load_b32 s29, s[0:1], 0x0
	s_bfe_u32 s3, ttmp6, 0x4000c
	s_wait_xcnt 0x0
	s_and_b32 s1, ttmp6, 15
	s_add_co_i32 s3, s3, 1
	v_cmp_gt_u32_e32 vcc_lo, 24, v3
	s_mul_i32 s3, ttmp9, s3
	v_and_b32_e32 v1, 31, v0
	s_add_co_i32 s1, s1, s3
	v_cmp_gt_u32_e64 s0, 32, v0
	v_cndmask_b32_e64 v4, 0, 8, vcc_lo
	v_cmp_gt_u32_e32 vcc_lo, 28, v3
	v_cmp_eq_u32_e64 s3, 0, v0
	s_mov_b32 s25, s17
	v_lshl_or_b32 v9, v3, 2, 64
	s_wait_kmcnt 0x0
	s_ashr_i32 s19, s18, 31
	v_cndmask_b32_e64 v5, 0, 4, vcc_lo
	v_cmp_gt_u32_e32 vcc_lo, 30, v3
	s_ashr_i32 s21, s20, 31
	s_cmp_eq_u32 s2, 0
	v_add_lshl_u32 v10, v4, v3, 2
	v_lshrrev_b32_e32 v4, 2, v0
	v_cndmask_b32_e64 v6, 0, 2, vcc_lo
	v_cmp_ne_u32_e32 vcc_lo, 31, v3
	s_cselect_b32 s24, ttmp9, s1
	v_cmp_eq_u32_e64 s1, 0, v1
	v_lshl_or_b32 v2, s24, 9, v0
	v_cmp_gt_u32_e64 s2, 16, v0
	v_add_co_ci_u32_e64 v7, null, 0, v3, vcc_lo
	v_lshlrev_b32_e32 v8, 3, v1
	v_mov_b64_e32 v[0:1], 0
	s_cmp_lg_u32 s22, 1
	v_add_lshl_u32 v11, v5, v3, 2
	v_add_lshl_u32 v12, v6, v3, 2
	v_lshlrev_b32_e32 v13, 2, v7
	v_and_b32_e32 v14, 0x78, v4
	v_mov_b32_e32 v15, 0
	s_cselect_b32 s30, -1, 0
	s_lshl_b64 s[24:25], s[24:25], 3
	s_mov_b32 s23, s17
	s_lshl_b32 s31, s22, 9
	s_add_nc_u64 s[4:5], s[4:5], s[24:25]
	s_lshl_b64 s[14:15], s[14:15], 3
	s_lshl_b64 s[10:11], s[10:11], 3
	s_branch .LBB126_4
.LBB126_2:                              ;   in Loop: Header=BB126_4 Depth=1
	s_wait_dscnt 0x0
	global_store_b32 v15, v5, s[24:25] offset:4
.LBB126_3:                              ;   in Loop: Header=BB126_4 Depth=1
	s_wait_xcnt 0x0
	s_or_b32 exec_lo, exec_lo, s26
	s_add_co_i32 s16, s16, 0x10000
	s_delay_alu instid0(SALU_CYCLE_1)
	s_cmp_lt_u32 s16, s28
	s_cbranch_scc0 .LBB126_21
.LBB126_4:                              ; =>This Inner Loop Header: Depth=1
	s_wait_dscnt 0x0
	v_dual_mov_b32 v4, 0 :: v_dual_mov_b32 v5, 0
	s_mov_b32 s33, exec_lo
	v_cmpx_gt_i32_e64 s29, v2
	s_cbranch_execz .LBB126_8
; %bb.5:                                ;   in Loop: Header=BB126_4 Depth=1
	v_ashrrev_i32_e32 v3, 31, v2
	s_lshl_b64 s[24:25], s[16:17], 3
	s_delay_alu instid0(SALU_CYCLE_1) | instskip(SKIP_1) | instid1(VALU_DEP_1)
	s_add_nc_u64 s[26:27], s[8:9], s[24:25]
	s_add_nc_u64 s[24:25], s[12:13], s[24:25]
	v_mul_u64_e32 v[4:5], s[20:21], v[2:3]
	v_mul_u64_e32 v[6:7], s[18:19], v[2:3]
	s_load_b64 s[34:35], s[26:27], 0x0
	s_load_b64 s[36:37], s[24:25], 0x0
	v_add_nc_u32_e32 v2, s31, v2
	s_wait_kmcnt 0x0
	s_wait_xcnt 0x0
	s_add_nc_u64 s[24:25], s[34:35], s[10:11]
	s_add_nc_u64 s[26:27], s[36:37], s[14:15]
	s_mov_b32 s34, exec_lo
	s_delay_alu instid0(VALU_DEP_3) | instskip(NEXT) | instid1(VALU_DEP_3)
	v_lshl_add_u64 v[4:5], v[4:5], 3, s[24:25]
	v_lshl_add_u64 v[6:7], v[6:7], 3, s[26:27]
	flat_load_b64 v[16:17], v[4:5]
	flat_load_b64 v[18:19], v[6:7]
	s_wait_loadcnt_dscnt 0x101
	s_wait_xcnt 0x0
	v_mov_b32_e32 v6, v17
	s_wait_loadcnt_dscnt 0x0
	v_pk_mul_f32 v[4:5], v[18:19], v[16:17] op_sel_hi:[1,0]
	s_delay_alu instid0(VALU_DEP_1) | instskip(NEXT) | instid1(VALU_DEP_3)
	v_pk_fma_f32 v[16:17], v[18:19], v[16:17], v[4:5] op_sel:[1,1,0] op_sel_hi:[0,1,1] neg_lo:[0,0,1] neg_hi:[0,0,1]
	v_pk_fma_f32 v[4:5], v[18:19], v[6:7], v[4:5] op_sel:[1,0,0] op_sel_hi:[0,1,1]
	s_delay_alu instid0(VALU_DEP_2) | instskip(NEXT) | instid1(VALU_DEP_1)
	v_mov_b32_e32 v5, v17
	v_pk_add_f32 v[4:5], v[4:5], 0 op_sel_hi:[1,0]
	v_cmpx_gt_i32_e64 s29, v2
	s_cbranch_execz .LBB126_7
; %bb.6:                                ;   in Loop: Header=BB126_4 Depth=1
	v_ashrrev_i32_e32 v3, 31, v2
	s_delay_alu instid0(VALU_DEP_1) | instskip(SKIP_2) | instid1(VALU_DEP_3)
	v_mul_u64_e32 v[6:7], s[18:19], v[2:3]
	v_mul_u64_e32 v[16:17], s[20:21], v[2:3]
	v_add_nc_u32_e32 v2, s31, v2
	v_lshl_add_u64 v[6:7], v[6:7], 3, s[26:27]
	s_delay_alu instid0(VALU_DEP_3)
	v_lshl_add_u64 v[16:17], v[16:17], 3, s[24:25]
	flat_load_b64 v[18:19], v[6:7]
	flat_load_b64 v[20:21], v[16:17]
	s_wait_loadcnt_dscnt 0x0
	s_wait_xcnt 0x1
	v_pk_mul_f32 v[6:7], v[18:19], v[20:21] op_sel_hi:[1,0]
	s_wait_xcnt 0x0
	v_mov_b32_e32 v16, v21
	s_delay_alu instid0(VALU_DEP_2) | instskip(NEXT) | instid1(VALU_DEP_2)
	v_pk_fma_f32 v[20:21], v[18:19], v[20:21], v[6:7] op_sel:[1,1,0] op_sel_hi:[0,1,1] neg_lo:[0,0,1] neg_hi:[0,0,1]
	v_pk_fma_f32 v[6:7], v[18:19], v[16:17], v[6:7] op_sel:[1,0,0] op_sel_hi:[0,1,1]
	s_delay_alu instid0(VALU_DEP_2) | instskip(NEXT) | instid1(VALU_DEP_1)
	v_mov_b32_e32 v7, v21
	v_pk_add_f32 v[4:5], v[4:5], v[6:7]
.LBB126_7:                              ;   in Loop: Header=BB126_4 Depth=1
	s_or_b32 exec_lo, exec_lo, s34
.LBB126_8:                              ;   in Loop: Header=BB126_4 Depth=1
	s_delay_alu instid0(SALU_CYCLE_1)
	s_or_b32 exec_lo, exec_lo, s33
	s_and_saveexec_b32 s24, s0
; %bb.9:                                ;   in Loop: Header=BB126_4 Depth=1
	ds_store_b64 v8, v[0:1]
; %bb.10:                               ;   in Loop: Header=BB126_4 Depth=1
	s_or_b32 exec_lo, exec_lo, s24
	ds_bpermute_b32 v6, v9, v4
	ds_bpermute_b32 v7, v9, v5
	s_wait_dscnt 0x0
	s_barrier_signal -1
	s_barrier_wait -1
	v_pk_add_f32 v[4:5], v[4:5], v[6:7]
	ds_bpermute_b32 v6, v10, v4
	ds_bpermute_b32 v7, v10, v5
	s_wait_dscnt 0x0
	v_pk_add_f32 v[4:5], v[4:5], v[6:7]
	ds_bpermute_b32 v6, v11, v4
	ds_bpermute_b32 v7, v11, v5
	s_wait_dscnt 0x0
	;; [unrolled: 4-line block ×3, first 2 shown]
	v_pk_add_f32 v[4:5], v[4:5], v[6:7]
	ds_bpermute_b32 v6, v13, v4
	ds_bpermute_b32 v7, v13, v5
	s_and_saveexec_b32 s24, s1
	s_cbranch_execz .LBB126_12
; %bb.11:                               ;   in Loop: Header=BB126_4 Depth=1
	s_wait_dscnt 0x0
	v_pk_add_f32 v[4:5], v[4:5], v[6:7]
	ds_store_b64 v14, v[4:5]
.LBB126_12:                             ;   in Loop: Header=BB126_4 Depth=1
	s_or_b32 exec_lo, exec_lo, s24
	v_mov_b64_e32 v[4:5], 0
	s_wait_dscnt 0x0
	s_barrier_signal -1
	s_barrier_wait -1
	s_and_saveexec_b32 s24, s2
	s_cbranch_execnz .LBB126_15
; %bb.13:                               ;   in Loop: Header=BB126_4 Depth=1
	s_or_b32 exec_lo, exec_lo, s24
	s_and_saveexec_b32 s24, s0
	s_cbranch_execnz .LBB126_16
.LBB126_14:                             ;   in Loop: Header=BB126_4 Depth=1
	s_or_b32 exec_lo, exec_lo, s24
	s_and_saveexec_b32 s26, s3
	s_cbranch_execz .LBB126_3
	s_branch .LBB126_17
.LBB126_15:                             ;   in Loop: Header=BB126_4 Depth=1
	ds_load_b64 v[4:5], v8
	s_or_b32 exec_lo, exec_lo, s24
	s_and_saveexec_b32 s24, s0
	s_cbranch_execz .LBB126_14
.LBB126_16:                             ;   in Loop: Header=BB126_4 Depth=1
	s_wait_dscnt 0x0
	ds_bpermute_b32 v6, v10, v4
	ds_bpermute_b32 v7, v10, v5
	s_wait_dscnt 0x0
	v_pk_add_f32 v[4:5], v[4:5], v[6:7]
	ds_bpermute_b32 v6, v11, v4
	ds_bpermute_b32 v7, v11, v5
	s_wait_dscnt 0x0
	v_pk_add_f32 v[4:5], v[4:5], v[6:7]
	;; [unrolled: 4-line block ×4, first 2 shown]
	s_or_b32 exec_lo, exec_lo, s24
	s_and_saveexec_b32 s26, s3
	s_cbranch_execz .LBB126_3
.LBB126_17:                             ;   in Loop: Header=BB126_4 Depth=1
	s_and_b32 vcc_lo, exec_lo, s30
	s_mov_b32 s27, -1
                                        ; implicit-def: $sgpr24_sgpr25
	s_cbranch_vccz .LBB126_19
; %bb.18:                               ;   in Loop: Header=BB126_4 Depth=1
	s_mul_u64 s[24:25], s[22:23], s[16:17]
	s_mov_b32 s27, 0
	s_lshl_b64 s[24:25], s[24:25], 3
	s_delay_alu instid0(SALU_CYCLE_1)
	s_add_nc_u64 s[24:25], s[4:5], s[24:25]
	s_wait_dscnt 0x0
	global_store_b32 v15, v4, s[24:25]
.LBB126_19:                             ;   in Loop: Header=BB126_4 Depth=1
	s_and_not1_b32 vcc_lo, exec_lo, s27
	s_cbranch_vccnz .LBB126_2
; %bb.20:                               ;   in Loop: Header=BB126_4 Depth=1
	s_wait_xcnt 0x0
	s_lshl_b64 s[24:25], s[16:17], 3
	s_delay_alu instid0(SALU_CYCLE_1)
	s_add_nc_u64 s[24:25], s[6:7], s[24:25]
	s_wait_dscnt 0x0
	global_store_b32 v15, v4, s[24:25]
	s_branch .LBB126_2
.LBB126_21:
	s_endpgm
	.section	.rodata,"a",@progbits
	.p2align	6, 0x0
	.amdhsa_kernel _ZL18rocblas_dot_kernelIiLb0ELi512ELi2ELb1E19rocblas_complex_numIfEPKPKS1_S1_EviT5_lT_lS6_lS7_liPT6_PT4_
		.amdhsa_group_segment_fixed_size 256
		.amdhsa_private_segment_fixed_size 0
		.amdhsa_kernarg_size 352
		.amdhsa_user_sgpr_count 2
		.amdhsa_user_sgpr_dispatch_ptr 0
		.amdhsa_user_sgpr_queue_ptr 0
		.amdhsa_user_sgpr_kernarg_segment_ptr 1
		.amdhsa_user_sgpr_dispatch_id 0
		.amdhsa_user_sgpr_kernarg_preload_length 0
		.amdhsa_user_sgpr_kernarg_preload_offset 0
		.amdhsa_user_sgpr_private_segment_size 0
		.amdhsa_wavefront_size32 1
		.amdhsa_uses_dynamic_stack 0
		.amdhsa_enable_private_segment 0
		.amdhsa_system_sgpr_workgroup_id_x 1
		.amdhsa_system_sgpr_workgroup_id_y 0
		.amdhsa_system_sgpr_workgroup_id_z 1
		.amdhsa_system_sgpr_workgroup_info 0
		.amdhsa_system_vgpr_workitem_id 0
		.amdhsa_next_free_vgpr 22
		.amdhsa_next_free_sgpr 38
		.amdhsa_named_barrier_count 0
		.amdhsa_reserve_vcc 1
		.amdhsa_float_round_mode_32 0
		.amdhsa_float_round_mode_16_64 0
		.amdhsa_float_denorm_mode_32 3
		.amdhsa_float_denorm_mode_16_64 3
		.amdhsa_fp16_overflow 0
		.amdhsa_memory_ordered 1
		.amdhsa_forward_progress 1
		.amdhsa_inst_pref_size 10
		.amdhsa_round_robin_scheduling 0
		.amdhsa_exception_fp_ieee_invalid_op 0
		.amdhsa_exception_fp_denorm_src 0
		.amdhsa_exception_fp_ieee_div_zero 0
		.amdhsa_exception_fp_ieee_overflow 0
		.amdhsa_exception_fp_ieee_underflow 0
		.amdhsa_exception_fp_ieee_inexact 0
		.amdhsa_exception_int_div_zero 0
	.end_amdhsa_kernel
	.section	.text._ZL18rocblas_dot_kernelIiLb0ELi512ELi2ELb1E19rocblas_complex_numIfEPKPKS1_S1_EviT5_lT_lS6_lS7_liPT6_PT4_,"axG",@progbits,_ZL18rocblas_dot_kernelIiLb0ELi512ELi2ELb1E19rocblas_complex_numIfEPKPKS1_S1_EviT5_lT_lS6_lS7_liPT6_PT4_,comdat
.Lfunc_end126:
	.size	_ZL18rocblas_dot_kernelIiLb0ELi512ELi2ELb1E19rocblas_complex_numIfEPKPKS1_S1_EviT5_lT_lS6_lS7_liPT6_PT4_, .Lfunc_end126-_ZL18rocblas_dot_kernelIiLb0ELi512ELi2ELb1E19rocblas_complex_numIfEPKPKS1_S1_EviT5_lT_lS6_lS7_liPT6_PT4_
                                        ; -- End function
	.set _ZL18rocblas_dot_kernelIiLb0ELi512ELi2ELb1E19rocblas_complex_numIfEPKPKS1_S1_EviT5_lT_lS6_lS7_liPT6_PT4_.num_vgpr, 22
	.set _ZL18rocblas_dot_kernelIiLb0ELi512ELi2ELb1E19rocblas_complex_numIfEPKPKS1_S1_EviT5_lT_lS6_lS7_liPT6_PT4_.num_agpr, 0
	.set _ZL18rocblas_dot_kernelIiLb0ELi512ELi2ELb1E19rocblas_complex_numIfEPKPKS1_S1_EviT5_lT_lS6_lS7_liPT6_PT4_.numbered_sgpr, 38
	.set _ZL18rocblas_dot_kernelIiLb0ELi512ELi2ELb1E19rocblas_complex_numIfEPKPKS1_S1_EviT5_lT_lS6_lS7_liPT6_PT4_.num_named_barrier, 0
	.set _ZL18rocblas_dot_kernelIiLb0ELi512ELi2ELb1E19rocblas_complex_numIfEPKPKS1_S1_EviT5_lT_lS6_lS7_liPT6_PT4_.private_seg_size, 0
	.set _ZL18rocblas_dot_kernelIiLb0ELi512ELi2ELb1E19rocblas_complex_numIfEPKPKS1_S1_EviT5_lT_lS6_lS7_liPT6_PT4_.uses_vcc, 1
	.set _ZL18rocblas_dot_kernelIiLb0ELi512ELi2ELb1E19rocblas_complex_numIfEPKPKS1_S1_EviT5_lT_lS6_lS7_liPT6_PT4_.uses_flat_scratch, 0
	.set _ZL18rocblas_dot_kernelIiLb0ELi512ELi2ELb1E19rocblas_complex_numIfEPKPKS1_S1_EviT5_lT_lS6_lS7_liPT6_PT4_.has_dyn_sized_stack, 0
	.set _ZL18rocblas_dot_kernelIiLb0ELi512ELi2ELb1E19rocblas_complex_numIfEPKPKS1_S1_EviT5_lT_lS6_lS7_liPT6_PT4_.has_recursion, 0
	.set _ZL18rocblas_dot_kernelIiLb0ELi512ELi2ELb1E19rocblas_complex_numIfEPKPKS1_S1_EviT5_lT_lS6_lS7_liPT6_PT4_.has_indirect_call, 0
	.section	.AMDGPU.csdata,"",@progbits
; Kernel info:
; codeLenInByte = 1248
; TotalNumSgprs: 40
; NumVgprs: 22
; ScratchSize: 0
; MemoryBound: 0
; FloatMode: 240
; IeeeMode: 1
; LDSByteSize: 256 bytes/workgroup (compile time only)
; SGPRBlocks: 0
; VGPRBlocks: 1
; NumSGPRsForWavesPerEU: 40
; NumVGPRsForWavesPerEU: 22
; NamedBarCnt: 0
; Occupancy: 16
; WaveLimiterHint : 1
; COMPUTE_PGM_RSRC2:SCRATCH_EN: 0
; COMPUTE_PGM_RSRC2:USER_SGPR: 2
; COMPUTE_PGM_RSRC2:TRAP_HANDLER: 0
; COMPUTE_PGM_RSRC2:TGID_X_EN: 1
; COMPUTE_PGM_RSRC2:TGID_Y_EN: 0
; COMPUTE_PGM_RSRC2:TGID_Z_EN: 1
; COMPUTE_PGM_RSRC2:TIDIG_COMP_CNT: 0
	.section	.text._ZL24rocblas_dot_kernel_magsqIiLb0ELi512ELi2ELb1E19rocblas_complex_numIfEPKPKS1_S1_EviT5_lT_liPT6_PT4_,"axG",@progbits,_ZL24rocblas_dot_kernel_magsqIiLb0ELi512ELi2ELb1E19rocblas_complex_numIfEPKPKS1_S1_EviT5_lT_liPT6_PT4_,comdat
	.globl	_ZL24rocblas_dot_kernel_magsqIiLb0ELi512ELi2ELb1E19rocblas_complex_numIfEPKPKS1_S1_EviT5_lT_liPT6_PT4_ ; -- Begin function _ZL24rocblas_dot_kernel_magsqIiLb0ELi512ELi2ELb1E19rocblas_complex_numIfEPKPKS1_S1_EviT5_lT_liPT6_PT4_
	.p2align	8
	.type	_ZL24rocblas_dot_kernel_magsqIiLb0ELi512ELi2ELb1E19rocblas_complex_numIfEPKPKS1_S1_EviT5_lT_liPT6_PT4_,@function
_ZL24rocblas_dot_kernel_magsqIiLb0ELi512ELi2ELb1E19rocblas_complex_numIfEPKPKS1_S1_EviT5_lT_liPT6_PT4_: ; @_ZL24rocblas_dot_kernel_magsqIiLb0ELi512ELi2ELb1E19rocblas_complex_numIfEPKPKS1_S1_EviT5_lT_liPT6_PT4_
; %bb.0:
	s_load_b32 s20, s[0:1], 0x28
	s_bfe_u32 s2, ttmp6, 0x40014
	s_lshr_b32 s3, ttmp7, 16
	s_add_co_i32 s2, s2, 1
	s_bfe_u32 s5, ttmp6, 0x40008
	s_mul_i32 s4, s3, s2
	s_getreg_b32 s2, hwreg(HW_REG_IB_STS2, 6, 4)
	s_add_co_i32 s5, s5, s4
	s_cmp_eq_u32 s2, 0
	s_mov_b32 s13, 0
	s_cselect_b32 s12, s3, s5
	s_wait_kmcnt 0x0
	s_cmp_ge_u32 s12, s20
	s_cbranch_scc1 .LBB127_21
; %bb.1:
	v_mbcnt_lo_u32_b32 v3, -1, 0
	s_clause 0x4
	s_load_b32 s14, s[0:1], 0x18
	s_load_b128 s[4:7], s[0:1], 0x30
	s_load_b32 s16, s[0:1], 0x40
	s_load_b128 s[8:11], s[0:1], 0x8
	s_load_b32 s21, s[0:1], 0x0
	s_wait_xcnt 0x0
	s_bfe_u32 s0, ttmp6, 0x4000c
	s_and_b32 s1, ttmp6, 15
	s_add_co_i32 s3, s0, 1
	v_cmp_gt_u32_e32 vcc_lo, 24, v3
	s_mul_i32 s3, ttmp9, s3
	v_and_b32_e32 v1, 31, v0
	s_add_co_i32 s1, s1, s3
	v_cmp_gt_u32_e64 s0, 32, v0
	v_cndmask_b32_e64 v4, 0, 8, vcc_lo
	v_cmp_gt_u32_e32 vcc_lo, 28, v3
	v_cmp_eq_u32_e64 s3, 0, v0
	s_mov_b32 s19, s13
	v_lshl_or_b32 v9, v3, 2, 64
	v_add_lshl_u32 v10, v4, v3, 2
	v_cndmask_b32_e64 v5, 0, 4, vcc_lo
	v_cmp_gt_u32_e32 vcc_lo, 30, v3
	s_wait_kmcnt 0x0
	s_ashr_i32 s15, s14, 31
	s_cmp_eq_u32 s2, 0
	v_lshrrev_b32_e32 v4, 2, v0
	s_cselect_b32 s18, ttmp9, s1
	v_cndmask_b32_e64 v6, 0, 2, vcc_lo
	v_cmp_ne_u32_e32 vcc_lo, 31, v3
	v_lshl_or_b32 v2, s18, 9, v0
	v_cmp_eq_u32_e64 s1, 0, v1
	v_cmp_gt_u32_e64 s2, 16, v0
	s_cmp_lg_u32 s16, 1
	v_add_co_ci_u32_e64 v7, null, 0, v3, vcc_lo
	v_lshlrev_b32_e32 v8, 3, v1
	v_mov_b64_e32 v[0:1], 0
	v_add_lshl_u32 v11, v5, v3, 2
	v_add_lshl_u32 v12, v6, v3, 2
	v_lshlrev_b32_e32 v13, 2, v7
	v_and_b32_e32 v14, 0x78, v4
	v_mov_b32_e32 v15, 0
	s_cselect_b32 s22, -1, 0
	s_lshl_b64 s[18:19], s[18:19], 3
	s_mov_b32 s17, s13
	s_lshl_b32 s23, s16, 9
	s_add_nc_u64 s[4:5], s[4:5], s[18:19]
	s_lshl_b64 s[10:11], s[10:11], 3
	s_branch .LBB127_4
.LBB127_2:                              ;   in Loop: Header=BB127_4 Depth=1
	s_wait_dscnt 0x0
	global_store_b32 v15, v5, s[18:19] offset:4
.LBB127_3:                              ;   in Loop: Header=BB127_4 Depth=1
	s_wait_xcnt 0x0
	s_or_b32 exec_lo, exec_lo, s24
	s_add_co_i32 s12, s12, 0x10000
	s_delay_alu instid0(SALU_CYCLE_1)
	s_cmp_lt_u32 s12, s20
	s_cbranch_scc0 .LBB127_21
.LBB127_4:                              ; =>This Inner Loop Header: Depth=1
	s_wait_dscnt 0x0
	v_dual_mov_b32 v4, 0 :: v_dual_mov_b32 v5, 0
	s_mov_b32 s24, exec_lo
	v_cmpx_gt_i32_e64 s21, v2
	s_cbranch_execz .LBB127_8
; %bb.5:                                ;   in Loop: Header=BB127_4 Depth=1
	v_ashrrev_i32_e32 v3, 31, v2
	s_lshl_b64 s[18:19], s[12:13], 3
	s_mov_b32 s25, exec_lo
	s_add_nc_u64 s[18:19], s[8:9], s[18:19]
	s_load_b64 s[18:19], s[18:19], 0x0
	v_mul_u64_e32 v[4:5], s[14:15], v[2:3]
	v_add_nc_u32_e32 v2, s23, v2
	s_wait_kmcnt 0x0
	s_wait_xcnt 0x0
	s_add_nc_u64 s[18:19], s[18:19], s[10:11]
	s_delay_alu instid0(VALU_DEP_2) | instid1(SALU_CYCLE_1)
	v_lshl_add_u64 v[4:5], v[4:5], 3, s[18:19]
	flat_load_b64 v[4:5], v[4:5]
	s_wait_loadcnt_dscnt 0x0
	v_pk_mul_f32 v[6:7], v[4:5], v[4:5] op_sel:[1,1] op_sel_hi:[0,1]
	s_delay_alu instid0(VALU_DEP_1) | instskip(SKIP_2) | instid1(VALU_DEP_2)
	v_pk_fma_f32 v[16:17], v[4:5], v[4:5], v[6:7] op_sel_hi:[0,1,1] neg_lo:[0,0,1] neg_hi:[0,0,1]
	s_wait_xcnt 0x0
	v_pk_fma_f32 v[4:5], v[4:5], v[4:5], v[6:7]
	v_mov_b32_e32 v5, v17
	s_delay_alu instid0(VALU_DEP_1)
	v_pk_add_f32 v[4:5], v[4:5], 0 op_sel_hi:[1,0]
	v_cmpx_gt_i32_e64 s21, v2
	s_cbranch_execz .LBB127_7
; %bb.6:                                ;   in Loop: Header=BB127_4 Depth=1
	v_ashrrev_i32_e32 v3, 31, v2
	s_delay_alu instid0(VALU_DEP_1) | instskip(SKIP_1) | instid1(VALU_DEP_2)
	v_mul_u64_e32 v[6:7], s[14:15], v[2:3]
	v_add_nc_u32_e32 v2, s23, v2
	v_lshl_add_u64 v[6:7], v[6:7], 3, s[18:19]
	flat_load_b64 v[6:7], v[6:7]
	s_wait_loadcnt_dscnt 0x0
	v_pk_mul_f32 v[16:17], v[6:7], v[6:7] op_sel:[1,1] op_sel_hi:[0,1]
	s_delay_alu instid0(VALU_DEP_1) | instskip(SKIP_2) | instid1(VALU_DEP_2)
	v_pk_fma_f32 v[18:19], v[6:7], v[6:7], v[16:17] op_sel_hi:[0,1,1] neg_lo:[0,0,1] neg_hi:[0,0,1]
	s_wait_xcnt 0x0
	v_pk_fma_f32 v[6:7], v[6:7], v[6:7], v[16:17]
	v_mov_b32_e32 v7, v19
	s_delay_alu instid0(VALU_DEP_1)
	v_pk_add_f32 v[4:5], v[4:5], v[6:7]
.LBB127_7:                              ;   in Loop: Header=BB127_4 Depth=1
	s_or_b32 exec_lo, exec_lo, s25
.LBB127_8:                              ;   in Loop: Header=BB127_4 Depth=1
	s_delay_alu instid0(SALU_CYCLE_1)
	s_or_b32 exec_lo, exec_lo, s24
	s_and_saveexec_b32 s18, s0
; %bb.9:                                ;   in Loop: Header=BB127_4 Depth=1
	ds_store_b64 v8, v[0:1]
; %bb.10:                               ;   in Loop: Header=BB127_4 Depth=1
	s_or_b32 exec_lo, exec_lo, s18
	ds_bpermute_b32 v6, v9, v4
	ds_bpermute_b32 v7, v9, v5
	s_wait_dscnt 0x0
	s_barrier_signal -1
	s_barrier_wait -1
	v_pk_add_f32 v[4:5], v[4:5], v[6:7]
	ds_bpermute_b32 v6, v10, v4
	ds_bpermute_b32 v7, v10, v5
	s_wait_dscnt 0x0
	v_pk_add_f32 v[4:5], v[4:5], v[6:7]
	ds_bpermute_b32 v6, v11, v4
	ds_bpermute_b32 v7, v11, v5
	s_wait_dscnt 0x0
	;; [unrolled: 4-line block ×3, first 2 shown]
	v_pk_add_f32 v[4:5], v[4:5], v[6:7]
	ds_bpermute_b32 v6, v13, v4
	ds_bpermute_b32 v7, v13, v5
	s_and_saveexec_b32 s18, s1
	s_cbranch_execz .LBB127_12
; %bb.11:                               ;   in Loop: Header=BB127_4 Depth=1
	s_wait_dscnt 0x0
	v_pk_add_f32 v[4:5], v[4:5], v[6:7]
	ds_store_b64 v14, v[4:5]
.LBB127_12:                             ;   in Loop: Header=BB127_4 Depth=1
	s_or_b32 exec_lo, exec_lo, s18
	v_mov_b64_e32 v[4:5], 0
	s_wait_dscnt 0x0
	s_barrier_signal -1
	s_barrier_wait -1
	s_and_saveexec_b32 s18, s2
	s_cbranch_execnz .LBB127_15
; %bb.13:                               ;   in Loop: Header=BB127_4 Depth=1
	s_or_b32 exec_lo, exec_lo, s18
	s_and_saveexec_b32 s18, s0
	s_cbranch_execnz .LBB127_16
.LBB127_14:                             ;   in Loop: Header=BB127_4 Depth=1
	s_or_b32 exec_lo, exec_lo, s18
	s_and_saveexec_b32 s24, s3
	s_cbranch_execz .LBB127_3
	s_branch .LBB127_17
.LBB127_15:                             ;   in Loop: Header=BB127_4 Depth=1
	ds_load_b64 v[4:5], v8
	s_or_b32 exec_lo, exec_lo, s18
	s_and_saveexec_b32 s18, s0
	s_cbranch_execz .LBB127_14
.LBB127_16:                             ;   in Loop: Header=BB127_4 Depth=1
	s_wait_dscnt 0x0
	ds_bpermute_b32 v6, v10, v4
	ds_bpermute_b32 v7, v10, v5
	s_wait_dscnt 0x0
	v_pk_add_f32 v[4:5], v[4:5], v[6:7]
	ds_bpermute_b32 v6, v11, v4
	ds_bpermute_b32 v7, v11, v5
	s_wait_dscnt 0x0
	v_pk_add_f32 v[4:5], v[4:5], v[6:7]
	;; [unrolled: 4-line block ×4, first 2 shown]
	s_or_b32 exec_lo, exec_lo, s18
	s_and_saveexec_b32 s24, s3
	s_cbranch_execz .LBB127_3
.LBB127_17:                             ;   in Loop: Header=BB127_4 Depth=1
	s_and_b32 vcc_lo, exec_lo, s22
	s_mov_b32 s25, -1
                                        ; implicit-def: $sgpr18_sgpr19
	s_cbranch_vccz .LBB127_19
; %bb.18:                               ;   in Loop: Header=BB127_4 Depth=1
	s_mul_u64 s[18:19], s[16:17], s[12:13]
	s_mov_b32 s25, 0
	s_lshl_b64 s[18:19], s[18:19], 3
	s_delay_alu instid0(SALU_CYCLE_1)
	s_add_nc_u64 s[18:19], s[4:5], s[18:19]
	s_wait_dscnt 0x0
	global_store_b32 v15, v4, s[18:19]
.LBB127_19:                             ;   in Loop: Header=BB127_4 Depth=1
	s_and_not1_b32 vcc_lo, exec_lo, s25
	s_cbranch_vccnz .LBB127_2
; %bb.20:                               ;   in Loop: Header=BB127_4 Depth=1
	s_wait_xcnt 0x0
	s_lshl_b64 s[18:19], s[12:13], 3
	s_delay_alu instid0(SALU_CYCLE_1)
	s_add_nc_u64 s[18:19], s[6:7], s[18:19]
	s_wait_dscnt 0x0
	global_store_b32 v15, v4, s[18:19]
	s_branch .LBB127_2
.LBB127_21:
	s_endpgm
	.section	.rodata,"a",@progbits
	.p2align	6, 0x0
	.amdhsa_kernel _ZL24rocblas_dot_kernel_magsqIiLb0ELi512ELi2ELb1E19rocblas_complex_numIfEPKPKS1_S1_EviT5_lT_liPT6_PT4_
		.amdhsa_group_segment_fixed_size 256
		.amdhsa_private_segment_fixed_size 0
		.amdhsa_kernarg_size 320
		.amdhsa_user_sgpr_count 2
		.amdhsa_user_sgpr_dispatch_ptr 0
		.amdhsa_user_sgpr_queue_ptr 0
		.amdhsa_user_sgpr_kernarg_segment_ptr 1
		.amdhsa_user_sgpr_dispatch_id 0
		.amdhsa_user_sgpr_kernarg_preload_length 0
		.amdhsa_user_sgpr_kernarg_preload_offset 0
		.amdhsa_user_sgpr_private_segment_size 0
		.amdhsa_wavefront_size32 1
		.amdhsa_uses_dynamic_stack 0
		.amdhsa_enable_private_segment 0
		.amdhsa_system_sgpr_workgroup_id_x 1
		.amdhsa_system_sgpr_workgroup_id_y 0
		.amdhsa_system_sgpr_workgroup_id_z 1
		.amdhsa_system_sgpr_workgroup_info 0
		.amdhsa_system_vgpr_workitem_id 0
		.amdhsa_next_free_vgpr 20
		.amdhsa_next_free_sgpr 26
		.amdhsa_named_barrier_count 0
		.amdhsa_reserve_vcc 1
		.amdhsa_float_round_mode_32 0
		.amdhsa_float_round_mode_16_64 0
		.amdhsa_float_denorm_mode_32 3
		.amdhsa_float_denorm_mode_16_64 3
		.amdhsa_fp16_overflow 0
		.amdhsa_memory_ordered 1
		.amdhsa_forward_progress 1
		.amdhsa_inst_pref_size 9
		.amdhsa_round_robin_scheduling 0
		.amdhsa_exception_fp_ieee_invalid_op 0
		.amdhsa_exception_fp_denorm_src 0
		.amdhsa_exception_fp_ieee_div_zero 0
		.amdhsa_exception_fp_ieee_overflow 0
		.amdhsa_exception_fp_ieee_underflow 0
		.amdhsa_exception_fp_ieee_inexact 0
		.amdhsa_exception_int_div_zero 0
	.end_amdhsa_kernel
	.section	.text._ZL24rocblas_dot_kernel_magsqIiLb0ELi512ELi2ELb1E19rocblas_complex_numIfEPKPKS1_S1_EviT5_lT_liPT6_PT4_,"axG",@progbits,_ZL24rocblas_dot_kernel_magsqIiLb0ELi512ELi2ELb1E19rocblas_complex_numIfEPKPKS1_S1_EviT5_lT_liPT6_PT4_,comdat
.Lfunc_end127:
	.size	_ZL24rocblas_dot_kernel_magsqIiLb0ELi512ELi2ELb1E19rocblas_complex_numIfEPKPKS1_S1_EviT5_lT_liPT6_PT4_, .Lfunc_end127-_ZL24rocblas_dot_kernel_magsqIiLb0ELi512ELi2ELb1E19rocblas_complex_numIfEPKPKS1_S1_EviT5_lT_liPT6_PT4_
                                        ; -- End function
	.set _ZL24rocblas_dot_kernel_magsqIiLb0ELi512ELi2ELb1E19rocblas_complex_numIfEPKPKS1_S1_EviT5_lT_liPT6_PT4_.num_vgpr, 20
	.set _ZL24rocblas_dot_kernel_magsqIiLb0ELi512ELi2ELb1E19rocblas_complex_numIfEPKPKS1_S1_EviT5_lT_liPT6_PT4_.num_agpr, 0
	.set _ZL24rocblas_dot_kernel_magsqIiLb0ELi512ELi2ELb1E19rocblas_complex_numIfEPKPKS1_S1_EviT5_lT_liPT6_PT4_.numbered_sgpr, 26
	.set _ZL24rocblas_dot_kernel_magsqIiLb0ELi512ELi2ELb1E19rocblas_complex_numIfEPKPKS1_S1_EviT5_lT_liPT6_PT4_.num_named_barrier, 0
	.set _ZL24rocblas_dot_kernel_magsqIiLb0ELi512ELi2ELb1E19rocblas_complex_numIfEPKPKS1_S1_EviT5_lT_liPT6_PT4_.private_seg_size, 0
	.set _ZL24rocblas_dot_kernel_magsqIiLb0ELi512ELi2ELb1E19rocblas_complex_numIfEPKPKS1_S1_EviT5_lT_liPT6_PT4_.uses_vcc, 1
	.set _ZL24rocblas_dot_kernel_magsqIiLb0ELi512ELi2ELb1E19rocblas_complex_numIfEPKPKS1_S1_EviT5_lT_liPT6_PT4_.uses_flat_scratch, 0
	.set _ZL24rocblas_dot_kernel_magsqIiLb0ELi512ELi2ELb1E19rocblas_complex_numIfEPKPKS1_S1_EviT5_lT_liPT6_PT4_.has_dyn_sized_stack, 0
	.set _ZL24rocblas_dot_kernel_magsqIiLb0ELi512ELi2ELb1E19rocblas_complex_numIfEPKPKS1_S1_EviT5_lT_liPT6_PT4_.has_recursion, 0
	.set _ZL24rocblas_dot_kernel_magsqIiLb0ELi512ELi2ELb1E19rocblas_complex_numIfEPKPKS1_S1_EviT5_lT_liPT6_PT4_.has_indirect_call, 0
	.section	.AMDGPU.csdata,"",@progbits
; Kernel info:
; codeLenInByte = 1136
; TotalNumSgprs: 28
; NumVgprs: 20
; ScratchSize: 0
; MemoryBound: 0
; FloatMode: 240
; IeeeMode: 1
; LDSByteSize: 256 bytes/workgroup (compile time only)
; SGPRBlocks: 0
; VGPRBlocks: 1
; NumSGPRsForWavesPerEU: 28
; NumVGPRsForWavesPerEU: 20
; NamedBarCnt: 0
; Occupancy: 16
; WaveLimiterHint : 1
; COMPUTE_PGM_RSRC2:SCRATCH_EN: 0
; COMPUTE_PGM_RSRC2:USER_SGPR: 2
; COMPUTE_PGM_RSRC2:TRAP_HANDLER: 0
; COMPUTE_PGM_RSRC2:TGID_X_EN: 1
; COMPUTE_PGM_RSRC2:TGID_Y_EN: 0
; COMPUTE_PGM_RSRC2:TGID_Z_EN: 1
; COMPUTE_PGM_RSRC2:TIDIG_COMP_CNT: 0
	.section	.text._ZL28rocblas_dot_batched_4_kernelIiLi32ELi4ELb1E19rocblas_complex_numIdES1_PKPKS1_EviT5_lT_lS6_lS7_liPT4_,"axG",@progbits,_ZL28rocblas_dot_batched_4_kernelIiLi32ELi4ELb1E19rocblas_complex_numIdES1_PKPKS1_EviT5_lT_lS6_lS7_liPT4_,comdat
	.globl	_ZL28rocblas_dot_batched_4_kernelIiLi32ELi4ELb1E19rocblas_complex_numIdES1_PKPKS1_EviT5_lT_lS6_lS7_liPT4_ ; -- Begin function _ZL28rocblas_dot_batched_4_kernelIiLi32ELi4ELb1E19rocblas_complex_numIdES1_PKPKS1_EviT5_lT_lS6_lS7_liPT4_
	.p2align	8
	.type	_ZL28rocblas_dot_batched_4_kernelIiLi32ELi4ELb1E19rocblas_complex_numIdES1_PKPKS1_EviT5_lT_lS6_lS7_liPT4_,@function
_ZL28rocblas_dot_batched_4_kernelIiLi32ELi4ELb1E19rocblas_complex_numIdES1_PKPKS1_EviT5_lT_lS6_lS7_liPT4_: ; @_ZL28rocblas_dot_batched_4_kernelIiLi32ELi4ELb1E19rocblas_complex_numIdES1_PKPKS1_EviT5_lT_lS6_lS7_liPT4_
; %bb.0:
	s_load_b32 s2, s[0:1], 0x48
	s_bfe_u32 s3, ttmp6, 0x4000c
	s_and_b32 s4, ttmp6, 15
	s_add_co_i32 s3, s3, 1
	v_bfe_u32 v1, v0, 10, 10
	s_mul_i32 s3, ttmp9, s3
	s_delay_alu instid0(SALU_CYCLE_1) | instskip(SKIP_1) | instid1(SALU_CYCLE_1)
	s_add_co_i32 s4, s4, s3
	s_getreg_b32 s3, hwreg(HW_REG_IB_STS2, 6, 4)
	s_cmp_eq_u32 s3, 0
	s_cselect_b32 s3, ttmp9, s4
	s_delay_alu instid0(SALU_CYCLE_1) | instskip(SKIP_1) | instid1(VALU_DEP_1)
	v_lshl_add_u32 v2, s3, 2, v1
	s_wait_kmcnt 0x0
	v_cmp_gt_u32_e32 vcc_lo, s2, v2
	s_and_saveexec_b32 s2, vcc_lo
	s_cbranch_execz .LBB128_7
; %bb.1:
	s_load_b32 s6, s[0:1], 0x0
	v_mov_b64_e32 v[4:5], 0
	v_mov_b64_e32 v[6:7], 0
	v_and_b32_e32 v0, 0x3ff, v0
	v_mov_b32_e32 v3, 0
	s_mov_b32 s7, exec_lo
	s_wait_kmcnt 0x0
	s_delay_alu instid0(VALU_DEP_2)
	v_cmpx_gt_i32_e64 s6, v0
	s_cbranch_execz .LBB128_5
; %bb.2:
	s_clause 0x1
	s_load_b128 s[8:11], s[0:1], 0x28
	s_load_b128 s[12:15], s[0:1], 0x8
	v_lshlrev_b64_e32 v[4:5], 3, v[2:3]
	s_clause 0x1
	s_load_b32 s4, s[0:1], 0x18
	s_load_b32 s2, s[0:1], 0x38
	v_mov_b32_e32 v1, v3
	s_wait_kmcnt 0x0
	s_delay_alu instid0(VALU_DEP_2)
	v_add_nc_u64_e32 v[6:7], s[8:9], v[4:5]
	v_add_nc_u64_e32 v[4:5], s[12:13], v[4:5]
	s_ashr_i32 s5, s4, 31
	s_ashr_i32 s3, s2, 31
	s_lshl_b64 s[8:9], s[10:11], 4
	s_lshl_b64 s[10:11], s[14:15], 4
	global_load_b64 v[8:9], v[6:7], off
	global_load_b64 v[10:11], v[4:5], off
	s_wait_xcnt 0x0
	v_mul_u64_e32 v[4:5], s[2:3], v[0:1]
	v_mul_u64_e32 v[6:7], s[4:5], v[0:1]
	v_mov_b32_e32 v1, v0
	s_lshl_b64 s[2:3], s[2:3], 9
	s_lshl_b64 s[4:5], s[4:5], 9
	s_delay_alu instid0(VALU_DEP_3) | instskip(NEXT) | instid1(VALU_DEP_3)
	v_lshl_add_u64 v[4:5], v[4:5], 4, s[8:9]
	v_lshl_add_u64 v[6:7], v[6:7], 4, s[10:11]
	s_mov_b32 s8, 0
	s_wait_loadcnt 0x1
	s_delay_alu instid0(VALU_DEP_2) | instskip(SKIP_3) | instid1(VALU_DEP_3)
	v_add_nc_u64_e32 v[8:9], v[8:9], v[4:5]
	s_wait_loadcnt 0x0
	v_add_nc_u64_e32 v[6:7], v[10:11], v[6:7]
	v_mov_b64_e32 v[4:5], 0
	v_add_nc_u64_e32 v[8:9], 8, v[8:9]
	s_delay_alu instid0(VALU_DEP_3)
	v_add_nc_u64_e32 v[10:11], 8, v[6:7]
	v_mov_b64_e32 v[6:7], 0
.LBB128_3:                              ; =>This Inner Loop Header: Depth=1
	flat_load_b128 v[12:15], v[10:11] offset:-8
	flat_load_b128 v[16:19], v[8:9] offset:-8
	s_wait_xcnt 0x0
	v_add_nc_u64_e32 v[8:9], s[2:3], v[8:9]
	v_add_nc_u64_e32 v[10:11], s[4:5], v[10:11]
	v_add_nc_u32_e32 v1, 32, v1
	s_delay_alu instid0(VALU_DEP_1) | instskip(SKIP_4) | instid1(VALU_DEP_2)
	v_cmp_le_i32_e32 vcc_lo, s6, v1
	s_or_b32 s8, vcc_lo, s8
	s_wait_loadcnt_dscnt 0x0
	v_mul_f64_e32 v[20:21], v[14:15], v[18:19]
	v_mul_f64_e32 v[14:15], v[14:15], v[16:17]
	v_fmac_f64_e32 v[20:21], v[12:13], v[16:17]
	s_delay_alu instid0(VALU_DEP_2) | instskip(NEXT) | instid1(VALU_DEP_2)
	v_fma_f64 v[12:13], v[12:13], v[18:19], -v[14:15]
	v_add_f64_e32 v[4:5], v[4:5], v[20:21]
	s_delay_alu instid0(VALU_DEP_2)
	v_add_f64_e32 v[6:7], v[6:7], v[12:13]
	s_and_not1_b32 exec_lo, exec_lo, s8
	s_cbranch_execnz .LBB128_3
; %bb.4:
	s_or_b32 exec_lo, exec_lo, s8
.LBB128_5:
	s_delay_alu instid0(SALU_CYCLE_1) | instskip(SKIP_4) | instid1(VALU_DEP_1)
	s_or_b32 exec_lo, exec_lo, s7
	v_mbcnt_lo_u32_b32 v1, -1, 0
	s_load_b64 s[0:1], s[0:1], 0x50
	s_barrier_signal -1
	s_barrier_wait -1
	v_lshl_or_b32 v11, v1, 2, 64
	v_cmp_gt_u32_e32 vcc_lo, 24, v1
	ds_bpermute_b32 v8, v11, v4
	ds_bpermute_b32 v9, v11, v5
	;; [unrolled: 1-line block ×4, first 2 shown]
	s_wait_dscnt 0x2
	v_add_f64_e32 v[4:5], v[4:5], v[8:9]
	v_cndmask_b32_e64 v8, 0, 8, vcc_lo
	s_wait_dscnt 0x0
	v_add_f64_e32 v[6:7], v[6:7], v[10:11]
	v_cmp_gt_u32_e32 vcc_lo, 28, v1
	s_delay_alu instid0(VALU_DEP_3)
	v_add_lshl_u32 v11, v8, v1, 2
	ds_bpermute_b32 v8, v11, v4
	ds_bpermute_b32 v9, v11, v5
	ds_bpermute_b32 v10, v11, v6
	ds_bpermute_b32 v11, v11, v7
	s_wait_dscnt 0x2
	v_add_f64_e32 v[4:5], v[4:5], v[8:9]
	v_cndmask_b32_e64 v8, 0, 4, vcc_lo
	s_wait_dscnt 0x0
	v_add_f64_e32 v[6:7], v[6:7], v[10:11]
	v_cmp_gt_u32_e32 vcc_lo, 30, v1
	s_delay_alu instid0(VALU_DEP_3)
	v_add_lshl_u32 v11, v8, v1, 2
	ds_bpermute_b32 v8, v11, v4
	ds_bpermute_b32 v9, v11, v5
	ds_bpermute_b32 v10, v11, v6
	ds_bpermute_b32 v11, v11, v7
	s_wait_dscnt 0x2
	v_add_f64_e32 v[4:5], v[4:5], v[8:9]
	v_cndmask_b32_e64 v8, 0, 2, vcc_lo
	s_wait_dscnt 0x0
	v_add_f64_e32 v[6:7], v[6:7], v[10:11]
	v_cmp_ne_u32_e32 vcc_lo, 31, v1
	s_delay_alu instid0(VALU_DEP_3) | instskip(SKIP_2) | instid1(VALU_DEP_2)
	v_add_lshl_u32 v11, v8, v1, 2
	v_add_co_ci_u32_e64 v1, null, 0, v1, vcc_lo
	v_cmp_eq_u32_e32 vcc_lo, 0, v0
	v_lshlrev_b32_e32 v1, 2, v1
	ds_bpermute_b32 v8, v11, v4
	ds_bpermute_b32 v9, v11, v5
	;; [unrolled: 1-line block ×4, first 2 shown]
	s_wait_dscnt 0x2
	v_add_f64_e32 v[4:5], v[4:5], v[8:9]
	s_wait_dscnt 0x0
	v_add_f64_e32 v[6:7], v[6:7], v[10:11]
	ds_bpermute_b32 v8, v1, v4
	ds_bpermute_b32 v9, v1, v5
	;; [unrolled: 1-line block ×4, first 2 shown]
	s_and_b32 exec_lo, exec_lo, vcc_lo
	s_cbranch_execz .LBB128_7
; %bb.6:
	s_wait_dscnt 0x0
	v_add_f64_e32 v[6:7], v[6:7], v[10:11]
	v_add_f64_e32 v[4:5], v[4:5], v[8:9]
	s_wait_kmcnt 0x0
	v_lshl_add_u64 v[0:1], v[2:3], 4, s[0:1]
	global_store_b128 v[0:1], v[4:7], off
.LBB128_7:
	s_endpgm
	.section	.rodata,"a",@progbits
	.p2align	6, 0x0
	.amdhsa_kernel _ZL28rocblas_dot_batched_4_kernelIiLi32ELi4ELb1E19rocblas_complex_numIdES1_PKPKS1_EviT5_lT_lS6_lS7_liPT4_
		.amdhsa_group_segment_fixed_size 0
		.amdhsa_private_segment_fixed_size 0
		.amdhsa_kernarg_size 88
		.amdhsa_user_sgpr_count 2
		.amdhsa_user_sgpr_dispatch_ptr 0
		.amdhsa_user_sgpr_queue_ptr 0
		.amdhsa_user_sgpr_kernarg_segment_ptr 1
		.amdhsa_user_sgpr_dispatch_id 0
		.amdhsa_user_sgpr_kernarg_preload_length 0
		.amdhsa_user_sgpr_kernarg_preload_offset 0
		.amdhsa_user_sgpr_private_segment_size 0
		.amdhsa_wavefront_size32 1
		.amdhsa_uses_dynamic_stack 0
		.amdhsa_enable_private_segment 0
		.amdhsa_system_sgpr_workgroup_id_x 1
		.amdhsa_system_sgpr_workgroup_id_y 0
		.amdhsa_system_sgpr_workgroup_id_z 0
		.amdhsa_system_sgpr_workgroup_info 0
		.amdhsa_system_vgpr_workitem_id 1
		.amdhsa_next_free_vgpr 22
		.amdhsa_next_free_sgpr 16
		.amdhsa_named_barrier_count 0
		.amdhsa_reserve_vcc 1
		.amdhsa_float_round_mode_32 0
		.amdhsa_float_round_mode_16_64 0
		.amdhsa_float_denorm_mode_32 3
		.amdhsa_float_denorm_mode_16_64 3
		.amdhsa_fp16_overflow 0
		.amdhsa_memory_ordered 1
		.amdhsa_forward_progress 1
		.amdhsa_inst_pref_size 7
		.amdhsa_round_robin_scheduling 0
		.amdhsa_exception_fp_ieee_invalid_op 0
		.amdhsa_exception_fp_denorm_src 0
		.amdhsa_exception_fp_ieee_div_zero 0
		.amdhsa_exception_fp_ieee_overflow 0
		.amdhsa_exception_fp_ieee_underflow 0
		.amdhsa_exception_fp_ieee_inexact 0
		.amdhsa_exception_int_div_zero 0
	.end_amdhsa_kernel
	.section	.text._ZL28rocblas_dot_batched_4_kernelIiLi32ELi4ELb1E19rocblas_complex_numIdES1_PKPKS1_EviT5_lT_lS6_lS7_liPT4_,"axG",@progbits,_ZL28rocblas_dot_batched_4_kernelIiLi32ELi4ELb1E19rocblas_complex_numIdES1_PKPKS1_EviT5_lT_lS6_lS7_liPT4_,comdat
.Lfunc_end128:
	.size	_ZL28rocblas_dot_batched_4_kernelIiLi32ELi4ELb1E19rocblas_complex_numIdES1_PKPKS1_EviT5_lT_lS6_lS7_liPT4_, .Lfunc_end128-_ZL28rocblas_dot_batched_4_kernelIiLi32ELi4ELb1E19rocblas_complex_numIdES1_PKPKS1_EviT5_lT_lS6_lS7_liPT4_
                                        ; -- End function
	.set _ZL28rocblas_dot_batched_4_kernelIiLi32ELi4ELb1E19rocblas_complex_numIdES1_PKPKS1_EviT5_lT_lS6_lS7_liPT4_.num_vgpr, 22
	.set _ZL28rocblas_dot_batched_4_kernelIiLi32ELi4ELb1E19rocblas_complex_numIdES1_PKPKS1_EviT5_lT_lS6_lS7_liPT4_.num_agpr, 0
	.set _ZL28rocblas_dot_batched_4_kernelIiLi32ELi4ELb1E19rocblas_complex_numIdES1_PKPKS1_EviT5_lT_lS6_lS7_liPT4_.numbered_sgpr, 16
	.set _ZL28rocblas_dot_batched_4_kernelIiLi32ELi4ELb1E19rocblas_complex_numIdES1_PKPKS1_EviT5_lT_lS6_lS7_liPT4_.num_named_barrier, 0
	.set _ZL28rocblas_dot_batched_4_kernelIiLi32ELi4ELb1E19rocblas_complex_numIdES1_PKPKS1_EviT5_lT_lS6_lS7_liPT4_.private_seg_size, 0
	.set _ZL28rocblas_dot_batched_4_kernelIiLi32ELi4ELb1E19rocblas_complex_numIdES1_PKPKS1_EviT5_lT_lS6_lS7_liPT4_.uses_vcc, 1
	.set _ZL28rocblas_dot_batched_4_kernelIiLi32ELi4ELb1E19rocblas_complex_numIdES1_PKPKS1_EviT5_lT_lS6_lS7_liPT4_.uses_flat_scratch, 0
	.set _ZL28rocblas_dot_batched_4_kernelIiLi32ELi4ELb1E19rocblas_complex_numIdES1_PKPKS1_EviT5_lT_lS6_lS7_liPT4_.has_dyn_sized_stack, 0
	.set _ZL28rocblas_dot_batched_4_kernelIiLi32ELi4ELb1E19rocblas_complex_numIdES1_PKPKS1_EviT5_lT_lS6_lS7_liPT4_.has_recursion, 0
	.set _ZL28rocblas_dot_batched_4_kernelIiLi32ELi4ELb1E19rocblas_complex_numIdES1_PKPKS1_EviT5_lT_lS6_lS7_liPT4_.has_indirect_call, 0
	.section	.AMDGPU.csdata,"",@progbits
; Kernel info:
; codeLenInByte = 836
; TotalNumSgprs: 18
; NumVgprs: 22
; ScratchSize: 0
; MemoryBound: 0
; FloatMode: 240
; IeeeMode: 1
; LDSByteSize: 0 bytes/workgroup (compile time only)
; SGPRBlocks: 0
; VGPRBlocks: 1
; NumSGPRsForWavesPerEU: 18
; NumVGPRsForWavesPerEU: 22
; NamedBarCnt: 0
; Occupancy: 16
; WaveLimiterHint : 0
; COMPUTE_PGM_RSRC2:SCRATCH_EN: 0
; COMPUTE_PGM_RSRC2:USER_SGPR: 2
; COMPUTE_PGM_RSRC2:TRAP_HANDLER: 0
; COMPUTE_PGM_RSRC2:TGID_X_EN: 1
; COMPUTE_PGM_RSRC2:TGID_Y_EN: 0
; COMPUTE_PGM_RSRC2:TGID_Z_EN: 0
; COMPUTE_PGM_RSRC2:TIDIG_COMP_CNT: 1
	.section	.text._ZL28rocblas_dot_batched_4_kernelIiLi64ELi4ELb1E19rocblas_complex_numIdES1_PKPKS1_EviT5_lT_lS6_lS7_liPT4_,"axG",@progbits,_ZL28rocblas_dot_batched_4_kernelIiLi64ELi4ELb1E19rocblas_complex_numIdES1_PKPKS1_EviT5_lT_lS6_lS7_liPT4_,comdat
	.globl	_ZL28rocblas_dot_batched_4_kernelIiLi64ELi4ELb1E19rocblas_complex_numIdES1_PKPKS1_EviT5_lT_lS6_lS7_liPT4_ ; -- Begin function _ZL28rocblas_dot_batched_4_kernelIiLi64ELi4ELb1E19rocblas_complex_numIdES1_PKPKS1_EviT5_lT_lS6_lS7_liPT4_
	.p2align	8
	.type	_ZL28rocblas_dot_batched_4_kernelIiLi64ELi4ELb1E19rocblas_complex_numIdES1_PKPKS1_EviT5_lT_lS6_lS7_liPT4_,@function
_ZL28rocblas_dot_batched_4_kernelIiLi64ELi4ELb1E19rocblas_complex_numIdES1_PKPKS1_EviT5_lT_lS6_lS7_liPT4_: ; @_ZL28rocblas_dot_batched_4_kernelIiLi64ELi4ELb1E19rocblas_complex_numIdES1_PKPKS1_EviT5_lT_lS6_lS7_liPT4_
; %bb.0:
	s_load_b32 s2, s[0:1], 0x48
	s_bfe_u32 s3, ttmp6, 0x4000c
	s_and_b32 s4, ttmp6, 15
	s_add_co_i32 s3, s3, 1
	v_bfe_u32 v1, v0, 10, 10
	s_mul_i32 s3, ttmp9, s3
	s_delay_alu instid0(SALU_CYCLE_1) | instskip(SKIP_1) | instid1(SALU_CYCLE_1)
	s_add_co_i32 s4, s4, s3
	s_getreg_b32 s3, hwreg(HW_REG_IB_STS2, 6, 4)
	s_cmp_eq_u32 s3, 0
	s_cselect_b32 s3, ttmp9, s4
	s_delay_alu instid0(SALU_CYCLE_1) | instskip(SKIP_1) | instid1(VALU_DEP_1)
	v_lshl_add_u32 v2, s3, 2, v1
	s_wait_kmcnt 0x0
	v_cmp_gt_u32_e32 vcc_lo, s2, v2
	s_and_saveexec_b32 s2, vcc_lo
	s_cbranch_execz .LBB129_7
; %bb.1:
	s_load_b32 s6, s[0:1], 0x0
	v_mov_b64_e32 v[4:5], 0
	v_mov_b64_e32 v[6:7], 0
	v_and_b32_e32 v0, 0x3ff, v0
	v_mov_b32_e32 v3, 0
	s_mov_b32 s7, exec_lo
	s_wait_kmcnt 0x0
	s_delay_alu instid0(VALU_DEP_2)
	v_cmpx_gt_i32_e64 s6, v0
	s_cbranch_execz .LBB129_5
; %bb.2:
	s_clause 0x1
	s_load_b128 s[8:11], s[0:1], 0x28
	s_load_b128 s[12:15], s[0:1], 0x8
	v_lshlrev_b64_e32 v[4:5], 3, v[2:3]
	s_clause 0x1
	s_load_b32 s4, s[0:1], 0x18
	s_load_b32 s2, s[0:1], 0x38
	v_mov_b32_e32 v1, v3
	s_wait_kmcnt 0x0
	s_delay_alu instid0(VALU_DEP_2)
	v_add_nc_u64_e32 v[6:7], s[8:9], v[4:5]
	v_add_nc_u64_e32 v[4:5], s[12:13], v[4:5]
	s_ashr_i32 s5, s4, 31
	s_ashr_i32 s3, s2, 31
	s_lshl_b64 s[8:9], s[10:11], 4
	s_lshl_b64 s[10:11], s[14:15], 4
	global_load_b64 v[8:9], v[6:7], off
	global_load_b64 v[10:11], v[4:5], off
	s_wait_xcnt 0x0
	v_mul_u64_e32 v[4:5], s[2:3], v[0:1]
	v_mul_u64_e32 v[6:7], s[4:5], v[0:1]
	v_mov_b32_e32 v1, v0
	s_lshl_b64 s[2:3], s[2:3], 10
	s_lshl_b64 s[4:5], s[4:5], 10
	s_delay_alu instid0(VALU_DEP_3) | instskip(NEXT) | instid1(VALU_DEP_3)
	v_lshl_add_u64 v[4:5], v[4:5], 4, s[8:9]
	v_lshl_add_u64 v[6:7], v[6:7], 4, s[10:11]
	s_mov_b32 s8, 0
	s_wait_loadcnt 0x1
	s_delay_alu instid0(VALU_DEP_2) | instskip(SKIP_3) | instid1(VALU_DEP_3)
	v_add_nc_u64_e32 v[8:9], v[8:9], v[4:5]
	s_wait_loadcnt 0x0
	v_add_nc_u64_e32 v[6:7], v[10:11], v[6:7]
	v_mov_b64_e32 v[4:5], 0
	v_add_nc_u64_e32 v[8:9], 8, v[8:9]
	s_delay_alu instid0(VALU_DEP_3)
	v_add_nc_u64_e32 v[10:11], 8, v[6:7]
	v_mov_b64_e32 v[6:7], 0
.LBB129_3:                              ; =>This Inner Loop Header: Depth=1
	flat_load_b128 v[12:15], v[10:11] offset:-8
	flat_load_b128 v[16:19], v[8:9] offset:-8
	s_wait_xcnt 0x0
	v_add_nc_u64_e32 v[8:9], s[2:3], v[8:9]
	v_add_nc_u64_e32 v[10:11], s[4:5], v[10:11]
	v_add_nc_u32_e32 v1, 64, v1
	s_delay_alu instid0(VALU_DEP_1) | instskip(SKIP_4) | instid1(VALU_DEP_2)
	v_cmp_le_i32_e32 vcc_lo, s6, v1
	s_or_b32 s8, vcc_lo, s8
	s_wait_loadcnt_dscnt 0x0
	v_mul_f64_e32 v[20:21], v[14:15], v[18:19]
	v_mul_f64_e32 v[14:15], v[14:15], v[16:17]
	v_fmac_f64_e32 v[20:21], v[12:13], v[16:17]
	s_delay_alu instid0(VALU_DEP_2) | instskip(NEXT) | instid1(VALU_DEP_2)
	v_fma_f64 v[12:13], v[12:13], v[18:19], -v[14:15]
	v_add_f64_e32 v[4:5], v[4:5], v[20:21]
	s_delay_alu instid0(VALU_DEP_2)
	v_add_f64_e32 v[6:7], v[6:7], v[12:13]
	s_and_not1_b32 exec_lo, exec_lo, s8
	s_cbranch_execnz .LBB129_3
; %bb.4:
	s_or_b32 exec_lo, exec_lo, s8
.LBB129_5:
	s_delay_alu instid0(SALU_CYCLE_1) | instskip(SKIP_4) | instid1(VALU_DEP_1)
	s_or_b32 exec_lo, exec_lo, s7
	v_mbcnt_lo_u32_b32 v1, -1, 0
	s_load_b64 s[0:1], s[0:1], 0x50
	s_barrier_signal -1
	s_barrier_wait -1
	v_lshlrev_b32_e32 v12, 2, v1
	v_cmp_gt_u32_e32 vcc_lo, 24, v1
	ds_bpermute_b32 v10, v12, v6
	ds_bpermute_b32 v11, v12, v7
	s_wait_dscnt 0x0
	v_add_f64_e32 v[6:7], v[6:7], v[10:11]
	ds_bpermute_b32 v8, v12, v4
	ds_bpermute_b32 v9, v12, v5
	v_or_b32_e32 v11, 64, v12
	s_wait_dscnt 0x0
	v_add_f64_e32 v[4:5], v[4:5], v[8:9]
	ds_bpermute_b32 v10, v11, v6
	ds_bpermute_b32 v8, v11, v4
	;; [unrolled: 1-line block ×4, first 2 shown]
	s_wait_dscnt 0x1
	v_add_f64_e32 v[4:5], v[4:5], v[8:9]
	s_wait_dscnt 0x0
	v_add_f64_e32 v[6:7], v[6:7], v[10:11]
	v_cndmask_b32_e64 v8, 0, 8, vcc_lo
	v_cmp_gt_u32_e32 vcc_lo, 28, v1
	s_delay_alu instid0(VALU_DEP_2)
	v_add_lshl_u32 v11, v8, v1, 2
	ds_bpermute_b32 v8, v11, v4
	ds_bpermute_b32 v9, v11, v5
	;; [unrolled: 1-line block ×4, first 2 shown]
	s_wait_dscnt 0x2
	v_add_f64_e32 v[4:5], v[4:5], v[8:9]
	v_cndmask_b32_e64 v8, 0, 4, vcc_lo
	s_wait_dscnt 0x0
	v_add_f64_e32 v[6:7], v[6:7], v[10:11]
	v_cmp_gt_u32_e32 vcc_lo, 30, v1
	s_delay_alu instid0(VALU_DEP_3)
	v_add_lshl_u32 v11, v8, v1, 2
	ds_bpermute_b32 v8, v11, v4
	ds_bpermute_b32 v9, v11, v5
	;; [unrolled: 1-line block ×4, first 2 shown]
	s_wait_dscnt 0x2
	v_add_f64_e32 v[4:5], v[4:5], v[8:9]
	v_cndmask_b32_e64 v8, 0, 2, vcc_lo
	s_wait_dscnt 0x0
	v_add_f64_e32 v[6:7], v[6:7], v[10:11]
	v_cmp_ne_u32_e32 vcc_lo, 31, v1
	s_delay_alu instid0(VALU_DEP_3) | instskip(SKIP_2) | instid1(VALU_DEP_2)
	v_add_lshl_u32 v11, v8, v1, 2
	v_add_co_ci_u32_e64 v1, null, 0, v1, vcc_lo
	v_cmp_eq_u32_e32 vcc_lo, 0, v0
	v_lshlrev_b32_e32 v1, 2, v1
	ds_bpermute_b32 v8, v11, v4
	ds_bpermute_b32 v9, v11, v5
	;; [unrolled: 1-line block ×4, first 2 shown]
	s_wait_dscnt 0x2
	v_add_f64_e32 v[4:5], v[4:5], v[8:9]
	s_wait_dscnt 0x0
	v_add_f64_e32 v[6:7], v[6:7], v[10:11]
	ds_bpermute_b32 v8, v1, v4
	ds_bpermute_b32 v9, v1, v5
	;; [unrolled: 1-line block ×4, first 2 shown]
	s_and_b32 exec_lo, exec_lo, vcc_lo
	s_cbranch_execz .LBB129_7
; %bb.6:
	s_wait_dscnt 0x0
	v_add_f64_e32 v[6:7], v[6:7], v[10:11]
	v_add_f64_e32 v[4:5], v[4:5], v[8:9]
	s_wait_kmcnt 0x0
	v_lshl_add_u64 v[0:1], v[2:3], 4, s[0:1]
	global_store_b128 v[0:1], v[4:7], off
.LBB129_7:
	s_endpgm
	.section	.rodata,"a",@progbits
	.p2align	6, 0x0
	.amdhsa_kernel _ZL28rocblas_dot_batched_4_kernelIiLi64ELi4ELb1E19rocblas_complex_numIdES1_PKPKS1_EviT5_lT_lS6_lS7_liPT4_
		.amdhsa_group_segment_fixed_size 0
		.amdhsa_private_segment_fixed_size 0
		.amdhsa_kernarg_size 88
		.amdhsa_user_sgpr_count 2
		.amdhsa_user_sgpr_dispatch_ptr 0
		.amdhsa_user_sgpr_queue_ptr 0
		.amdhsa_user_sgpr_kernarg_segment_ptr 1
		.amdhsa_user_sgpr_dispatch_id 0
		.amdhsa_user_sgpr_kernarg_preload_length 0
		.amdhsa_user_sgpr_kernarg_preload_offset 0
		.amdhsa_user_sgpr_private_segment_size 0
		.amdhsa_wavefront_size32 1
		.amdhsa_uses_dynamic_stack 0
		.amdhsa_enable_private_segment 0
		.amdhsa_system_sgpr_workgroup_id_x 1
		.amdhsa_system_sgpr_workgroup_id_y 0
		.amdhsa_system_sgpr_workgroup_id_z 0
		.amdhsa_system_sgpr_workgroup_info 0
		.amdhsa_system_vgpr_workitem_id 1
		.amdhsa_next_free_vgpr 22
		.amdhsa_next_free_sgpr 16
		.amdhsa_named_barrier_count 0
		.amdhsa_reserve_vcc 1
		.amdhsa_float_round_mode_32 0
		.amdhsa_float_round_mode_16_64 0
		.amdhsa_float_denorm_mode_32 3
		.amdhsa_float_denorm_mode_16_64 3
		.amdhsa_fp16_overflow 0
		.amdhsa_memory_ordered 1
		.amdhsa_forward_progress 1
		.amdhsa_inst_pref_size 7
		.amdhsa_round_robin_scheduling 0
		.amdhsa_exception_fp_ieee_invalid_op 0
		.amdhsa_exception_fp_denorm_src 0
		.amdhsa_exception_fp_ieee_div_zero 0
		.amdhsa_exception_fp_ieee_overflow 0
		.amdhsa_exception_fp_ieee_underflow 0
		.amdhsa_exception_fp_ieee_inexact 0
		.amdhsa_exception_int_div_zero 0
	.end_amdhsa_kernel
	.section	.text._ZL28rocblas_dot_batched_4_kernelIiLi64ELi4ELb1E19rocblas_complex_numIdES1_PKPKS1_EviT5_lT_lS6_lS7_liPT4_,"axG",@progbits,_ZL28rocblas_dot_batched_4_kernelIiLi64ELi4ELb1E19rocblas_complex_numIdES1_PKPKS1_EviT5_lT_lS6_lS7_liPT4_,comdat
.Lfunc_end129:
	.size	_ZL28rocblas_dot_batched_4_kernelIiLi64ELi4ELb1E19rocblas_complex_numIdES1_PKPKS1_EviT5_lT_lS6_lS7_liPT4_, .Lfunc_end129-_ZL28rocblas_dot_batched_4_kernelIiLi64ELi4ELb1E19rocblas_complex_numIdES1_PKPKS1_EviT5_lT_lS6_lS7_liPT4_
                                        ; -- End function
	.set _ZL28rocblas_dot_batched_4_kernelIiLi64ELi4ELb1E19rocblas_complex_numIdES1_PKPKS1_EviT5_lT_lS6_lS7_liPT4_.num_vgpr, 22
	.set _ZL28rocblas_dot_batched_4_kernelIiLi64ELi4ELb1E19rocblas_complex_numIdES1_PKPKS1_EviT5_lT_lS6_lS7_liPT4_.num_agpr, 0
	.set _ZL28rocblas_dot_batched_4_kernelIiLi64ELi4ELb1E19rocblas_complex_numIdES1_PKPKS1_EviT5_lT_lS6_lS7_liPT4_.numbered_sgpr, 16
	.set _ZL28rocblas_dot_batched_4_kernelIiLi64ELi4ELb1E19rocblas_complex_numIdES1_PKPKS1_EviT5_lT_lS6_lS7_liPT4_.num_named_barrier, 0
	.set _ZL28rocblas_dot_batched_4_kernelIiLi64ELi4ELb1E19rocblas_complex_numIdES1_PKPKS1_EviT5_lT_lS6_lS7_liPT4_.private_seg_size, 0
	.set _ZL28rocblas_dot_batched_4_kernelIiLi64ELi4ELb1E19rocblas_complex_numIdES1_PKPKS1_EviT5_lT_lS6_lS7_liPT4_.uses_vcc, 1
	.set _ZL28rocblas_dot_batched_4_kernelIiLi64ELi4ELb1E19rocblas_complex_numIdES1_PKPKS1_EviT5_lT_lS6_lS7_liPT4_.uses_flat_scratch, 0
	.set _ZL28rocblas_dot_batched_4_kernelIiLi64ELi4ELb1E19rocblas_complex_numIdES1_PKPKS1_EviT5_lT_lS6_lS7_liPT4_.has_dyn_sized_stack, 0
	.set _ZL28rocblas_dot_batched_4_kernelIiLi64ELi4ELb1E19rocblas_complex_numIdES1_PKPKS1_EviT5_lT_lS6_lS7_liPT4_.has_recursion, 0
	.set _ZL28rocblas_dot_batched_4_kernelIiLi64ELi4ELb1E19rocblas_complex_numIdES1_PKPKS1_EviT5_lT_lS6_lS7_liPT4_.has_indirect_call, 0
	.section	.AMDGPU.csdata,"",@progbits
; Kernel info:
; codeLenInByte = 884
; TotalNumSgprs: 18
; NumVgprs: 22
; ScratchSize: 0
; MemoryBound: 0
; FloatMode: 240
; IeeeMode: 1
; LDSByteSize: 0 bytes/workgroup (compile time only)
; SGPRBlocks: 0
; VGPRBlocks: 1
; NumSGPRsForWavesPerEU: 18
; NumVGPRsForWavesPerEU: 22
; NamedBarCnt: 0
; Occupancy: 16
; WaveLimiterHint : 0
; COMPUTE_PGM_RSRC2:SCRATCH_EN: 0
; COMPUTE_PGM_RSRC2:USER_SGPR: 2
; COMPUTE_PGM_RSRC2:TRAP_HANDLER: 0
; COMPUTE_PGM_RSRC2:TGID_X_EN: 1
; COMPUTE_PGM_RSRC2:TGID_Y_EN: 0
; COMPUTE_PGM_RSRC2:TGID_Z_EN: 0
; COMPUTE_PGM_RSRC2:TIDIG_COMP_CNT: 1
	.section	.text._ZL26rocblas_dot_kernel_inc1by2ILb1ELi1024ELi32ELb1E19rocblas_complex_numIdEPKPKS1_S1_EviT4_llS6_lliPT5_PT3_,"axG",@progbits,_ZL26rocblas_dot_kernel_inc1by2ILb1ELi1024ELi32ELb1E19rocblas_complex_numIdEPKPKS1_S1_EviT4_llS6_lliPT5_PT3_,comdat
	.globl	_ZL26rocblas_dot_kernel_inc1by2ILb1ELi1024ELi32ELb1E19rocblas_complex_numIdEPKPKS1_S1_EviT4_llS6_lliPT5_PT3_ ; -- Begin function _ZL26rocblas_dot_kernel_inc1by2ILb1ELi1024ELi32ELb1E19rocblas_complex_numIdEPKPKS1_S1_EviT4_llS6_lliPT5_PT3_
	.p2align	8
	.type	_ZL26rocblas_dot_kernel_inc1by2ILb1ELi1024ELi32ELb1E19rocblas_complex_numIdEPKPKS1_S1_EviT4_llS6_lliPT5_PT3_,@function
_ZL26rocblas_dot_kernel_inc1by2ILb1ELi1024ELi32ELb1E19rocblas_complex_numIdEPKPKS1_S1_EviT4_llS6_lliPT5_PT3_: ; @_ZL26rocblas_dot_kernel_inc1by2ILb1ELi1024ELi32ELb1E19rocblas_complex_numIdEPKPKS1_S1_EviT4_llS6_lliPT5_PT3_
; %bb.0:
	s_load_b32 s3, s[0:1], 0x38
	s_bfe_u32 s2, ttmp6, 0x40014
	s_lshr_b32 s4, ttmp7, 16
	s_add_co_i32 s2, s2, 1
	s_bfe_u32 s5, ttmp6, 0x40008
	s_mul_i32 s2, s4, s2
	s_getreg_b32 s6, hwreg(HW_REG_IB_STS2, 6, 4)
	s_add_co_i32 s5, s5, s2
	s_cmp_eq_u32 s6, 0
	s_mov_b32 s13, 0
	s_cselect_b32 s12, s4, s5
	s_wait_kmcnt 0x0
	s_cmp_ge_u32 s12, s3
	s_cbranch_scc1 .LBB130_17
; %bb.1:
	v_mbcnt_lo_u32_b32 v2, -1, 0
	s_clause 0x3
	s_load_b64 s[14:15], s[0:1], 0x48
	s_load_b128 s[4:7], s[0:1], 0x20
	s_load_b128 s[8:11], s[0:1], 0x8
	s_load_b32 s16, s[0:1], 0x0
	v_and_b32_e32 v1, 31, v0
	s_wait_xcnt 0x0
	v_cmp_eq_u32_e64 s1, 0, v0
	v_cmp_gt_u32_e64 s0, 24, v2
	v_lshl_or_b32 v13, v2, 2, 64
	v_cmp_gt_u32_e32 vcc_lo, 32, v0
	s_delay_alu instid0(VALU_DEP_3) | instskip(SKIP_1) | instid1(VALU_DEP_2)
	v_cndmask_b32_e64 v3, 0, 8, s0
	v_cmp_gt_u32_e64 s0, 28, v2
	v_add_lshl_u32 v14, v3, v2, 2
	s_delay_alu instid0(VALU_DEP_2)
	v_cndmask_b32_e64 v4, 0, 4, s0
	v_cmp_gt_u32_e64 s0, 30, v2
	v_lshrrev_b32_e32 v3, 1, v0
	s_wait_kmcnt 0x0
	s_lshl_b64 s[10:11], s[10:11], 4
	v_cndmask_b32_e64 v5, 0, 2, s0
	v_cmp_ne_u32_e64 s0, 31, v2
	v_add_lshl_u32 v15, v4, v2, 2
	v_and_b32_e32 v18, 0x1f0, v3
	s_lshl_b64 s[6:7], s[6:7], 4
	v_add_lshl_u32 v16, v5, v2, 2
	v_add_co_ci_u32_e64 v6, null, 0, v2, s0
	v_lshlrev_b32_e32 v12, 4, v1
	v_cmp_eq_u32_e64 s0, 0, v1
	s_delay_alu instid0(VALU_DEP_3)
	v_dual_mov_b32 v2, 0 :: v_dual_lshlrev_b32 v17, 2, v6
	s_or_b32 s10, s10, 8
	s_or_b64 s[6:7], s[6:7], 8
	s_branch .LBB130_3
.LBB130_2:                              ;   in Loop: Header=BB130_3 Depth=1
	s_wait_xcnt 0x0
	s_or_b32 exec_lo, exec_lo, s2
	s_add_co_i32 s12, s12, 0x10000
	s_delay_alu instid0(SALU_CYCLE_1)
	s_cmp_lt_u32 s12, s3
	s_cbranch_scc0 .LBB130_17
.LBB130_3:                              ; =>This Loop Header: Depth=1
                                        ;     Child Loop BB130_5 Depth 2
	s_wait_dscnt 0x0
	v_mov_b64_e32 v[6:7], 0
	v_mov_b64_e32 v[8:9], 0
	s_mov_b32 s17, exec_lo
	v_cmpx_gt_i32_e64 s16, v0
	s_cbranch_execz .LBB130_7
; %bb.4:                                ;   in Loop: Header=BB130_3 Depth=1
	s_lshl_b64 s[18:19], s[12:13], 3
	v_ashrrev_i32_e32 v1, 31, v0
	s_add_nc_u64 s[20:21], s[8:9], s[18:19]
	s_add_nc_u64 s[18:19], s[4:5], s[18:19]
	s_load_b64 s[22:23], s[20:21], 0x0
	s_load_b64 s[24:25], s[18:19], 0x0
	v_mov_b64_e32 v[6:7], 0
	v_lshlrev_b64_e32 v[8:9], 4, v[0:1]
	s_wait_kmcnt 0x0
	s_wait_xcnt 0x0
	s_add_nc_u64 s[18:19], s[22:23], s[10:11]
	s_add_nc_u64 s[20:21], s[24:25], s[6:7]
	s_delay_alu instid0(VALU_DEP_1)
	v_add_nc_u64_e32 v[4:5], s[18:19], v[8:9]
	v_add_nc_u64_e32 v[10:11], s[20:21], v[8:9]
	v_mov_b64_e32 v[8:9], 0
	s_mov_b32 s18, 0
	s_mov_b32 s19, 0
.LBB130_5:                              ;   Parent Loop BB130_3 Depth=1
                                        ; =>  This Inner Loop Header: Depth=2
	flat_load_b128 v[20:23], v[10:11] offset:-8
	flat_load_b128 v[24:27], v[4:5] offset:-8
	v_add_nc_u32_e32 v0, 0x400, v0
	s_add_co_i32 s20, s19, 1
	s_cmp_gt_u32 s19, 30
	s_wait_xcnt 0x0
	v_add_nc_u64_e32 v[4:5], 0x4000, v[4:5]
	s_cselect_b32 s19, -1, 0
	v_cmp_le_i32_e64 s2, s16, v0
	v_add_nc_u64_e32 v[10:11], 0x4000, v[10:11]
	s_or_b32 s2, s19, s2
	s_mov_b32 s19, s20
	s_and_b32 s2, exec_lo, s2
	s_delay_alu instid0(SALU_CYCLE_1) | instskip(SKIP_3) | instid1(VALU_DEP_2)
	s_or_b32 s18, s2, s18
	s_wait_loadcnt_dscnt 0x0
	v_mul_f64_e32 v[28:29], v[22:23], v[26:27]
	v_mul_f64_e32 v[26:27], v[20:21], v[26:27]
	v_fmac_f64_e32 v[28:29], v[20:21], v[24:25]
	s_delay_alu instid0(VALU_DEP_2) | instskip(NEXT) | instid1(VALU_DEP_2)
	v_fma_f64 v[20:21], v[22:23], v[24:25], -v[26:27]
	v_add_f64_e32 v[8:9], v[8:9], v[28:29]
	s_delay_alu instid0(VALU_DEP_2)
	v_add_f64_e32 v[6:7], v[6:7], v[20:21]
	s_and_not1_b32 exec_lo, exec_lo, s18
	s_cbranch_execnz .LBB130_5
; %bb.6:                                ;   in Loop: Header=BB130_3 Depth=1
	s_or_b32 exec_lo, exec_lo, s18
.LBB130_7:                              ;   in Loop: Header=BB130_3 Depth=1
	s_delay_alu instid0(SALU_CYCLE_1)
	s_or_b32 exec_lo, exec_lo, s17
	s_and_saveexec_b32 s2, vcc_lo
; %bb.8:                                ;   in Loop: Header=BB130_3 Depth=1
	v_dual_mov_b32 v3, v2 :: v_dual_mov_b32 v4, v2
	v_mov_b32_e32 v5, v2
	ds_store_b128 v12, v[2:5]
; %bb.9:                                ;   in Loop: Header=BB130_3 Depth=1
	s_or_b32 exec_lo, exec_lo, s2
	ds_bpermute_b32 v4, v13, v8
	ds_bpermute_b32 v5, v13, v9
	;; [unrolled: 1-line block ×4, first 2 shown]
	s_wait_dscnt 0x0
	s_barrier_signal -1
	s_barrier_wait -1
	v_add_f64_e32 v[4:5], v[8:9], v[4:5]
	v_add_f64_e32 v[6:7], v[6:7], v[10:11]
	ds_bpermute_b32 v8, v14, v4
	ds_bpermute_b32 v9, v14, v5
	ds_bpermute_b32 v10, v14, v6
	ds_bpermute_b32 v11, v14, v7
	s_wait_dscnt 0x2
	v_add_f64_e32 v[4:5], v[4:5], v[8:9]
	s_wait_dscnt 0x0
	v_add_f64_e32 v[6:7], v[6:7], v[10:11]
	ds_bpermute_b32 v8, v15, v4
	ds_bpermute_b32 v9, v15, v5
	ds_bpermute_b32 v10, v15, v6
	ds_bpermute_b32 v11, v15, v7
	s_wait_dscnt 0x2
	v_add_f64_e32 v[4:5], v[4:5], v[8:9]
	s_wait_dscnt 0x0
	;; [unrolled: 8-line block ×3, first 2 shown]
	v_add_f64_e32 v[8:9], v[6:7], v[10:11]
	ds_bpermute_b32 v6, v17, v4
	ds_bpermute_b32 v7, v17, v5
	;; [unrolled: 1-line block ×4, first 2 shown]
	s_and_saveexec_b32 s2, s0
	s_cbranch_execz .LBB130_11
; %bb.10:                               ;   in Loop: Header=BB130_3 Depth=1
	s_wait_dscnt 0x0
	v_add_f64_e32 v[8:9], v[8:9], v[10:11]
	v_add_f64_e32 v[6:7], v[4:5], v[6:7]
	ds_store_b128 v18, v[6:9]
.LBB130_11:                             ;   in Loop: Header=BB130_3 Depth=1
	s_or_b32 exec_lo, exec_lo, s2
	s_wait_dscnt 0x2
	v_mov_b64_e32 v[6:7], 0
	v_mov_b64_e32 v[4:5], 0
	s_wait_dscnt 0x0
	s_barrier_signal -1
	s_barrier_wait -1
	s_and_saveexec_b32 s2, vcc_lo
	s_cbranch_execnz .LBB130_14
; %bb.12:                               ;   in Loop: Header=BB130_3 Depth=1
	s_or_b32 exec_lo, exec_lo, s2
	s_and_saveexec_b32 s2, vcc_lo
	s_cbranch_execnz .LBB130_15
.LBB130_13:                             ;   in Loop: Header=BB130_3 Depth=1
	s_or_b32 exec_lo, exec_lo, s2
	s_and_saveexec_b32 s2, s1
	s_cbranch_execz .LBB130_2
	s_branch .LBB130_16
.LBB130_14:                             ;   in Loop: Header=BB130_3 Depth=1
	ds_load_b128 v[4:7], v12
	s_or_b32 exec_lo, exec_lo, s2
	s_and_saveexec_b32 s2, vcc_lo
	s_cbranch_execz .LBB130_13
.LBB130_15:                             ;   in Loop: Header=BB130_3 Depth=1
	s_wait_dscnt 0x0
	ds_bpermute_b32 v8, v13, v4
	ds_bpermute_b32 v9, v13, v5
	ds_bpermute_b32 v10, v13, v6
	ds_bpermute_b32 v11, v13, v7
	s_wait_dscnt 0x2
	v_add_f64_e32 v[4:5], v[4:5], v[8:9]
	s_wait_dscnt 0x0
	v_add_f64_e32 v[6:7], v[6:7], v[10:11]
	ds_bpermute_b32 v8, v14, v4
	ds_bpermute_b32 v9, v14, v5
	ds_bpermute_b32 v10, v14, v6
	ds_bpermute_b32 v11, v14, v7
	s_wait_dscnt 0x2
	v_add_f64_e32 v[4:5], v[4:5], v[8:9]
	s_wait_dscnt 0x0
	v_add_f64_e32 v[6:7], v[6:7], v[10:11]
	;; [unrolled: 8-line block ×5, first 2 shown]
	s_or_b32 exec_lo, exec_lo, s2
	s_and_saveexec_b32 s2, s1
	s_cbranch_execz .LBB130_2
.LBB130_16:                             ;   in Loop: Header=BB130_3 Depth=1
	s_lshl_b64 s[18:19], s[12:13], 4
	s_delay_alu instid0(SALU_CYCLE_1)
	s_add_nc_u64 s[18:19], s[14:15], s[18:19]
	s_wait_dscnt 0x0
	global_store_b128 v2, v[4:7], s[18:19]
	s_branch .LBB130_2
.LBB130_17:
	s_endpgm
	.section	.rodata,"a",@progbits
	.p2align	6, 0x0
	.amdhsa_kernel _ZL26rocblas_dot_kernel_inc1by2ILb1ELi1024ELi32ELb1E19rocblas_complex_numIdEPKPKS1_S1_EviT4_llS6_lliPT5_PT3_
		.amdhsa_group_segment_fixed_size 512
		.amdhsa_private_segment_fixed_size 0
		.amdhsa_kernarg_size 80
		.amdhsa_user_sgpr_count 2
		.amdhsa_user_sgpr_dispatch_ptr 0
		.amdhsa_user_sgpr_queue_ptr 0
		.amdhsa_user_sgpr_kernarg_segment_ptr 1
		.amdhsa_user_sgpr_dispatch_id 0
		.amdhsa_user_sgpr_kernarg_preload_length 0
		.amdhsa_user_sgpr_kernarg_preload_offset 0
		.amdhsa_user_sgpr_private_segment_size 0
		.amdhsa_wavefront_size32 1
		.amdhsa_uses_dynamic_stack 0
		.amdhsa_enable_private_segment 0
		.amdhsa_system_sgpr_workgroup_id_x 1
		.amdhsa_system_sgpr_workgroup_id_y 0
		.amdhsa_system_sgpr_workgroup_id_z 1
		.amdhsa_system_sgpr_workgroup_info 0
		.amdhsa_system_vgpr_workitem_id 0
		.amdhsa_next_free_vgpr 30
		.amdhsa_next_free_sgpr 26
		.amdhsa_named_barrier_count 0
		.amdhsa_reserve_vcc 1
		.amdhsa_float_round_mode_32 0
		.amdhsa_float_round_mode_16_64 0
		.amdhsa_float_denorm_mode_32 3
		.amdhsa_float_denorm_mode_16_64 3
		.amdhsa_fp16_overflow 0
		.amdhsa_memory_ordered 1
		.amdhsa_forward_progress 1
		.amdhsa_inst_pref_size 10
		.amdhsa_round_robin_scheduling 0
		.amdhsa_exception_fp_ieee_invalid_op 0
		.amdhsa_exception_fp_denorm_src 0
		.amdhsa_exception_fp_ieee_div_zero 0
		.amdhsa_exception_fp_ieee_overflow 0
		.amdhsa_exception_fp_ieee_underflow 0
		.amdhsa_exception_fp_ieee_inexact 0
		.amdhsa_exception_int_div_zero 0
	.end_amdhsa_kernel
	.section	.text._ZL26rocblas_dot_kernel_inc1by2ILb1ELi1024ELi32ELb1E19rocblas_complex_numIdEPKPKS1_S1_EviT4_llS6_lliPT5_PT3_,"axG",@progbits,_ZL26rocblas_dot_kernel_inc1by2ILb1ELi1024ELi32ELb1E19rocblas_complex_numIdEPKPKS1_S1_EviT4_llS6_lliPT5_PT3_,comdat
.Lfunc_end130:
	.size	_ZL26rocblas_dot_kernel_inc1by2ILb1ELi1024ELi32ELb1E19rocblas_complex_numIdEPKPKS1_S1_EviT4_llS6_lliPT5_PT3_, .Lfunc_end130-_ZL26rocblas_dot_kernel_inc1by2ILb1ELi1024ELi32ELb1E19rocblas_complex_numIdEPKPKS1_S1_EviT4_llS6_lliPT5_PT3_
                                        ; -- End function
	.set _ZL26rocblas_dot_kernel_inc1by2ILb1ELi1024ELi32ELb1E19rocblas_complex_numIdEPKPKS1_S1_EviT4_llS6_lliPT5_PT3_.num_vgpr, 30
	.set _ZL26rocblas_dot_kernel_inc1by2ILb1ELi1024ELi32ELb1E19rocblas_complex_numIdEPKPKS1_S1_EviT4_llS6_lliPT5_PT3_.num_agpr, 0
	.set _ZL26rocblas_dot_kernel_inc1by2ILb1ELi1024ELi32ELb1E19rocblas_complex_numIdEPKPKS1_S1_EviT4_llS6_lliPT5_PT3_.numbered_sgpr, 26
	.set _ZL26rocblas_dot_kernel_inc1by2ILb1ELi1024ELi32ELb1E19rocblas_complex_numIdEPKPKS1_S1_EviT4_llS6_lliPT5_PT3_.num_named_barrier, 0
	.set _ZL26rocblas_dot_kernel_inc1by2ILb1ELi1024ELi32ELb1E19rocblas_complex_numIdEPKPKS1_S1_EviT4_llS6_lliPT5_PT3_.private_seg_size, 0
	.set _ZL26rocblas_dot_kernel_inc1by2ILb1ELi1024ELi32ELb1E19rocblas_complex_numIdEPKPKS1_S1_EviT4_llS6_lliPT5_PT3_.uses_vcc, 1
	.set _ZL26rocblas_dot_kernel_inc1by2ILb1ELi1024ELi32ELb1E19rocblas_complex_numIdEPKPKS1_S1_EviT4_llS6_lliPT5_PT3_.uses_flat_scratch, 0
	.set _ZL26rocblas_dot_kernel_inc1by2ILb1ELi1024ELi32ELb1E19rocblas_complex_numIdEPKPKS1_S1_EviT4_llS6_lliPT5_PT3_.has_dyn_sized_stack, 0
	.set _ZL26rocblas_dot_kernel_inc1by2ILb1ELi1024ELi32ELb1E19rocblas_complex_numIdEPKPKS1_S1_EviT4_llS6_lliPT5_PT3_.has_recursion, 0
	.set _ZL26rocblas_dot_kernel_inc1by2ILb1ELi1024ELi32ELb1E19rocblas_complex_numIdEPKPKS1_S1_EviT4_llS6_lliPT5_PT3_.has_indirect_call, 0
	.section	.AMDGPU.csdata,"",@progbits
; Kernel info:
; codeLenInByte = 1244
; TotalNumSgprs: 28
; NumVgprs: 30
; ScratchSize: 0
; MemoryBound: 0
; FloatMode: 240
; IeeeMode: 1
; LDSByteSize: 512 bytes/workgroup (compile time only)
; SGPRBlocks: 0
; VGPRBlocks: 1
; NumSGPRsForWavesPerEU: 28
; NumVGPRsForWavesPerEU: 30
; NamedBarCnt: 0
; Occupancy: 16
; WaveLimiterHint : 0
; COMPUTE_PGM_RSRC2:SCRATCH_EN: 0
; COMPUTE_PGM_RSRC2:USER_SGPR: 2
; COMPUTE_PGM_RSRC2:TRAP_HANDLER: 0
; COMPUTE_PGM_RSRC2:TGID_X_EN: 1
; COMPUTE_PGM_RSRC2:TGID_Y_EN: 0
; COMPUTE_PGM_RSRC2:TGID_Z_EN: 1
; COMPUTE_PGM_RSRC2:TIDIG_COMP_CNT: 0
	.section	.text._ZL18rocblas_dot_kernelIiLb1ELi1024ELi32ELb1E19rocblas_complex_numIdEPKPKS1_S1_EviT5_lT_lS6_lS7_liPT6_PT4_,"axG",@progbits,_ZL18rocblas_dot_kernelIiLb1ELi1024ELi32ELb1E19rocblas_complex_numIdEPKPKS1_S1_EviT5_lT_lS6_lS7_liPT6_PT4_,comdat
	.globl	_ZL18rocblas_dot_kernelIiLb1ELi1024ELi32ELb1E19rocblas_complex_numIdEPKPKS1_S1_EviT5_lT_lS6_lS7_liPT6_PT4_ ; -- Begin function _ZL18rocblas_dot_kernelIiLb1ELi1024ELi32ELb1E19rocblas_complex_numIdEPKPKS1_S1_EviT5_lT_lS6_lS7_liPT6_PT4_
	.p2align	8
	.type	_ZL18rocblas_dot_kernelIiLb1ELi1024ELi32ELb1E19rocblas_complex_numIdEPKPKS1_S1_EviT5_lT_lS6_lS7_liPT6_PT4_,@function
_ZL18rocblas_dot_kernelIiLb1ELi1024ELi32ELb1E19rocblas_complex_numIdEPKPKS1_S1_EviT5_lT_lS6_lS7_liPT6_PT4_: ; @_ZL18rocblas_dot_kernelIiLb1ELi1024ELi32ELb1E19rocblas_complex_numIdEPKPKS1_S1_EviT5_lT_lS6_lS7_liPT6_PT4_
; %bb.0:
	s_load_b32 s3, s[0:1], 0x48
	s_bfe_u32 s2, ttmp6, 0x40014
	s_lshr_b32 s4, ttmp7, 16
	s_add_co_i32 s2, s2, 1
	s_bfe_u32 s5, ttmp6, 0x40008
	s_mul_i32 s2, s4, s2
	s_getreg_b32 s6, hwreg(HW_REG_IB_STS2, 6, 4)
	s_add_co_i32 s5, s5, s2
	s_cmp_eq_u32 s6, 0
	s_mov_b32 s17, 0
	s_cselect_b32 s16, s4, s5
	s_wait_kmcnt 0x0
	s_cmp_ge_u32 s16, s3
	s_cbranch_scc1 .LBB131_17
; %bb.1:
	v_mbcnt_lo_u32_b32 v3, -1, 0
	s_clause 0x5
	s_load_b32 s20, s[0:1], 0x18
	s_load_b32 s22, s[0:1], 0x38
	s_load_b96 s[12:14], s[0:1], 0x58
	s_load_b128 s[4:7], s[0:1], 0x28
	s_load_b128 s[8:11], s[0:1], 0x8
	s_load_b32 s26, s[0:1], 0x0
	v_and_b32_e32 v2, 31, v0
	s_wait_xcnt 0x0
	v_cmp_eq_u32_e64 s1, 0, v0
	v_cmp_gt_u32_e64 s0, 24, v3
	v_lshl_or_b32 v12, v3, 2, 64
	v_cmp_gt_u32_e32 vcc_lo, 32, v0
	s_delay_alu instid0(VALU_DEP_3) | instskip(SKIP_1) | instid1(VALU_DEP_2)
	v_cndmask_b32_e64 v4, 0, 8, s0
	v_cmp_gt_u32_e64 s0, 28, v3
	v_add_lshl_u32 v13, v4, v3, 2
	s_delay_alu instid0(VALU_DEP_2)
	v_cndmask_b32_e64 v5, 0, 4, s0
	v_cmp_gt_u32_e64 s0, 30, v3
	v_lshrrev_b32_e32 v4, 1, v0
	s_wait_kmcnt 0x0
	s_ashr_i32 s21, s20, 31
	s_lshl_b32 s14, s14, 10
	s_ashr_i32 s23, s22, 31
	v_cndmask_b32_e64 v6, 0, 2, s0
	v_cmp_ne_u32_e64 s0, 31, v3
	s_ashr_i32 s15, s14, 31
	s_lshl_b64 s[18:19], s[20:21], 4
	s_mul_u64 s[20:21], s[20:21], s[14:15]
	s_lshl_b64 s[24:25], s[6:7], 4
	v_add_co_ci_u32_e64 v7, null, 0, v3, s0
	v_lshlrev_b32_e32 v1, 4, v2
	v_add_lshl_u32 v14, v5, v3, 2
	v_add_lshl_u32 v15, v6, v3, 2
	s_delay_alu instid0(VALU_DEP_4)
	v_lshlrev_b32_e32 v16, 2, v7
	v_cmp_eq_u32_e64 s0, 0, v2
	v_and_b32_e32 v17, 0x1f0, v4
	v_mov_b32_e32 v2, 0
	s_lshl_b64 s[10:11], s[10:11], 4
	s_lshl_b64 s[6:7], s[20:21], 4
	s_or_b64 s[20:21], s[24:25], 8
	s_mul_u64 s[24:25], s[22:23], s[14:15]
	s_or_b32 s10, s10, 8
	s_lshl_b64 s[22:23], s[22:23], 4
	s_lshl_b64 s[24:25], s[24:25], 4
	s_branch .LBB131_3
.LBB131_2:                              ;   in Loop: Header=BB131_3 Depth=1
	s_wait_xcnt 0x0
	s_or_b32 exec_lo, exec_lo, s2
	s_add_co_i32 s16, s16, 0x10000
	s_delay_alu instid0(SALU_CYCLE_1)
	s_cmp_lt_u32 s16, s3
	s_cbranch_scc0 .LBB131_17
.LBB131_3:                              ; =>This Loop Header: Depth=1
                                        ;     Child Loop BB131_5 Depth 2
	s_wait_dscnt 0x0
	v_mov_b64_e32 v[6:7], 0
	v_mov_b64_e32 v[8:9], 0
	s_mov_b32 s15, exec_lo
	v_cmpx_gt_i32_e64 s26, v0
	s_cbranch_execz .LBB131_7
; %bb.4:                                ;   in Loop: Header=BB131_3 Depth=1
	s_lshl_b64 s[28:29], s[16:17], 3
	v_ashrrev_i32_e32 v7, 31, v0
	s_add_nc_u64 s[30:31], s[8:9], s[28:29]
	s_add_nc_u64 s[28:29], s[4:5], s[28:29]
	s_load_b64 s[34:35], s[30:31], 0x0
	s_load_b64 s[36:37], s[28:29], 0x0
	v_mov_b64_e32 v[8:9], 0
	s_mov_b32 s27, 0
	s_wait_kmcnt 0x0
	s_wait_xcnt 0x0
	s_add_nc_u64 s[28:29], s[34:35], s[10:11]
	s_add_nc_u64 s[30:31], s[36:37], s[20:21]
	v_mad_nc_u64_u32 v[4:5], s18, v0, s[28:29]
	v_mad_nc_u64_u32 v[10:11], s22, v0, s[30:31]
	s_mov_b32 s28, 0
	s_delay_alu instid0(VALU_DEP_2) | instskip(NEXT) | instid1(VALU_DEP_2)
	v_mad_u32 v3, s19, v0, v5
	v_mad_u32 v6, s23, v0, v11
	s_delay_alu instid0(VALU_DEP_2) | instskip(NEXT) | instid1(VALU_DEP_2)
	v_mad_u32 v5, s18, v7, v3
	v_mad_u32 v11, s22, v7, v6
	v_mov_b64_e32 v[6:7], 0
.LBB131_5:                              ;   Parent Loop BB131_3 Depth=1
                                        ; =>  This Inner Loop Header: Depth=2
	flat_load_b128 v[18:21], v[10:11] offset:-8
	flat_load_b128 v[22:25], v[4:5] offset:-8
	s_add_co_i32 s29, s28, 1
	s_cmp_gt_u32 s28, 30
	s_wait_xcnt 0x0
	v_add_nc_u64_e32 v[4:5], s[6:7], v[4:5]
	s_cselect_b32 s28, -1, 0
	v_add_nc_u64_e32 v[10:11], s[24:25], v[10:11]
	v_add_nc_u32_e32 v0, s14, v0
	s_delay_alu instid0(VALU_DEP_1) | instskip(SKIP_3) | instid1(SALU_CYCLE_1)
	v_cmp_le_i32_e64 s2, s26, v0
	s_or_b32 s2, s28, s2
	s_mov_b32 s28, s29
	s_and_b32 s2, exec_lo, s2
	s_or_b32 s27, s2, s27
	s_wait_loadcnt_dscnt 0x0
	v_mul_f64_e32 v[26:27], v[20:21], v[24:25]
	v_mul_f64_e32 v[24:25], v[18:19], v[24:25]
	s_delay_alu instid0(VALU_DEP_2) | instskip(NEXT) | instid1(VALU_DEP_2)
	v_fmac_f64_e32 v[26:27], v[18:19], v[22:23]
	v_fma_f64 v[18:19], v[20:21], v[22:23], -v[24:25]
	s_delay_alu instid0(VALU_DEP_2) | instskip(NEXT) | instid1(VALU_DEP_2)
	v_add_f64_e32 v[8:9], v[8:9], v[26:27]
	v_add_f64_e32 v[6:7], v[6:7], v[18:19]
	s_and_not1_b32 exec_lo, exec_lo, s27
	s_cbranch_execnz .LBB131_5
; %bb.6:                                ;   in Loop: Header=BB131_3 Depth=1
	s_or_b32 exec_lo, exec_lo, s27
.LBB131_7:                              ;   in Loop: Header=BB131_3 Depth=1
	s_delay_alu instid0(SALU_CYCLE_1)
	s_or_b32 exec_lo, exec_lo, s15
	s_and_saveexec_b32 s2, vcc_lo
; %bb.8:                                ;   in Loop: Header=BB131_3 Depth=1
	v_dual_mov_b32 v3, v2 :: v_dual_mov_b32 v4, v2
	v_mov_b32_e32 v5, v2
	ds_store_b128 v1, v[2:5]
; %bb.9:                                ;   in Loop: Header=BB131_3 Depth=1
	s_or_b32 exec_lo, exec_lo, s2
	ds_bpermute_b32 v4, v12, v8
	ds_bpermute_b32 v5, v12, v9
	;; [unrolled: 1-line block ×4, first 2 shown]
	s_wait_dscnt 0x0
	s_barrier_signal -1
	s_barrier_wait -1
	v_add_f64_e32 v[4:5], v[8:9], v[4:5]
	v_add_f64_e32 v[6:7], v[6:7], v[10:11]
	ds_bpermute_b32 v8, v13, v4
	ds_bpermute_b32 v9, v13, v5
	ds_bpermute_b32 v10, v13, v6
	ds_bpermute_b32 v11, v13, v7
	s_wait_dscnt 0x2
	v_add_f64_e32 v[4:5], v[4:5], v[8:9]
	s_wait_dscnt 0x0
	v_add_f64_e32 v[6:7], v[6:7], v[10:11]
	ds_bpermute_b32 v8, v14, v4
	ds_bpermute_b32 v9, v14, v5
	ds_bpermute_b32 v10, v14, v6
	ds_bpermute_b32 v11, v14, v7
	s_wait_dscnt 0x2
	v_add_f64_e32 v[4:5], v[4:5], v[8:9]
	s_wait_dscnt 0x0
	;; [unrolled: 8-line block ×3, first 2 shown]
	v_add_f64_e32 v[8:9], v[6:7], v[10:11]
	ds_bpermute_b32 v6, v16, v4
	ds_bpermute_b32 v7, v16, v5
	;; [unrolled: 1-line block ×4, first 2 shown]
	s_and_saveexec_b32 s2, s0
	s_cbranch_execz .LBB131_11
; %bb.10:                               ;   in Loop: Header=BB131_3 Depth=1
	s_wait_dscnt 0x0
	v_add_f64_e32 v[8:9], v[8:9], v[10:11]
	v_add_f64_e32 v[6:7], v[4:5], v[6:7]
	ds_store_b128 v17, v[6:9]
.LBB131_11:                             ;   in Loop: Header=BB131_3 Depth=1
	s_or_b32 exec_lo, exec_lo, s2
	s_wait_dscnt 0x2
	v_mov_b64_e32 v[6:7], 0
	v_mov_b64_e32 v[4:5], 0
	s_wait_dscnt 0x0
	s_barrier_signal -1
	s_barrier_wait -1
	s_and_saveexec_b32 s2, vcc_lo
	s_cbranch_execnz .LBB131_14
; %bb.12:                               ;   in Loop: Header=BB131_3 Depth=1
	s_or_b32 exec_lo, exec_lo, s2
	s_and_saveexec_b32 s2, vcc_lo
	s_cbranch_execnz .LBB131_15
.LBB131_13:                             ;   in Loop: Header=BB131_3 Depth=1
	s_or_b32 exec_lo, exec_lo, s2
	s_and_saveexec_b32 s2, s1
	s_cbranch_execz .LBB131_2
	s_branch .LBB131_16
.LBB131_14:                             ;   in Loop: Header=BB131_3 Depth=1
	ds_load_b128 v[4:7], v1
	s_or_b32 exec_lo, exec_lo, s2
	s_and_saveexec_b32 s2, vcc_lo
	s_cbranch_execz .LBB131_13
.LBB131_15:                             ;   in Loop: Header=BB131_3 Depth=1
	s_wait_dscnt 0x0
	ds_bpermute_b32 v8, v12, v4
	ds_bpermute_b32 v9, v12, v5
	ds_bpermute_b32 v10, v12, v6
	ds_bpermute_b32 v11, v12, v7
	s_wait_dscnt 0x2
	v_add_f64_e32 v[4:5], v[4:5], v[8:9]
	s_wait_dscnt 0x0
	v_add_f64_e32 v[6:7], v[6:7], v[10:11]
	ds_bpermute_b32 v8, v13, v4
	ds_bpermute_b32 v9, v13, v5
	ds_bpermute_b32 v10, v13, v6
	ds_bpermute_b32 v11, v13, v7
	s_wait_dscnt 0x2
	v_add_f64_e32 v[4:5], v[4:5], v[8:9]
	s_wait_dscnt 0x0
	v_add_f64_e32 v[6:7], v[6:7], v[10:11]
	;; [unrolled: 8-line block ×5, first 2 shown]
	s_or_b32 exec_lo, exec_lo, s2
	s_and_saveexec_b32 s2, s1
	s_cbranch_execz .LBB131_2
.LBB131_16:                             ;   in Loop: Header=BB131_3 Depth=1
	s_lshl_b64 s[28:29], s[16:17], 4
	s_delay_alu instid0(SALU_CYCLE_1)
	s_add_nc_u64 s[28:29], s[12:13], s[28:29]
	s_wait_dscnt 0x0
	global_store_b128 v2, v[4:7], s[28:29]
	s_branch .LBB131_2
.LBB131_17:
	s_endpgm
	.section	.rodata,"a",@progbits
	.p2align	6, 0x0
	.amdhsa_kernel _ZL18rocblas_dot_kernelIiLb1ELi1024ELi32ELb1E19rocblas_complex_numIdEPKPKS1_S1_EviT5_lT_lS6_lS7_liPT6_PT4_
		.amdhsa_group_segment_fixed_size 512
		.amdhsa_private_segment_fixed_size 0
		.amdhsa_kernarg_size 352
		.amdhsa_user_sgpr_count 2
		.amdhsa_user_sgpr_dispatch_ptr 0
		.amdhsa_user_sgpr_queue_ptr 0
		.amdhsa_user_sgpr_kernarg_segment_ptr 1
		.amdhsa_user_sgpr_dispatch_id 0
		.amdhsa_user_sgpr_kernarg_preload_length 0
		.amdhsa_user_sgpr_kernarg_preload_offset 0
		.amdhsa_user_sgpr_private_segment_size 0
		.amdhsa_wavefront_size32 1
		.amdhsa_uses_dynamic_stack 0
		.amdhsa_enable_private_segment 0
		.amdhsa_system_sgpr_workgroup_id_x 1
		.amdhsa_system_sgpr_workgroup_id_y 0
		.amdhsa_system_sgpr_workgroup_id_z 1
		.amdhsa_system_sgpr_workgroup_info 0
		.amdhsa_system_vgpr_workitem_id 0
		.amdhsa_next_free_vgpr 28
		.amdhsa_next_free_sgpr 38
		.amdhsa_named_barrier_count 0
		.amdhsa_reserve_vcc 1
		.amdhsa_float_round_mode_32 0
		.amdhsa_float_round_mode_16_64 0
		.amdhsa_float_denorm_mode_32 3
		.amdhsa_float_denorm_mode_16_64 3
		.amdhsa_fp16_overflow 0
		.amdhsa_memory_ordered 1
		.amdhsa_forward_progress 1
		.amdhsa_inst_pref_size 11
		.amdhsa_round_robin_scheduling 0
		.amdhsa_exception_fp_ieee_invalid_op 0
		.amdhsa_exception_fp_denorm_src 0
		.amdhsa_exception_fp_ieee_div_zero 0
		.amdhsa_exception_fp_ieee_overflow 0
		.amdhsa_exception_fp_ieee_underflow 0
		.amdhsa_exception_fp_ieee_inexact 0
		.amdhsa_exception_int_div_zero 0
	.end_amdhsa_kernel
	.section	.text._ZL18rocblas_dot_kernelIiLb1ELi1024ELi32ELb1E19rocblas_complex_numIdEPKPKS1_S1_EviT5_lT_lS6_lS7_liPT6_PT4_,"axG",@progbits,_ZL18rocblas_dot_kernelIiLb1ELi1024ELi32ELb1E19rocblas_complex_numIdEPKPKS1_S1_EviT5_lT_lS6_lS7_liPT6_PT4_,comdat
.Lfunc_end131:
	.size	_ZL18rocblas_dot_kernelIiLb1ELi1024ELi32ELb1E19rocblas_complex_numIdEPKPKS1_S1_EviT5_lT_lS6_lS7_liPT6_PT4_, .Lfunc_end131-_ZL18rocblas_dot_kernelIiLb1ELi1024ELi32ELb1E19rocblas_complex_numIdEPKPKS1_S1_EviT5_lT_lS6_lS7_liPT6_PT4_
                                        ; -- End function
	.set _ZL18rocblas_dot_kernelIiLb1ELi1024ELi32ELb1E19rocblas_complex_numIdEPKPKS1_S1_EviT5_lT_lS6_lS7_liPT6_PT4_.num_vgpr, 28
	.set _ZL18rocblas_dot_kernelIiLb1ELi1024ELi32ELb1E19rocblas_complex_numIdEPKPKS1_S1_EviT5_lT_lS6_lS7_liPT6_PT4_.num_agpr, 0
	.set _ZL18rocblas_dot_kernelIiLb1ELi1024ELi32ELb1E19rocblas_complex_numIdEPKPKS1_S1_EviT5_lT_lS6_lS7_liPT6_PT4_.numbered_sgpr, 38
	.set _ZL18rocblas_dot_kernelIiLb1ELi1024ELi32ELb1E19rocblas_complex_numIdEPKPKS1_S1_EviT5_lT_lS6_lS7_liPT6_PT4_.num_named_barrier, 0
	.set _ZL18rocblas_dot_kernelIiLb1ELi1024ELi32ELb1E19rocblas_complex_numIdEPKPKS1_S1_EviT5_lT_lS6_lS7_liPT6_PT4_.private_seg_size, 0
	.set _ZL18rocblas_dot_kernelIiLb1ELi1024ELi32ELb1E19rocblas_complex_numIdEPKPKS1_S1_EviT5_lT_lS6_lS7_liPT6_PT4_.uses_vcc, 1
	.set _ZL18rocblas_dot_kernelIiLb1ELi1024ELi32ELb1E19rocblas_complex_numIdEPKPKS1_S1_EviT5_lT_lS6_lS7_liPT6_PT4_.uses_flat_scratch, 0
	.set _ZL18rocblas_dot_kernelIiLb1ELi1024ELi32ELb1E19rocblas_complex_numIdEPKPKS1_S1_EviT5_lT_lS6_lS7_liPT6_PT4_.has_dyn_sized_stack, 0
	.set _ZL18rocblas_dot_kernelIiLb1ELi1024ELi32ELb1E19rocblas_complex_numIdEPKPKS1_S1_EviT5_lT_lS6_lS7_liPT6_PT4_.has_recursion, 0
	.set _ZL18rocblas_dot_kernelIiLb1ELi1024ELi32ELb1E19rocblas_complex_numIdEPKPKS1_S1_EviT5_lT_lS6_lS7_liPT6_PT4_.has_indirect_call, 0
	.section	.AMDGPU.csdata,"",@progbits
; Kernel info:
; codeLenInByte = 1328
; TotalNumSgprs: 40
; NumVgprs: 28
; ScratchSize: 0
; MemoryBound: 0
; FloatMode: 240
; IeeeMode: 1
; LDSByteSize: 512 bytes/workgroup (compile time only)
; SGPRBlocks: 0
; VGPRBlocks: 1
; NumSGPRsForWavesPerEU: 40
; NumVGPRsForWavesPerEU: 28
; NamedBarCnt: 0
; Occupancy: 16
; WaveLimiterHint : 0
; COMPUTE_PGM_RSRC2:SCRATCH_EN: 0
; COMPUTE_PGM_RSRC2:USER_SGPR: 2
; COMPUTE_PGM_RSRC2:TRAP_HANDLER: 0
; COMPUTE_PGM_RSRC2:TGID_X_EN: 1
; COMPUTE_PGM_RSRC2:TGID_Y_EN: 0
; COMPUTE_PGM_RSRC2:TGID_Z_EN: 1
; COMPUTE_PGM_RSRC2:TIDIG_COMP_CNT: 0
	.section	.text._ZL24rocblas_dot_kernel_magsqIiLb1ELi1024ELi32ELb1E19rocblas_complex_numIdEPKPKS1_S1_EviT5_lT_liPT6_PT4_,"axG",@progbits,_ZL24rocblas_dot_kernel_magsqIiLb1ELi1024ELi32ELb1E19rocblas_complex_numIdEPKPKS1_S1_EviT5_lT_liPT6_PT4_,comdat
	.globl	_ZL24rocblas_dot_kernel_magsqIiLb1ELi1024ELi32ELb1E19rocblas_complex_numIdEPKPKS1_S1_EviT5_lT_liPT6_PT4_ ; -- Begin function _ZL24rocblas_dot_kernel_magsqIiLb1ELi1024ELi32ELb1E19rocblas_complex_numIdEPKPKS1_S1_EviT5_lT_liPT6_PT4_
	.p2align	8
	.type	_ZL24rocblas_dot_kernel_magsqIiLb1ELi1024ELi32ELb1E19rocblas_complex_numIdEPKPKS1_S1_EviT5_lT_liPT6_PT4_,@function
_ZL24rocblas_dot_kernel_magsqIiLb1ELi1024ELi32ELb1E19rocblas_complex_numIdEPKPKS1_S1_EviT5_lT_liPT6_PT4_: ; @_ZL24rocblas_dot_kernel_magsqIiLb1ELi1024ELi32ELb1E19rocblas_complex_numIdEPKPKS1_S1_EviT5_lT_liPT6_PT4_
; %bb.0:
	s_load_b32 s3, s[0:1], 0x28
	s_bfe_u32 s2, ttmp6, 0x40014
	s_lshr_b32 s4, ttmp7, 16
	s_add_co_i32 s2, s2, 1
	s_bfe_u32 s5, ttmp6, 0x40008
	s_mul_i32 s2, s4, s2
	s_getreg_b32 s6, hwreg(HW_REG_IB_STS2, 6, 4)
	s_add_co_i32 s5, s5, s2
	s_cmp_eq_u32 s6, 0
	s_mov_b32 s13, 0
	s_cselect_b32 s12, s4, s5
	s_wait_kmcnt 0x0
	s_cmp_ge_u32 s12, s3
	s_cbranch_scc1 .LBB132_17
; %bb.1:
	v_mbcnt_lo_u32_b32 v3, -1, 0
	s_clause 0x3
	s_load_b32 s14, s[0:1], 0x18
	s_load_b96 s[8:10], s[0:1], 0x38
	s_load_b128 s[4:7], s[0:1], 0x8
	s_load_b32 s18, s[0:1], 0x0
	v_and_b32_e32 v2, 31, v0
	s_wait_xcnt 0x0
	v_cmp_eq_u32_e64 s1, 0, v0
	v_cmp_gt_u32_e64 s0, 24, v3
	v_lshl_or_b32 v12, v3, 2, 64
	v_cmp_gt_u32_e32 vcc_lo, 32, v0
	s_delay_alu instid0(VALU_DEP_3) | instskip(SKIP_1) | instid1(VALU_DEP_2)
	v_cndmask_b32_e64 v4, 0, 8, s0
	v_cmp_gt_u32_e64 s0, 28, v3
	v_add_lshl_u32 v13, v4, v3, 2
	s_delay_alu instid0(VALU_DEP_2)
	v_cndmask_b32_e64 v5, 0, 4, s0
	v_cmp_gt_u32_e64 s0, 30, v3
	v_lshrrev_b32_e32 v4, 1, v0
	s_wait_kmcnt 0x0
	s_ashr_i32 s15, s14, 31
	s_lshl_b32 s10, s10, 10
	v_cndmask_b32_e64 v6, 0, 2, s0
	v_cmp_ne_u32_e64 s0, 31, v3
	s_ashr_i32 s11, s10, 31
	v_add_lshl_u32 v14, v5, v3, 2
	v_and_b32_e32 v17, 0x1f0, v4
	v_add_lshl_u32 v15, v6, v3, 2
	v_add_co_ci_u32_e64 v7, null, 0, v3, s0
	v_lshlrev_b32_e32 v1, 4, v2
	v_cmp_eq_u32_e64 s0, 0, v2
	s_delay_alu instid0(VALU_DEP_3)
	v_dual_mov_b32 v2, 0 :: v_dual_lshlrev_b32 v16, 2, v7
	s_mul_u64 s[16:17], s[14:15], s[10:11]
	s_lshl_b64 s[6:7], s[6:7], 4
	s_lshl_b64 s[14:15], s[14:15], 4
	;; [unrolled: 1-line block ×3, first 2 shown]
	s_branch .LBB132_3
.LBB132_2:                              ;   in Loop: Header=BB132_3 Depth=1
	s_wait_xcnt 0x0
	s_or_b32 exec_lo, exec_lo, s2
	s_add_co_i32 s12, s12, 0x10000
	s_delay_alu instid0(SALU_CYCLE_1)
	s_cmp_lt_u32 s12, s3
	s_cbranch_scc0 .LBB132_17
.LBB132_3:                              ; =>This Loop Header: Depth=1
                                        ;     Child Loop BB132_5 Depth 2
	s_wait_dscnt 0x0
	v_mov_b64_e32 v[6:7], 0
	v_mov_b64_e32 v[8:9], 0
	s_mov_b32 s11, exec_lo
	v_cmpx_gt_i32_e64 s18, v0
	s_cbranch_execz .LBB132_7
; %bb.4:                                ;   in Loop: Header=BB132_3 Depth=1
	s_lshl_b64 s[20:21], s[12:13], 3
	v_mov_b64_e32 v[6:7], 0
	s_add_nc_u64 s[20:21], s[4:5], s[20:21]
	v_mov_b64_e32 v[8:9], 0
	s_load_b64 s[20:21], s[20:21], 0x0
	s_mov_b32 s19, 0
	s_wait_kmcnt 0x0
	s_wait_xcnt 0x0
	s_add_nc_u64 s[20:21], s[20:21], s[6:7]
	s_delay_alu instid0(SALU_CYCLE_1) | instskip(SKIP_1) | instid1(VALU_DEP_1)
	v_mad_nc_u64_u32 v[4:5], s14, v0, s[20:21]
	s_mov_b32 s20, 0
	v_mad_u32 v3, s15, v0, v5
	v_ashrrev_i32_e32 v5, 31, v0
	s_delay_alu instid0(VALU_DEP_1)
	v_mad_u32 v5, s14, v5, v3
.LBB132_5:                              ;   Parent Loop BB132_3 Depth=1
                                        ; =>  This Inner Loop Header: Depth=2
	flat_load_b128 v[18:21], v[4:5]
	s_add_co_i32 s21, s20, 1
	s_cmp_gt_u32 s20, 30
	s_wait_xcnt 0x0
	v_add_nc_u64_e32 v[4:5], s[16:17], v[4:5]
	s_cselect_b32 s20, -1, 0
	v_add_nc_u32_e32 v0, s10, v0
	s_delay_alu instid0(VALU_DEP_1) | instskip(SKIP_3) | instid1(SALU_CYCLE_1)
	v_cmp_le_i32_e64 s2, s18, v0
	s_or_b32 s2, s20, s2
	s_mov_b32 s20, s21
	s_and_b32 s2, exec_lo, s2
	s_or_b32 s19, s2, s19
	s_wait_loadcnt_dscnt 0x0
	v_mul_f64_e32 v[10:11], v[20:21], v[20:21]
	v_mul_f64_e32 v[22:23], v[18:19], v[20:21]
	s_delay_alu instid0(VALU_DEP_2) | instskip(NEXT) | instid1(VALU_DEP_2)
	v_fmac_f64_e32 v[10:11], v[18:19], v[18:19]
	v_fma_f64 v[18:19], v[18:19], v[20:21], -v[22:23]
	s_delay_alu instid0(VALU_DEP_2) | instskip(NEXT) | instid1(VALU_DEP_2)
	v_add_f64_e32 v[8:9], v[8:9], v[10:11]
	v_add_f64_e32 v[6:7], v[6:7], v[18:19]
	s_and_not1_b32 exec_lo, exec_lo, s19
	s_cbranch_execnz .LBB132_5
; %bb.6:                                ;   in Loop: Header=BB132_3 Depth=1
	s_or_b32 exec_lo, exec_lo, s19
.LBB132_7:                              ;   in Loop: Header=BB132_3 Depth=1
	s_delay_alu instid0(SALU_CYCLE_1)
	s_or_b32 exec_lo, exec_lo, s11
	s_and_saveexec_b32 s2, vcc_lo
; %bb.8:                                ;   in Loop: Header=BB132_3 Depth=1
	v_dual_mov_b32 v3, v2 :: v_dual_mov_b32 v4, v2
	v_mov_b32_e32 v5, v2
	ds_store_b128 v1, v[2:5]
; %bb.9:                                ;   in Loop: Header=BB132_3 Depth=1
	s_or_b32 exec_lo, exec_lo, s2
	ds_bpermute_b32 v4, v12, v8
	ds_bpermute_b32 v5, v12, v9
	;; [unrolled: 1-line block ×4, first 2 shown]
	s_wait_dscnt 0x0
	s_barrier_signal -1
	s_barrier_wait -1
	v_add_f64_e32 v[4:5], v[8:9], v[4:5]
	v_add_f64_e32 v[6:7], v[6:7], v[10:11]
	ds_bpermute_b32 v8, v13, v4
	ds_bpermute_b32 v9, v13, v5
	ds_bpermute_b32 v10, v13, v6
	ds_bpermute_b32 v11, v13, v7
	s_wait_dscnt 0x2
	v_add_f64_e32 v[4:5], v[4:5], v[8:9]
	s_wait_dscnt 0x0
	v_add_f64_e32 v[6:7], v[6:7], v[10:11]
	ds_bpermute_b32 v8, v14, v4
	ds_bpermute_b32 v9, v14, v5
	ds_bpermute_b32 v10, v14, v6
	ds_bpermute_b32 v11, v14, v7
	s_wait_dscnt 0x2
	v_add_f64_e32 v[4:5], v[4:5], v[8:9]
	s_wait_dscnt 0x0
	;; [unrolled: 8-line block ×3, first 2 shown]
	v_add_f64_e32 v[8:9], v[6:7], v[10:11]
	ds_bpermute_b32 v6, v16, v4
	ds_bpermute_b32 v7, v16, v5
	ds_bpermute_b32 v10, v16, v8
	ds_bpermute_b32 v11, v16, v9
	s_and_saveexec_b32 s2, s0
	s_cbranch_execz .LBB132_11
; %bb.10:                               ;   in Loop: Header=BB132_3 Depth=1
	s_wait_dscnt 0x0
	v_add_f64_e32 v[8:9], v[8:9], v[10:11]
	v_add_f64_e32 v[6:7], v[4:5], v[6:7]
	ds_store_b128 v17, v[6:9]
.LBB132_11:                             ;   in Loop: Header=BB132_3 Depth=1
	s_or_b32 exec_lo, exec_lo, s2
	s_wait_dscnt 0x2
	v_mov_b64_e32 v[6:7], 0
	v_mov_b64_e32 v[4:5], 0
	s_wait_dscnt 0x0
	s_barrier_signal -1
	s_barrier_wait -1
	s_and_saveexec_b32 s2, vcc_lo
	s_cbranch_execnz .LBB132_14
; %bb.12:                               ;   in Loop: Header=BB132_3 Depth=1
	s_or_b32 exec_lo, exec_lo, s2
	s_and_saveexec_b32 s2, vcc_lo
	s_cbranch_execnz .LBB132_15
.LBB132_13:                             ;   in Loop: Header=BB132_3 Depth=1
	s_or_b32 exec_lo, exec_lo, s2
	s_and_saveexec_b32 s2, s1
	s_cbranch_execz .LBB132_2
	s_branch .LBB132_16
.LBB132_14:                             ;   in Loop: Header=BB132_3 Depth=1
	ds_load_b128 v[4:7], v1
	s_or_b32 exec_lo, exec_lo, s2
	s_and_saveexec_b32 s2, vcc_lo
	s_cbranch_execz .LBB132_13
.LBB132_15:                             ;   in Loop: Header=BB132_3 Depth=1
	s_wait_dscnt 0x0
	ds_bpermute_b32 v8, v12, v4
	ds_bpermute_b32 v9, v12, v5
	ds_bpermute_b32 v10, v12, v6
	ds_bpermute_b32 v11, v12, v7
	s_wait_dscnt 0x2
	v_add_f64_e32 v[4:5], v[4:5], v[8:9]
	s_wait_dscnt 0x0
	v_add_f64_e32 v[6:7], v[6:7], v[10:11]
	ds_bpermute_b32 v8, v13, v4
	ds_bpermute_b32 v9, v13, v5
	ds_bpermute_b32 v10, v13, v6
	ds_bpermute_b32 v11, v13, v7
	s_wait_dscnt 0x2
	v_add_f64_e32 v[4:5], v[4:5], v[8:9]
	s_wait_dscnt 0x0
	v_add_f64_e32 v[6:7], v[6:7], v[10:11]
	;; [unrolled: 8-line block ×5, first 2 shown]
	s_or_b32 exec_lo, exec_lo, s2
	s_and_saveexec_b32 s2, s1
	s_cbranch_execz .LBB132_2
.LBB132_16:                             ;   in Loop: Header=BB132_3 Depth=1
	s_lshl_b64 s[20:21], s[12:13], 4
	s_delay_alu instid0(SALU_CYCLE_1)
	s_add_nc_u64 s[20:21], s[8:9], s[20:21]
	s_wait_dscnt 0x0
	global_store_b128 v2, v[4:7], s[20:21]
	s_branch .LBB132_2
.LBB132_17:
	s_endpgm
	.section	.rodata,"a",@progbits
	.p2align	6, 0x0
	.amdhsa_kernel _ZL24rocblas_dot_kernel_magsqIiLb1ELi1024ELi32ELb1E19rocblas_complex_numIdEPKPKS1_S1_EviT5_lT_liPT6_PT4_
		.amdhsa_group_segment_fixed_size 512
		.amdhsa_private_segment_fixed_size 0
		.amdhsa_kernarg_size 320
		.amdhsa_user_sgpr_count 2
		.amdhsa_user_sgpr_dispatch_ptr 0
		.amdhsa_user_sgpr_queue_ptr 0
		.amdhsa_user_sgpr_kernarg_segment_ptr 1
		.amdhsa_user_sgpr_dispatch_id 0
		.amdhsa_user_sgpr_kernarg_preload_length 0
		.amdhsa_user_sgpr_kernarg_preload_offset 0
		.amdhsa_user_sgpr_private_segment_size 0
		.amdhsa_wavefront_size32 1
		.amdhsa_uses_dynamic_stack 0
		.amdhsa_enable_private_segment 0
		.amdhsa_system_sgpr_workgroup_id_x 1
		.amdhsa_system_sgpr_workgroup_id_y 0
		.amdhsa_system_sgpr_workgroup_id_z 1
		.amdhsa_system_sgpr_workgroup_info 0
		.amdhsa_system_vgpr_workitem_id 0
		.amdhsa_next_free_vgpr 24
		.amdhsa_next_free_sgpr 22
		.amdhsa_named_barrier_count 0
		.amdhsa_reserve_vcc 1
		.amdhsa_float_round_mode_32 0
		.amdhsa_float_round_mode_16_64 0
		.amdhsa_float_denorm_mode_32 3
		.amdhsa_float_denorm_mode_16_64 3
		.amdhsa_fp16_overflow 0
		.amdhsa_memory_ordered 1
		.amdhsa_forward_progress 1
		.amdhsa_inst_pref_size 10
		.amdhsa_round_robin_scheduling 0
		.amdhsa_exception_fp_ieee_invalid_op 0
		.amdhsa_exception_fp_denorm_src 0
		.amdhsa_exception_fp_ieee_div_zero 0
		.amdhsa_exception_fp_ieee_overflow 0
		.amdhsa_exception_fp_ieee_underflow 0
		.amdhsa_exception_fp_ieee_inexact 0
		.amdhsa_exception_int_div_zero 0
	.end_amdhsa_kernel
	.section	.text._ZL24rocblas_dot_kernel_magsqIiLb1ELi1024ELi32ELb1E19rocblas_complex_numIdEPKPKS1_S1_EviT5_lT_liPT6_PT4_,"axG",@progbits,_ZL24rocblas_dot_kernel_magsqIiLb1ELi1024ELi32ELb1E19rocblas_complex_numIdEPKPKS1_S1_EviT5_lT_liPT6_PT4_,comdat
.Lfunc_end132:
	.size	_ZL24rocblas_dot_kernel_magsqIiLb1ELi1024ELi32ELb1E19rocblas_complex_numIdEPKPKS1_S1_EviT5_lT_liPT6_PT4_, .Lfunc_end132-_ZL24rocblas_dot_kernel_magsqIiLb1ELi1024ELi32ELb1E19rocblas_complex_numIdEPKPKS1_S1_EviT5_lT_liPT6_PT4_
                                        ; -- End function
	.set _ZL24rocblas_dot_kernel_magsqIiLb1ELi1024ELi32ELb1E19rocblas_complex_numIdEPKPKS1_S1_EviT5_lT_liPT6_PT4_.num_vgpr, 24
	.set _ZL24rocblas_dot_kernel_magsqIiLb1ELi1024ELi32ELb1E19rocblas_complex_numIdEPKPKS1_S1_EviT5_lT_liPT6_PT4_.num_agpr, 0
	.set _ZL24rocblas_dot_kernel_magsqIiLb1ELi1024ELi32ELb1E19rocblas_complex_numIdEPKPKS1_S1_EviT5_lT_liPT6_PT4_.numbered_sgpr, 22
	.set _ZL24rocblas_dot_kernel_magsqIiLb1ELi1024ELi32ELb1E19rocblas_complex_numIdEPKPKS1_S1_EviT5_lT_liPT6_PT4_.num_named_barrier, 0
	.set _ZL24rocblas_dot_kernel_magsqIiLb1ELi1024ELi32ELb1E19rocblas_complex_numIdEPKPKS1_S1_EviT5_lT_liPT6_PT4_.private_seg_size, 0
	.set _ZL24rocblas_dot_kernel_magsqIiLb1ELi1024ELi32ELb1E19rocblas_complex_numIdEPKPKS1_S1_EviT5_lT_liPT6_PT4_.uses_vcc, 1
	.set _ZL24rocblas_dot_kernel_magsqIiLb1ELi1024ELi32ELb1E19rocblas_complex_numIdEPKPKS1_S1_EviT5_lT_liPT6_PT4_.uses_flat_scratch, 0
	.set _ZL24rocblas_dot_kernel_magsqIiLb1ELi1024ELi32ELb1E19rocblas_complex_numIdEPKPKS1_S1_EviT5_lT_liPT6_PT4_.has_dyn_sized_stack, 0
	.set _ZL24rocblas_dot_kernel_magsqIiLb1ELi1024ELi32ELb1E19rocblas_complex_numIdEPKPKS1_S1_EviT5_lT_liPT6_PT4_.has_recursion, 0
	.set _ZL24rocblas_dot_kernel_magsqIiLb1ELi1024ELi32ELb1E19rocblas_complex_numIdEPKPKS1_S1_EviT5_lT_liPT6_PT4_.has_indirect_call, 0
	.section	.AMDGPU.csdata,"",@progbits
; Kernel info:
; codeLenInByte = 1232
; TotalNumSgprs: 24
; NumVgprs: 24
; ScratchSize: 0
; MemoryBound: 0
; FloatMode: 240
; IeeeMode: 1
; LDSByteSize: 512 bytes/workgroup (compile time only)
; SGPRBlocks: 0
; VGPRBlocks: 1
; NumSGPRsForWavesPerEU: 24
; NumVGPRsForWavesPerEU: 24
; NamedBarCnt: 0
; Occupancy: 16
; WaveLimiterHint : 0
; COMPUTE_PGM_RSRC2:SCRATCH_EN: 0
; COMPUTE_PGM_RSRC2:USER_SGPR: 2
; COMPUTE_PGM_RSRC2:TRAP_HANDLER: 0
; COMPUTE_PGM_RSRC2:TGID_X_EN: 1
; COMPUTE_PGM_RSRC2:TGID_Y_EN: 0
; COMPUTE_PGM_RSRC2:TGID_Z_EN: 1
; COMPUTE_PGM_RSRC2:TIDIG_COMP_CNT: 0
	.section	.text._ZL23rocblas_dot_kernel_inc1ILb0ELi512ELi2ELb1E19rocblas_complex_numIdEPKPKS1_S1_EviT4_llS6_lliPT5_PT3_,"axG",@progbits,_ZL23rocblas_dot_kernel_inc1ILb0ELi512ELi2ELb1E19rocblas_complex_numIdEPKPKS1_S1_EviT4_llS6_lliPT5_PT3_,comdat
	.globl	_ZL23rocblas_dot_kernel_inc1ILb0ELi512ELi2ELb1E19rocblas_complex_numIdEPKPKS1_S1_EviT4_llS6_lliPT5_PT3_ ; -- Begin function _ZL23rocblas_dot_kernel_inc1ILb0ELi512ELi2ELb1E19rocblas_complex_numIdEPKPKS1_S1_EviT4_llS6_lliPT5_PT3_
	.p2align	8
	.type	_ZL23rocblas_dot_kernel_inc1ILb0ELi512ELi2ELb1E19rocblas_complex_numIdEPKPKS1_S1_EviT4_llS6_lliPT5_PT3_,@function
_ZL23rocblas_dot_kernel_inc1ILb0ELi512ELi2ELb1E19rocblas_complex_numIdEPKPKS1_S1_EviT4_llS6_lliPT5_PT3_: ; @_ZL23rocblas_dot_kernel_inc1ILb0ELi512ELi2ELb1E19rocblas_complex_numIdEPKPKS1_S1_EviT4_llS6_lliPT5_PT3_
; %bb.0:
	s_load_b32 s28, s[0:1], 0x38
	s_bfe_u32 s2, ttmp6, 0x40014
	s_lshr_b32 s3, ttmp7, 16
	s_add_co_i32 s2, s2, 1
	s_bfe_u32 s5, ttmp6, 0x40008
	s_mul_i32 s4, s3, s2
	s_getreg_b32 s2, hwreg(HW_REG_IB_STS2, 6, 4)
	s_add_co_i32 s5, s5, s4
	s_cmp_eq_u32 s2, 0
	s_mov_b32 s17, 0
	s_cselect_b32 s16, s3, s5
	s_wait_kmcnt 0x0
	s_cmp_ge_u32 s16, s28
	s_cbranch_scc1 .LBB133_21
; %bb.1:
	v_mbcnt_lo_u32_b32 v2, -1, 0
	s_clause 0x4
	s_load_b32 s18, s[0:1], 0x50
	s_load_b128 s[4:7], s[0:1], 0x40
	s_load_b128 s[8:11], s[0:1], 0x20
	;; [unrolled: 1-line block ×3, first 2 shown]
	s_load_b32 s29, s[0:1], 0x0
	s_bfe_u32 s3, ttmp6, 0x4000c
	s_wait_xcnt 0x0
	s_and_b32 s1, ttmp6, 15
	s_add_co_i32 s3, s3, 1
	v_cmp_gt_u32_e32 vcc_lo, 24, v2
	s_mul_i32 s3, ttmp9, s3
	v_and_b32_e32 v1, 31, v0
	s_add_co_i32 s1, s1, s3
	s_cmp_eq_u32 s2, 0
	v_cndmask_b32_e64 v3, 0, 8, vcc_lo
	v_cmp_gt_u32_e32 vcc_lo, 28, v2
	s_cselect_b32 s22, ttmp9, s1
	s_mov_b32 s23, s17
	v_cmp_gt_u32_e64 s0, 32, v0
	v_add_lshl_u32 v14, v3, v2, 2
	v_cndmask_b32_e64 v4, 0, 4, vcc_lo
	v_cmp_gt_u32_e32 vcc_lo, 30, v2
	v_lshrrev_b32_e32 v3, 1, v0
	s_wait_kmcnt 0x0
	s_cmp_lg_u32 s18, 1
	v_lshl_or_b32 v13, v2, 2, 64
	s_cselect_b32 s30, -1, 0
	v_cndmask_b32_e64 v5, 0, 2, vcc_lo
	v_cmp_ne_u32_e32 vcc_lo, 31, v2
	s_lshl_b32 s20, s18, 9
	v_lshl_or_b32 v6, s22, 9, v0
	v_add_lshl_u32 v15, v4, v2, 2
	v_add_lshl_u32 v16, v5, v2, 2
	v_add_co_ci_u32_e64 v7, null, 0, v2, vcc_lo
	v_lshlrev_b32_e32 v12, 4, v1
	v_cmp_eq_u32_e64 s1, 0, v1
	v_and_b32_e32 v18, 0xf0, v3
	s_delay_alu instid0(VALU_DEP_4)
	v_lshlrev_b32_e32 v17, 2, v7
	v_cmp_gt_u32_e64 s2, 16, v0
	v_cmp_eq_u32_e64 s3, 0, v0
	v_mov_b32_e32 v0, 0
	s_lshl_b64 s[22:23], s[22:23], 4
	s_ashr_i32 s21, s20, 31
	s_mov_b32 s19, s17
	s_add_nc_u64 s[4:5], s[4:5], s[22:23]
	s_lshl_b64 s[14:15], s[14:15], 4
	s_lshl_b64 s[10:11], s[10:11], 4
	;; [unrolled: 1-line block ×3, first 2 shown]
	s_branch .LBB133_4
.LBB133_2:                              ;   in Loop: Header=BB133_4 Depth=1
	s_wait_dscnt 0x0
	global_store_b64 v0, v[4:5], s[24:25] offset:8
.LBB133_3:                              ;   in Loop: Header=BB133_4 Depth=1
	s_wait_xcnt 0x0
	s_or_b32 exec_lo, exec_lo, s21
	s_add_co_i32 s16, s16, 0x10000
	s_delay_alu instid0(SALU_CYCLE_1)
	s_cmp_lt_u32 s16, s28
	s_cbranch_scc0 .LBB133_21
.LBB133_4:                              ; =>This Inner Loop Header: Depth=1
	s_wait_dscnt 0x0
	v_mov_b64_e32 v[4:5], 0
	v_mov_b64_e32 v[8:9], 0
	s_mov_b32 s21, exec_lo
	v_cmpx_gt_i32_e64 s29, v6
	s_cbranch_execz .LBB133_8
; %bb.5:                                ;   in Loop: Header=BB133_4 Depth=1
	s_lshl_b64 s[24:25], s[16:17], 3
	s_mov_b32 s31, exec_lo
	s_add_nc_u64 s[26:27], s[8:9], s[24:25]
	s_add_nc_u64 s[24:25], s[12:13], s[24:25]
	s_load_b64 s[34:35], s[26:27], 0x0
	s_load_b64 s[36:37], s[24:25], 0x0
	v_add_nc_u32_e32 v1, s20, v6
	s_wait_kmcnt 0x0
	s_wait_xcnt 0x0
	s_add_nc_u64 s[26:27], s[34:35], s[10:11]
	s_add_nc_u64 s[24:25], s[36:37], s[14:15]
	s_clause 0x1
	flat_load_b128 v[2:5], v6, s[26:27] scale_offset
	flat_load_b128 v[8:11], v6, s[24:25] scale_offset
	s_wait_loadcnt_dscnt 0x0
	v_mul_f64_e32 v[20:21], v[4:5], v[10:11]
	v_mul_f64_e32 v[10:11], v[2:3], v[10:11]
	s_delay_alu instid0(VALU_DEP_2) | instskip(NEXT) | instid1(VALU_DEP_2)
	v_fmac_f64_e32 v[20:21], v[2:3], v[8:9]
	v_fma_f64 v[2:3], v[4:5], v[8:9], -v[10:11]
	s_delay_alu instid0(VALU_DEP_2) | instskip(NEXT) | instid1(VALU_DEP_2)
	v_add_f64_e32 v[4:5], 0, v[20:21]
	v_add_f64_e32 v[8:9], 0, v[2:3]
	s_wait_xcnt 0x0
	v_cmpx_gt_i32_e64 s29, v1
	s_cbranch_execz .LBB133_7
; %bb.6:                                ;   in Loop: Header=BB133_4 Depth=1
	v_dual_ashrrev_i32 v7, 31, v6 :: v_dual_add_nc_u32 v1, s20, v1
	s_delay_alu instid0(VALU_DEP_1) | instskip(NEXT) | instid1(VALU_DEP_1)
	v_lshlrev_b64_e32 v[2:3], 4, v[6:7]
	v_add_nc_u64_e32 v[6:7], s[26:27], v[2:3]
	v_add_nc_u64_e32 v[2:3], s[24:25], v[2:3]
	s_delay_alu instid0(VALU_DEP_2) | instskip(NEXT) | instid1(VALU_DEP_2)
	v_add_nc_u64_e32 v[6:7], s[22:23], v[6:7]
	v_add_nc_u64_e32 v[2:3], s[22:23], v[2:3]
	flat_load_b128 v[20:23], v[6:7]
	flat_load_b128 v[24:27], v[2:3]
	s_wait_loadcnt_dscnt 0x0
	s_wait_xcnt 0x0
	v_mul_f64_e32 v[2:3], v[20:21], v[26:27]
	v_mul_f64_e32 v[6:7], v[22:23], v[26:27]
	s_delay_alu instid0(VALU_DEP_2) | instskip(NEXT) | instid1(VALU_DEP_2)
	v_fma_f64 v[2:3], v[22:23], v[24:25], -v[2:3]
	v_fmac_f64_e32 v[6:7], v[20:21], v[24:25]
	s_delay_alu instid0(VALU_DEP_2) | instskip(NEXT) | instid1(VALU_DEP_2)
	v_add_f64_e32 v[8:9], v[8:9], v[2:3]
	v_add_f64_e32 v[4:5], v[4:5], v[6:7]
.LBB133_7:                              ;   in Loop: Header=BB133_4 Depth=1
	s_or_b32 exec_lo, exec_lo, s31
	v_mov_b32_e32 v6, v1
.LBB133_8:                              ;   in Loop: Header=BB133_4 Depth=1
	s_or_b32 exec_lo, exec_lo, s21
	s_and_saveexec_b32 s21, s0
; %bb.9:                                ;   in Loop: Header=BB133_4 Depth=1
	v_dual_mov_b32 v1, v0 :: v_dual_mov_b32 v2, v0
	v_mov_b32_e32 v3, v0
	ds_store_b128 v12, v[0:3]
; %bb.10:                               ;   in Loop: Header=BB133_4 Depth=1
	s_or_b32 exec_lo, exec_lo, s21
	ds_bpermute_b32 v2, v13, v4
	ds_bpermute_b32 v3, v13, v5
	;; [unrolled: 1-line block ×4, first 2 shown]
	s_wait_dscnt 0x0
	s_barrier_signal -1
	s_barrier_wait -1
	v_add_f64_e32 v[2:3], v[4:5], v[2:3]
	v_add_f64_e32 v[4:5], v[8:9], v[10:11]
	ds_bpermute_b32 v8, v14, v2
	ds_bpermute_b32 v9, v14, v3
	ds_bpermute_b32 v10, v14, v4
	ds_bpermute_b32 v11, v14, v5
	s_wait_dscnt 0x2
	v_add_f64_e32 v[2:3], v[2:3], v[8:9]
	s_wait_dscnt 0x0
	v_add_f64_e32 v[4:5], v[4:5], v[10:11]
	ds_bpermute_b32 v8, v15, v2
	ds_bpermute_b32 v9, v15, v3
	ds_bpermute_b32 v10, v15, v4
	ds_bpermute_b32 v11, v15, v5
	s_wait_dscnt 0x2
	v_add_f64_e32 v[2:3], v[2:3], v[8:9]
	s_wait_dscnt 0x0
	;; [unrolled: 8-line block ×3, first 2 shown]
	v_add_f64_e32 v[8:9], v[4:5], v[10:11]
	ds_bpermute_b32 v4, v17, v2
	ds_bpermute_b32 v5, v17, v3
	;; [unrolled: 1-line block ×4, first 2 shown]
	s_and_saveexec_b32 s21, s1
	s_cbranch_execz .LBB133_12
; %bb.11:                               ;   in Loop: Header=BB133_4 Depth=1
	s_wait_dscnt 0x0
	v_add_f64_e32 v[10:11], v[8:9], v[10:11]
	v_add_f64_e32 v[8:9], v[2:3], v[4:5]
	ds_store_b128 v18, v[8:11]
.LBB133_12:                             ;   in Loop: Header=BB133_4 Depth=1
	s_or_b32 exec_lo, exec_lo, s21
	s_wait_dscnt 0x2
	v_mov_b64_e32 v[4:5], 0
	v_mov_b64_e32 v[2:3], 0
	s_wait_dscnt 0x0
	s_barrier_signal -1
	s_barrier_wait -1
	s_and_saveexec_b32 s21, s2
	s_cbranch_execnz .LBB133_15
; %bb.13:                               ;   in Loop: Header=BB133_4 Depth=1
	s_or_b32 exec_lo, exec_lo, s21
	s_and_saveexec_b32 s21, s0
	s_cbranch_execnz .LBB133_16
.LBB133_14:                             ;   in Loop: Header=BB133_4 Depth=1
	s_or_b32 exec_lo, exec_lo, s21
	s_and_saveexec_b32 s21, s3
	s_cbranch_execz .LBB133_3
	s_branch .LBB133_17
.LBB133_15:                             ;   in Loop: Header=BB133_4 Depth=1
	ds_load_b128 v[2:5], v12
	s_or_b32 exec_lo, exec_lo, s21
	s_and_saveexec_b32 s21, s0
	s_cbranch_execz .LBB133_14
.LBB133_16:                             ;   in Loop: Header=BB133_4 Depth=1
	s_wait_dscnt 0x0
	ds_bpermute_b32 v8, v14, v2
	ds_bpermute_b32 v9, v14, v3
	ds_bpermute_b32 v10, v14, v4
	ds_bpermute_b32 v11, v14, v5
	s_wait_dscnt 0x2
	v_add_f64_e32 v[2:3], v[2:3], v[8:9]
	s_wait_dscnt 0x0
	v_add_f64_e32 v[4:5], v[4:5], v[10:11]
	ds_bpermute_b32 v8, v15, v2
	ds_bpermute_b32 v9, v15, v3
	ds_bpermute_b32 v10, v15, v4
	ds_bpermute_b32 v11, v15, v5
	s_wait_dscnt 0x2
	v_add_f64_e32 v[2:3], v[2:3], v[8:9]
	s_wait_dscnt 0x0
	v_add_f64_e32 v[4:5], v[4:5], v[10:11]
	;; [unrolled: 8-line block ×4, first 2 shown]
	s_or_b32 exec_lo, exec_lo, s21
	s_and_saveexec_b32 s21, s3
	s_cbranch_execz .LBB133_3
.LBB133_17:                             ;   in Loop: Header=BB133_4 Depth=1
	s_and_b32 vcc_lo, exec_lo, s30
	s_mov_b32 s26, -1
                                        ; implicit-def: $sgpr24_sgpr25
	s_cbranch_vccz .LBB133_19
; %bb.18:                               ;   in Loop: Header=BB133_4 Depth=1
	s_mul_u64 s[24:25], s[18:19], s[16:17]
	s_mov_b32 s26, 0
	s_lshl_b64 s[24:25], s[24:25], 4
	s_delay_alu instid0(SALU_CYCLE_1)
	s_add_nc_u64 s[24:25], s[4:5], s[24:25]
	s_wait_dscnt 0x0
	global_store_b64 v0, v[2:3], s[24:25]
.LBB133_19:                             ;   in Loop: Header=BB133_4 Depth=1
	s_and_not1_b32 vcc_lo, exec_lo, s26
	s_cbranch_vccnz .LBB133_2
; %bb.20:                               ;   in Loop: Header=BB133_4 Depth=1
	s_wait_xcnt 0x0
	s_lshl_b64 s[24:25], s[16:17], 4
	s_delay_alu instid0(SALU_CYCLE_1)
	s_add_nc_u64 s[24:25], s[6:7], s[24:25]
	s_wait_dscnt 0x0
	global_store_b64 v0, v[2:3], s[24:25]
	s_branch .LBB133_2
.LBB133_21:
	s_endpgm
	.section	.rodata,"a",@progbits
	.p2align	6, 0x0
	.amdhsa_kernel _ZL23rocblas_dot_kernel_inc1ILb0ELi512ELi2ELb1E19rocblas_complex_numIdEPKPKS1_S1_EviT4_llS6_lliPT5_PT3_
		.amdhsa_group_segment_fixed_size 512
		.amdhsa_private_segment_fixed_size 0
		.amdhsa_kernarg_size 336
		.amdhsa_user_sgpr_count 2
		.amdhsa_user_sgpr_dispatch_ptr 0
		.amdhsa_user_sgpr_queue_ptr 0
		.amdhsa_user_sgpr_kernarg_segment_ptr 1
		.amdhsa_user_sgpr_dispatch_id 0
		.amdhsa_user_sgpr_kernarg_preload_length 0
		.amdhsa_user_sgpr_kernarg_preload_offset 0
		.amdhsa_user_sgpr_private_segment_size 0
		.amdhsa_wavefront_size32 1
		.amdhsa_uses_dynamic_stack 0
		.amdhsa_enable_private_segment 0
		.amdhsa_system_sgpr_workgroup_id_x 1
		.amdhsa_system_sgpr_workgroup_id_y 0
		.amdhsa_system_sgpr_workgroup_id_z 1
		.amdhsa_system_sgpr_workgroup_info 0
		.amdhsa_system_vgpr_workitem_id 0
		.amdhsa_next_free_vgpr 28
		.amdhsa_next_free_sgpr 38
		.amdhsa_named_barrier_count 0
		.amdhsa_reserve_vcc 1
		.amdhsa_float_round_mode_32 0
		.amdhsa_float_round_mode_16_64 0
		.amdhsa_float_denorm_mode_32 3
		.amdhsa_float_denorm_mode_16_64 3
		.amdhsa_fp16_overflow 0
		.amdhsa_memory_ordered 1
		.amdhsa_forward_progress 1
		.amdhsa_inst_pref_size 11
		.amdhsa_round_robin_scheduling 0
		.amdhsa_exception_fp_ieee_invalid_op 0
		.amdhsa_exception_fp_denorm_src 0
		.amdhsa_exception_fp_ieee_div_zero 0
		.amdhsa_exception_fp_ieee_overflow 0
		.amdhsa_exception_fp_ieee_underflow 0
		.amdhsa_exception_fp_ieee_inexact 0
		.amdhsa_exception_int_div_zero 0
	.end_amdhsa_kernel
	.section	.text._ZL23rocblas_dot_kernel_inc1ILb0ELi512ELi2ELb1E19rocblas_complex_numIdEPKPKS1_S1_EviT4_llS6_lliPT5_PT3_,"axG",@progbits,_ZL23rocblas_dot_kernel_inc1ILb0ELi512ELi2ELb1E19rocblas_complex_numIdEPKPKS1_S1_EviT4_llS6_lliPT5_PT3_,comdat
.Lfunc_end133:
	.size	_ZL23rocblas_dot_kernel_inc1ILb0ELi512ELi2ELb1E19rocblas_complex_numIdEPKPKS1_S1_EviT4_llS6_lliPT5_PT3_, .Lfunc_end133-_ZL23rocblas_dot_kernel_inc1ILb0ELi512ELi2ELb1E19rocblas_complex_numIdEPKPKS1_S1_EviT4_llS6_lliPT5_PT3_
                                        ; -- End function
	.set _ZL23rocblas_dot_kernel_inc1ILb0ELi512ELi2ELb1E19rocblas_complex_numIdEPKPKS1_S1_EviT4_llS6_lliPT5_PT3_.num_vgpr, 28
	.set _ZL23rocblas_dot_kernel_inc1ILb0ELi512ELi2ELb1E19rocblas_complex_numIdEPKPKS1_S1_EviT4_llS6_lliPT5_PT3_.num_agpr, 0
	.set _ZL23rocblas_dot_kernel_inc1ILb0ELi512ELi2ELb1E19rocblas_complex_numIdEPKPKS1_S1_EviT4_llS6_lliPT5_PT3_.numbered_sgpr, 38
	.set _ZL23rocblas_dot_kernel_inc1ILb0ELi512ELi2ELb1E19rocblas_complex_numIdEPKPKS1_S1_EviT4_llS6_lliPT5_PT3_.num_named_barrier, 0
	.set _ZL23rocblas_dot_kernel_inc1ILb0ELi512ELi2ELb1E19rocblas_complex_numIdEPKPKS1_S1_EviT4_llS6_lliPT5_PT3_.private_seg_size, 0
	.set _ZL23rocblas_dot_kernel_inc1ILb0ELi512ELi2ELb1E19rocblas_complex_numIdEPKPKS1_S1_EviT4_llS6_lliPT5_PT3_.uses_vcc, 1
	.set _ZL23rocblas_dot_kernel_inc1ILb0ELi512ELi2ELb1E19rocblas_complex_numIdEPKPKS1_S1_EviT4_llS6_lliPT5_PT3_.uses_flat_scratch, 1
	.set _ZL23rocblas_dot_kernel_inc1ILb0ELi512ELi2ELb1E19rocblas_complex_numIdEPKPKS1_S1_EviT4_llS6_lliPT5_PT3_.has_dyn_sized_stack, 0
	.set _ZL23rocblas_dot_kernel_inc1ILb0ELi512ELi2ELb1E19rocblas_complex_numIdEPKPKS1_S1_EviT4_llS6_lliPT5_PT3_.has_recursion, 0
	.set _ZL23rocblas_dot_kernel_inc1ILb0ELi512ELi2ELb1E19rocblas_complex_numIdEPKPKS1_S1_EviT4_llS6_lliPT5_PT3_.has_indirect_call, 0
	.section	.AMDGPU.csdata,"",@progbits
; Kernel info:
; codeLenInByte = 1360
; TotalNumSgprs: 40
; NumVgprs: 28
; ScratchSize: 0
; MemoryBound: 0
; FloatMode: 240
; IeeeMode: 1
; LDSByteSize: 512 bytes/workgroup (compile time only)
; SGPRBlocks: 0
; VGPRBlocks: 1
; NumSGPRsForWavesPerEU: 40
; NumVGPRsForWavesPerEU: 28
; NamedBarCnt: 0
; Occupancy: 16
; WaveLimiterHint : 1
; COMPUTE_PGM_RSRC2:SCRATCH_EN: 0
; COMPUTE_PGM_RSRC2:USER_SGPR: 2
; COMPUTE_PGM_RSRC2:TRAP_HANDLER: 0
; COMPUTE_PGM_RSRC2:TGID_X_EN: 1
; COMPUTE_PGM_RSRC2:TGID_Y_EN: 0
; COMPUTE_PGM_RSRC2:TGID_Z_EN: 1
; COMPUTE_PGM_RSRC2:TIDIG_COMP_CNT: 0
	.section	.text._ZL18rocblas_dot_kernelIiLb0ELi512ELi2ELb1E19rocblas_complex_numIdEPKPKS1_S1_EviT5_lT_lS6_lS7_liPT6_PT4_,"axG",@progbits,_ZL18rocblas_dot_kernelIiLb0ELi512ELi2ELb1E19rocblas_complex_numIdEPKPKS1_S1_EviT5_lT_lS6_lS7_liPT6_PT4_,comdat
	.globl	_ZL18rocblas_dot_kernelIiLb0ELi512ELi2ELb1E19rocblas_complex_numIdEPKPKS1_S1_EviT5_lT_lS6_lS7_liPT6_PT4_ ; -- Begin function _ZL18rocblas_dot_kernelIiLb0ELi512ELi2ELb1E19rocblas_complex_numIdEPKPKS1_S1_EviT5_lT_lS6_lS7_liPT6_PT4_
	.p2align	8
	.type	_ZL18rocblas_dot_kernelIiLb0ELi512ELi2ELb1E19rocblas_complex_numIdEPKPKS1_S1_EviT5_lT_lS6_lS7_liPT6_PT4_,@function
_ZL18rocblas_dot_kernelIiLb0ELi512ELi2ELb1E19rocblas_complex_numIdEPKPKS1_S1_EviT5_lT_lS6_lS7_liPT6_PT4_: ; @_ZL18rocblas_dot_kernelIiLb0ELi512ELi2ELb1E19rocblas_complex_numIdEPKPKS1_S1_EviT5_lT_lS6_lS7_liPT6_PT4_
; %bb.0:
	s_load_b32 s28, s[0:1], 0x48
	s_bfe_u32 s2, ttmp6, 0x40014
	s_lshr_b32 s3, ttmp7, 16
	s_add_co_i32 s2, s2, 1
	s_bfe_u32 s5, ttmp6, 0x40008
	s_mul_i32 s4, s3, s2
	s_getreg_b32 s2, hwreg(HW_REG_IB_STS2, 6, 4)
	s_add_co_i32 s5, s5, s4
	s_cmp_eq_u32 s2, 0
	s_mov_b32 s17, 0
	s_cselect_b32 s16, s3, s5
	s_wait_kmcnt 0x0
	s_cmp_ge_u32 s16, s28
	s_cbranch_scc1 .LBB134_21
; %bb.1:
	v_mbcnt_lo_u32_b32 v2, -1, 0
	s_clause 0x6
	s_load_b32 s18, s[0:1], 0x18
	s_load_b32 s20, s[0:1], 0x38
	;; [unrolled: 1-line block ×3, first 2 shown]
	s_load_b128 s[4:7], s[0:1], 0x50
	s_load_b128 s[8:11], s[0:1], 0x28
	;; [unrolled: 1-line block ×3, first 2 shown]
	s_load_b32 s29, s[0:1], 0x0
	s_bfe_u32 s3, ttmp6, 0x4000c
	s_wait_xcnt 0x0
	s_and_b32 s1, ttmp6, 15
	s_add_co_i32 s3, s3, 1
	v_cmp_gt_u32_e32 vcc_lo, 24, v2
	s_mul_i32 s3, ttmp9, s3
	v_and_b32_e32 v1, 31, v0
	s_add_co_i32 s1, s1, s3
	s_mov_b32 s25, s17
	v_cndmask_b32_e64 v3, 0, 8, vcc_lo
	v_cmp_gt_u32_e32 vcc_lo, 28, v2
	v_cmp_gt_u32_e64 s0, 32, v0
	v_lshl_or_b32 v13, v2, 2, 64
	v_cmp_eq_u32_e64 s3, 0, v0
	s_wait_kmcnt 0x0
	s_ashr_i32 s19, s18, 31
	v_cndmask_b32_e64 v4, 0, 4, vcc_lo
	v_cmp_gt_u32_e32 vcc_lo, 30, v2
	s_ashr_i32 s21, s20, 31
	v_add_lshl_u32 v14, v3, v2, 2
	v_lshrrev_b32_e32 v3, 1, v0
	s_cmp_eq_u32 s2, 0
	v_cndmask_b32_e64 v5, 0, 2, vcc_lo
	v_cmp_ne_u32_e32 vcc_lo, 31, v2
	s_cselect_b32 s24, ttmp9, s1
	s_cmp_lg_u32 s22, 1
	v_lshl_or_b32 v6, s24, 9, v0
	v_add_lshl_u32 v15, v4, v2, 2
	v_add_co_ci_u32_e64 v7, null, 0, v2, vcc_lo
	v_lshlrev_b32_e32 v12, 4, v1
	v_add_lshl_u32 v16, v5, v2, 2
	v_cmp_eq_u32_e64 s1, 0, v1
	s_delay_alu instid0(VALU_DEP_4)
	v_lshlrev_b32_e32 v17, 2, v7
	v_and_b32_e32 v18, 0xf0, v3
	v_cmp_gt_u32_e64 s2, 16, v0
	v_mov_b32_e32 v0, 0
	s_cselect_b32 s30, -1, 0
	s_lshl_b64 s[24:25], s[24:25], 4
	s_mov_b32 s23, s17
	s_lshl_b32 s31, s22, 9
	s_add_nc_u64 s[4:5], s[4:5], s[24:25]
	s_lshl_b64 s[14:15], s[14:15], 4
	s_lshl_b64 s[10:11], s[10:11], 4
	s_branch .LBB134_4
.LBB134_2:                              ;   in Loop: Header=BB134_4 Depth=1
	s_wait_dscnt 0x0
	global_store_b64 v0, v[4:5], s[24:25] offset:8
.LBB134_3:                              ;   in Loop: Header=BB134_4 Depth=1
	s_wait_xcnt 0x0
	s_or_b32 exec_lo, exec_lo, s26
	s_add_co_i32 s16, s16, 0x10000
	s_delay_alu instid0(SALU_CYCLE_1)
	s_cmp_lt_u32 s16, s28
	s_cbranch_scc0 .LBB134_21
.LBB134_4:                              ; =>This Inner Loop Header: Depth=1
	s_wait_dscnt 0x0
	v_mov_b64_e32 v[4:5], 0
	v_mov_b64_e32 v[8:9], 0
	s_mov_b32 s33, exec_lo
	v_cmpx_gt_i32_e64 s29, v6
	s_cbranch_execz .LBB134_8
; %bb.5:                                ;   in Loop: Header=BB134_4 Depth=1
	v_ashrrev_i32_e32 v7, 31, v6
	s_lshl_b64 s[24:25], s[16:17], 3
	s_delay_alu instid0(SALU_CYCLE_1) | instskip(SKIP_1) | instid1(VALU_DEP_1)
	s_add_nc_u64 s[26:27], s[8:9], s[24:25]
	s_add_nc_u64 s[24:25], s[12:13], s[24:25]
	v_mul_u64_e32 v[2:3], s[20:21], v[6:7]
	v_mul_u64_e32 v[4:5], s[18:19], v[6:7]
	s_load_b64 s[34:35], s[26:27], 0x0
	s_load_b64 s[36:37], s[24:25], 0x0
	v_add_nc_u32_e32 v6, s31, v6
	s_wait_kmcnt 0x0
	s_wait_xcnt 0x0
	s_add_nc_u64 s[26:27], s[34:35], s[10:11]
	s_add_nc_u64 s[24:25], s[36:37], s[14:15]
	s_mov_b32 s34, exec_lo
	s_delay_alu instid0(VALU_DEP_3) | instskip(NEXT) | instid1(VALU_DEP_3)
	v_lshl_add_u64 v[20:21], v[2:3], 4, s[26:27]
	v_lshl_add_u64 v[22:23], v[4:5], 4, s[24:25]
	flat_load_b128 v[2:5], v[20:21]
	flat_load_b128 v[8:11], v[22:23]
	s_wait_loadcnt_dscnt 0x0
	s_wait_xcnt 0x1
	v_mul_f64_e32 v[20:21], v[4:5], v[10:11]
	v_mul_f64_e32 v[10:11], v[2:3], v[10:11]
	s_delay_alu instid0(VALU_DEP_2) | instskip(NEXT) | instid1(VALU_DEP_2)
	v_fmac_f64_e32 v[20:21], v[2:3], v[8:9]
	v_fma_f64 v[2:3], v[4:5], v[8:9], -v[10:11]
	s_delay_alu instid0(VALU_DEP_2) | instskip(NEXT) | instid1(VALU_DEP_2)
	v_add_f64_e32 v[4:5], 0, v[20:21]
	v_add_f64_e32 v[8:9], 0, v[2:3]
	s_wait_xcnt 0x0
	v_cmpx_gt_i32_e64 s29, v6
	s_cbranch_execz .LBB134_7
; %bb.6:                                ;   in Loop: Header=BB134_4 Depth=1
	v_ashrrev_i32_e32 v7, 31, v6
	s_delay_alu instid0(VALU_DEP_1) | instskip(SKIP_2) | instid1(VALU_DEP_3)
	v_mul_u64_e32 v[2:3], s[20:21], v[6:7]
	v_mul_u64_e32 v[10:11], s[18:19], v[6:7]
	v_add_nc_u32_e32 v6, s31, v6
	v_lshl_add_u64 v[2:3], v[2:3], 4, s[26:27]
	s_delay_alu instid0(VALU_DEP_3)
	v_lshl_add_u64 v[10:11], v[10:11], 4, s[24:25]
	flat_load_b128 v[20:23], v[2:3]
	flat_load_b128 v[24:27], v[10:11]
	s_wait_loadcnt_dscnt 0x0
	s_wait_xcnt 0x1
	v_mul_f64_e32 v[2:3], v[20:21], v[26:27]
	s_wait_xcnt 0x0
	v_mul_f64_e32 v[10:11], v[22:23], v[26:27]
	s_delay_alu instid0(VALU_DEP_2) | instskip(NEXT) | instid1(VALU_DEP_2)
	v_fma_f64 v[2:3], v[22:23], v[24:25], -v[2:3]
	v_fmac_f64_e32 v[10:11], v[20:21], v[24:25]
	s_delay_alu instid0(VALU_DEP_2) | instskip(NEXT) | instid1(VALU_DEP_2)
	v_add_f64_e32 v[8:9], v[8:9], v[2:3]
	v_add_f64_e32 v[4:5], v[4:5], v[10:11]
.LBB134_7:                              ;   in Loop: Header=BB134_4 Depth=1
	s_or_b32 exec_lo, exec_lo, s34
.LBB134_8:                              ;   in Loop: Header=BB134_4 Depth=1
	s_delay_alu instid0(SALU_CYCLE_1)
	s_or_b32 exec_lo, exec_lo, s33
	s_and_saveexec_b32 s24, s0
; %bb.9:                                ;   in Loop: Header=BB134_4 Depth=1
	v_dual_mov_b32 v1, v0 :: v_dual_mov_b32 v2, v0
	v_mov_b32_e32 v3, v0
	ds_store_b128 v12, v[0:3]
; %bb.10:                               ;   in Loop: Header=BB134_4 Depth=1
	s_or_b32 exec_lo, exec_lo, s24
	ds_bpermute_b32 v2, v13, v4
	ds_bpermute_b32 v3, v13, v5
	;; [unrolled: 1-line block ×4, first 2 shown]
	s_wait_dscnt 0x0
	s_barrier_signal -1
	s_barrier_wait -1
	v_add_f64_e32 v[2:3], v[4:5], v[2:3]
	v_add_f64_e32 v[4:5], v[8:9], v[10:11]
	ds_bpermute_b32 v8, v14, v2
	ds_bpermute_b32 v9, v14, v3
	ds_bpermute_b32 v10, v14, v4
	ds_bpermute_b32 v11, v14, v5
	s_wait_dscnt 0x2
	v_add_f64_e32 v[2:3], v[2:3], v[8:9]
	s_wait_dscnt 0x0
	v_add_f64_e32 v[4:5], v[4:5], v[10:11]
	ds_bpermute_b32 v8, v15, v2
	ds_bpermute_b32 v9, v15, v3
	ds_bpermute_b32 v10, v15, v4
	ds_bpermute_b32 v11, v15, v5
	s_wait_dscnt 0x2
	v_add_f64_e32 v[2:3], v[2:3], v[8:9]
	s_wait_dscnt 0x0
	;; [unrolled: 8-line block ×3, first 2 shown]
	v_add_f64_e32 v[8:9], v[4:5], v[10:11]
	ds_bpermute_b32 v4, v17, v2
	ds_bpermute_b32 v5, v17, v3
	;; [unrolled: 1-line block ×4, first 2 shown]
	s_and_saveexec_b32 s24, s1
	s_cbranch_execz .LBB134_12
; %bb.11:                               ;   in Loop: Header=BB134_4 Depth=1
	s_wait_dscnt 0x0
	v_add_f64_e32 v[10:11], v[8:9], v[10:11]
	v_add_f64_e32 v[8:9], v[2:3], v[4:5]
	ds_store_b128 v18, v[8:11]
.LBB134_12:                             ;   in Loop: Header=BB134_4 Depth=1
	s_or_b32 exec_lo, exec_lo, s24
	s_wait_dscnt 0x2
	v_mov_b64_e32 v[4:5], 0
	v_mov_b64_e32 v[2:3], 0
	s_wait_dscnt 0x0
	s_barrier_signal -1
	s_barrier_wait -1
	s_and_saveexec_b32 s24, s2
	s_cbranch_execnz .LBB134_15
; %bb.13:                               ;   in Loop: Header=BB134_4 Depth=1
	s_or_b32 exec_lo, exec_lo, s24
	s_and_saveexec_b32 s24, s0
	s_cbranch_execnz .LBB134_16
.LBB134_14:                             ;   in Loop: Header=BB134_4 Depth=1
	s_or_b32 exec_lo, exec_lo, s24
	s_and_saveexec_b32 s26, s3
	s_cbranch_execz .LBB134_3
	s_branch .LBB134_17
.LBB134_15:                             ;   in Loop: Header=BB134_4 Depth=1
	ds_load_b128 v[2:5], v12
	s_or_b32 exec_lo, exec_lo, s24
	s_and_saveexec_b32 s24, s0
	s_cbranch_execz .LBB134_14
.LBB134_16:                             ;   in Loop: Header=BB134_4 Depth=1
	s_wait_dscnt 0x0
	ds_bpermute_b32 v8, v14, v2
	ds_bpermute_b32 v9, v14, v3
	ds_bpermute_b32 v10, v14, v4
	ds_bpermute_b32 v11, v14, v5
	s_wait_dscnt 0x2
	v_add_f64_e32 v[2:3], v[2:3], v[8:9]
	s_wait_dscnt 0x0
	v_add_f64_e32 v[4:5], v[4:5], v[10:11]
	ds_bpermute_b32 v8, v15, v2
	ds_bpermute_b32 v9, v15, v3
	ds_bpermute_b32 v10, v15, v4
	ds_bpermute_b32 v11, v15, v5
	s_wait_dscnt 0x2
	v_add_f64_e32 v[2:3], v[2:3], v[8:9]
	s_wait_dscnt 0x0
	v_add_f64_e32 v[4:5], v[4:5], v[10:11]
	;; [unrolled: 8-line block ×4, first 2 shown]
	s_or_b32 exec_lo, exec_lo, s24
	s_and_saveexec_b32 s26, s3
	s_cbranch_execz .LBB134_3
.LBB134_17:                             ;   in Loop: Header=BB134_4 Depth=1
	s_and_b32 vcc_lo, exec_lo, s30
	s_mov_b32 s27, -1
                                        ; implicit-def: $sgpr24_sgpr25
	s_cbranch_vccz .LBB134_19
; %bb.18:                               ;   in Loop: Header=BB134_4 Depth=1
	s_mul_u64 s[24:25], s[22:23], s[16:17]
	s_mov_b32 s27, 0
	s_lshl_b64 s[24:25], s[24:25], 4
	s_delay_alu instid0(SALU_CYCLE_1)
	s_add_nc_u64 s[24:25], s[4:5], s[24:25]
	s_wait_dscnt 0x0
	global_store_b64 v0, v[2:3], s[24:25]
.LBB134_19:                             ;   in Loop: Header=BB134_4 Depth=1
	s_and_not1_b32 vcc_lo, exec_lo, s27
	s_cbranch_vccnz .LBB134_2
; %bb.20:                               ;   in Loop: Header=BB134_4 Depth=1
	s_wait_xcnt 0x0
	s_lshl_b64 s[24:25], s[16:17], 4
	s_delay_alu instid0(SALU_CYCLE_1)
	s_add_nc_u64 s[24:25], s[6:7], s[24:25]
	s_wait_dscnt 0x0
	global_store_b64 v0, v[2:3], s[24:25]
	s_branch .LBB134_2
.LBB134_21:
	s_endpgm
	.section	.rodata,"a",@progbits
	.p2align	6, 0x0
	.amdhsa_kernel _ZL18rocblas_dot_kernelIiLb0ELi512ELi2ELb1E19rocblas_complex_numIdEPKPKS1_S1_EviT5_lT_lS6_lS7_liPT6_PT4_
		.amdhsa_group_segment_fixed_size 512
		.amdhsa_private_segment_fixed_size 0
		.amdhsa_kernarg_size 352
		.amdhsa_user_sgpr_count 2
		.amdhsa_user_sgpr_dispatch_ptr 0
		.amdhsa_user_sgpr_queue_ptr 0
		.amdhsa_user_sgpr_kernarg_segment_ptr 1
		.amdhsa_user_sgpr_dispatch_id 0
		.amdhsa_user_sgpr_kernarg_preload_length 0
		.amdhsa_user_sgpr_kernarg_preload_offset 0
		.amdhsa_user_sgpr_private_segment_size 0
		.amdhsa_wavefront_size32 1
		.amdhsa_uses_dynamic_stack 0
		.amdhsa_enable_private_segment 0
		.amdhsa_system_sgpr_workgroup_id_x 1
		.amdhsa_system_sgpr_workgroup_id_y 0
		.amdhsa_system_sgpr_workgroup_id_z 1
		.amdhsa_system_sgpr_workgroup_info 0
		.amdhsa_system_vgpr_workitem_id 0
		.amdhsa_next_free_vgpr 28
		.amdhsa_next_free_sgpr 38
		.amdhsa_named_barrier_count 0
		.amdhsa_reserve_vcc 1
		.amdhsa_float_round_mode_32 0
		.amdhsa_float_round_mode_16_64 0
		.amdhsa_float_denorm_mode_32 3
		.amdhsa_float_denorm_mode_16_64 3
		.amdhsa_fp16_overflow 0
		.amdhsa_memory_ordered 1
		.amdhsa_forward_progress 1
		.amdhsa_inst_pref_size 12
		.amdhsa_round_robin_scheduling 0
		.amdhsa_exception_fp_ieee_invalid_op 0
		.amdhsa_exception_fp_denorm_src 0
		.amdhsa_exception_fp_ieee_div_zero 0
		.amdhsa_exception_fp_ieee_overflow 0
		.amdhsa_exception_fp_ieee_underflow 0
		.amdhsa_exception_fp_ieee_inexact 0
		.amdhsa_exception_int_div_zero 0
	.end_amdhsa_kernel
	.section	.text._ZL18rocblas_dot_kernelIiLb0ELi512ELi2ELb1E19rocblas_complex_numIdEPKPKS1_S1_EviT5_lT_lS6_lS7_liPT6_PT4_,"axG",@progbits,_ZL18rocblas_dot_kernelIiLb0ELi512ELi2ELb1E19rocblas_complex_numIdEPKPKS1_S1_EviT5_lT_lS6_lS7_liPT6_PT4_,comdat
.Lfunc_end134:
	.size	_ZL18rocblas_dot_kernelIiLb0ELi512ELi2ELb1E19rocblas_complex_numIdEPKPKS1_S1_EviT5_lT_lS6_lS7_liPT6_PT4_, .Lfunc_end134-_ZL18rocblas_dot_kernelIiLb0ELi512ELi2ELb1E19rocblas_complex_numIdEPKPKS1_S1_EviT5_lT_lS6_lS7_liPT6_PT4_
                                        ; -- End function
	.set _ZL18rocblas_dot_kernelIiLb0ELi512ELi2ELb1E19rocblas_complex_numIdEPKPKS1_S1_EviT5_lT_lS6_lS7_liPT6_PT4_.num_vgpr, 28
	.set _ZL18rocblas_dot_kernelIiLb0ELi512ELi2ELb1E19rocblas_complex_numIdEPKPKS1_S1_EviT5_lT_lS6_lS7_liPT6_PT4_.num_agpr, 0
	.set _ZL18rocblas_dot_kernelIiLb0ELi512ELi2ELb1E19rocblas_complex_numIdEPKPKS1_S1_EviT5_lT_lS6_lS7_liPT6_PT4_.numbered_sgpr, 38
	.set _ZL18rocblas_dot_kernelIiLb0ELi512ELi2ELb1E19rocblas_complex_numIdEPKPKS1_S1_EviT5_lT_lS6_lS7_liPT6_PT4_.num_named_barrier, 0
	.set _ZL18rocblas_dot_kernelIiLb0ELi512ELi2ELb1E19rocblas_complex_numIdEPKPKS1_S1_EviT5_lT_lS6_lS7_liPT6_PT4_.private_seg_size, 0
	.set _ZL18rocblas_dot_kernelIiLb0ELi512ELi2ELb1E19rocblas_complex_numIdEPKPKS1_S1_EviT5_lT_lS6_lS7_liPT6_PT4_.uses_vcc, 1
	.set _ZL18rocblas_dot_kernelIiLb0ELi512ELi2ELb1E19rocblas_complex_numIdEPKPKS1_S1_EviT5_lT_lS6_lS7_liPT6_PT4_.uses_flat_scratch, 0
	.set _ZL18rocblas_dot_kernelIiLb0ELi512ELi2ELb1E19rocblas_complex_numIdEPKPKS1_S1_EviT5_lT_lS6_lS7_liPT6_PT4_.has_dyn_sized_stack, 0
	.set _ZL18rocblas_dot_kernelIiLb0ELi512ELi2ELb1E19rocblas_complex_numIdEPKPKS1_S1_EviT5_lT_lS6_lS7_liPT6_PT4_.has_recursion, 0
	.set _ZL18rocblas_dot_kernelIiLb0ELi512ELi2ELb1E19rocblas_complex_numIdEPKPKS1_S1_EviT5_lT_lS6_lS7_liPT6_PT4_.has_indirect_call, 0
	.section	.AMDGPU.csdata,"",@progbits
; Kernel info:
; codeLenInByte = 1416
; TotalNumSgprs: 40
; NumVgprs: 28
; ScratchSize: 0
; MemoryBound: 0
; FloatMode: 240
; IeeeMode: 1
; LDSByteSize: 512 bytes/workgroup (compile time only)
; SGPRBlocks: 0
; VGPRBlocks: 1
; NumSGPRsForWavesPerEU: 40
; NumVGPRsForWavesPerEU: 28
; NamedBarCnt: 0
; Occupancy: 16
; WaveLimiterHint : 1
; COMPUTE_PGM_RSRC2:SCRATCH_EN: 0
; COMPUTE_PGM_RSRC2:USER_SGPR: 2
; COMPUTE_PGM_RSRC2:TRAP_HANDLER: 0
; COMPUTE_PGM_RSRC2:TGID_X_EN: 1
; COMPUTE_PGM_RSRC2:TGID_Y_EN: 0
; COMPUTE_PGM_RSRC2:TGID_Z_EN: 1
; COMPUTE_PGM_RSRC2:TIDIG_COMP_CNT: 0
	.section	.text._ZL24rocblas_dot_kernel_magsqIiLb0ELi512ELi2ELb1E19rocblas_complex_numIdEPKPKS1_S1_EviT5_lT_liPT6_PT4_,"axG",@progbits,_ZL24rocblas_dot_kernel_magsqIiLb0ELi512ELi2ELb1E19rocblas_complex_numIdEPKPKS1_S1_EviT5_lT_liPT6_PT4_,comdat
	.globl	_ZL24rocblas_dot_kernel_magsqIiLb0ELi512ELi2ELb1E19rocblas_complex_numIdEPKPKS1_S1_EviT5_lT_liPT6_PT4_ ; -- Begin function _ZL24rocblas_dot_kernel_magsqIiLb0ELi512ELi2ELb1E19rocblas_complex_numIdEPKPKS1_S1_EviT5_lT_liPT6_PT4_
	.p2align	8
	.type	_ZL24rocblas_dot_kernel_magsqIiLb0ELi512ELi2ELb1E19rocblas_complex_numIdEPKPKS1_S1_EviT5_lT_liPT6_PT4_,@function
_ZL24rocblas_dot_kernel_magsqIiLb0ELi512ELi2ELb1E19rocblas_complex_numIdEPKPKS1_S1_EviT5_lT_liPT6_PT4_: ; @_ZL24rocblas_dot_kernel_magsqIiLb0ELi512ELi2ELb1E19rocblas_complex_numIdEPKPKS1_S1_EviT5_lT_liPT6_PT4_
; %bb.0:
	s_load_b32 s20, s[0:1], 0x28
	s_bfe_u32 s2, ttmp6, 0x40014
	s_lshr_b32 s3, ttmp7, 16
	s_add_co_i32 s2, s2, 1
	s_bfe_u32 s5, ttmp6, 0x40008
	s_mul_i32 s4, s3, s2
	s_getreg_b32 s2, hwreg(HW_REG_IB_STS2, 6, 4)
	s_add_co_i32 s5, s5, s4
	s_cmp_eq_u32 s2, 0
	s_mov_b32 s13, 0
	s_cselect_b32 s12, s3, s5
	s_wait_kmcnt 0x0
	s_cmp_ge_u32 s12, s20
	s_cbranch_scc1 .LBB135_21
; %bb.1:
	v_mbcnt_lo_u32_b32 v2, -1, 0
	s_clause 0x4
	s_load_b32 s14, s[0:1], 0x18
	s_load_b128 s[4:7], s[0:1], 0x30
	s_load_b32 s16, s[0:1], 0x40
	s_load_b128 s[8:11], s[0:1], 0x8
	s_load_b32 s21, s[0:1], 0x0
	s_wait_xcnt 0x0
	s_bfe_u32 s0, ttmp6, 0x4000c
	s_and_b32 s1, ttmp6, 15
	s_add_co_i32 s3, s0, 1
	v_cmp_gt_u32_e32 vcc_lo, 24, v2
	s_mul_i32 s3, ttmp9, s3
	v_and_b32_e32 v1, 31, v0
	s_add_co_i32 s1, s1, s3
	s_mov_b32 s19, s13
	v_cndmask_b32_e64 v3, 0, 8, vcc_lo
	v_cmp_gt_u32_e32 vcc_lo, 28, v2
	v_cmp_gt_u32_e64 s0, 32, v0
	v_lshl_or_b32 v13, v2, 2, 64
	v_cmp_eq_u32_e64 s3, 0, v0
	v_add_lshl_u32 v14, v3, v2, 2
	v_cndmask_b32_e64 v4, 0, 4, vcc_lo
	v_cmp_gt_u32_e32 vcc_lo, 30, v2
	s_wait_kmcnt 0x0
	s_ashr_i32 s15, s14, 31
	v_lshrrev_b32_e32 v3, 1, v0
	s_cmp_eq_u32 s2, 0
	v_add_lshl_u32 v15, v4, v2, 2
	v_cndmask_b32_e64 v5, 0, 2, vcc_lo
	v_cmp_ne_u32_e32 vcc_lo, 31, v2
	s_cselect_b32 s18, ttmp9, s1
	s_cmp_lg_u32 s16, 1
	v_lshl_or_b32 v6, s18, 9, v0
	v_add_lshl_u32 v16, v5, v2, 2
	v_add_co_ci_u32_e64 v7, null, 0, v2, vcc_lo
	v_lshlrev_b32_e32 v12, 4, v1
	v_cmp_eq_u32_e64 s1, 0, v1
	v_and_b32_e32 v18, 0xf0, v3
	s_delay_alu instid0(VALU_DEP_4)
	v_lshlrev_b32_e32 v17, 2, v7
	v_cmp_gt_u32_e64 s2, 16, v0
	v_mov_b32_e32 v0, 0
	s_cselect_b32 s22, -1, 0
	s_lshl_b64 s[18:19], s[18:19], 4
	s_mov_b32 s17, s13
	s_lshl_b32 s23, s16, 9
	s_add_nc_u64 s[4:5], s[4:5], s[18:19]
	s_lshl_b64 s[10:11], s[10:11], 4
	s_branch .LBB135_4
.LBB135_2:                              ;   in Loop: Header=BB135_4 Depth=1
	s_wait_dscnt 0x0
	global_store_b64 v0, v[4:5], s[18:19] offset:8
.LBB135_3:                              ;   in Loop: Header=BB135_4 Depth=1
	s_wait_xcnt 0x0
	s_or_b32 exec_lo, exec_lo, s24
	s_add_co_i32 s12, s12, 0x10000
	s_delay_alu instid0(SALU_CYCLE_1)
	s_cmp_lt_u32 s12, s20
	s_cbranch_scc0 .LBB135_21
.LBB135_4:                              ; =>This Inner Loop Header: Depth=1
	s_wait_dscnt 0x0
	v_mov_b64_e32 v[4:5], 0
	v_mov_b64_e32 v[8:9], 0
	s_mov_b32 s24, exec_lo
	v_cmpx_gt_i32_e64 s21, v6
	s_cbranch_execz .LBB135_8
; %bb.5:                                ;   in Loop: Header=BB135_4 Depth=1
	v_ashrrev_i32_e32 v7, 31, v6
	s_lshl_b64 s[18:19], s[12:13], 3
	s_mov_b32 s25, exec_lo
	s_add_nc_u64 s[18:19], s[8:9], s[18:19]
	s_load_b64 s[18:19], s[18:19], 0x0
	v_mul_u64_e32 v[2:3], s[14:15], v[6:7]
	v_add_nc_u32_e32 v6, s23, v6
	s_wait_kmcnt 0x0
	s_wait_xcnt 0x0
	s_add_nc_u64 s[18:19], s[18:19], s[10:11]
	s_delay_alu instid0(VALU_DEP_2) | instid1(SALU_CYCLE_1)
	v_lshl_add_u64 v[2:3], v[2:3], 4, s[18:19]
	flat_load_b128 v[8:11], v[2:3]
	s_wait_loadcnt_dscnt 0x0
	s_wait_xcnt 0x0
	v_mul_f64_e32 v[2:3], v[8:9], v[10:11]
	v_mul_f64_e32 v[4:5], v[10:11], v[10:11]
	s_delay_alu instid0(VALU_DEP_2) | instskip(NEXT) | instid1(VALU_DEP_2)
	v_fma_f64 v[2:3], v[8:9], v[10:11], -v[2:3]
	v_fmac_f64_e32 v[4:5], v[8:9], v[8:9]
	s_delay_alu instid0(VALU_DEP_2)
	v_add_f64_e32 v[8:9], 0, v[2:3]
	v_cmpx_gt_i32_e64 s21, v6
	s_cbranch_execz .LBB135_7
; %bb.6:                                ;   in Loop: Header=BB135_4 Depth=1
	v_ashrrev_i32_e32 v7, 31, v6
	s_delay_alu instid0(VALU_DEP_1) | instskip(SKIP_1) | instid1(VALU_DEP_2)
	v_mul_u64_e32 v[2:3], s[14:15], v[6:7]
	v_add_nc_u32_e32 v6, s23, v6
	v_lshl_add_u64 v[2:3], v[2:3], 4, s[18:19]
	flat_load_b128 v[20:23], v[2:3]
	s_wait_loadcnt_dscnt 0x0
	s_wait_xcnt 0x0
	v_mul_f64_e32 v[2:3], v[20:21], v[22:23]
	v_mul_f64_e32 v[10:11], v[22:23], v[22:23]
	s_delay_alu instid0(VALU_DEP_2) | instskip(NEXT) | instid1(VALU_DEP_2)
	v_fma_f64 v[2:3], v[20:21], v[22:23], -v[2:3]
	v_fmac_f64_e32 v[10:11], v[20:21], v[20:21]
	s_delay_alu instid0(VALU_DEP_2) | instskip(NEXT) | instid1(VALU_DEP_2)
	v_add_f64_e32 v[8:9], v[8:9], v[2:3]
	v_add_f64_e32 v[4:5], v[4:5], v[10:11]
.LBB135_7:                              ;   in Loop: Header=BB135_4 Depth=1
	s_or_b32 exec_lo, exec_lo, s25
.LBB135_8:                              ;   in Loop: Header=BB135_4 Depth=1
	s_delay_alu instid0(SALU_CYCLE_1)
	s_or_b32 exec_lo, exec_lo, s24
	s_and_saveexec_b32 s18, s0
; %bb.9:                                ;   in Loop: Header=BB135_4 Depth=1
	v_dual_mov_b32 v1, v0 :: v_dual_mov_b32 v2, v0
	v_mov_b32_e32 v3, v0
	ds_store_b128 v12, v[0:3]
; %bb.10:                               ;   in Loop: Header=BB135_4 Depth=1
	s_or_b32 exec_lo, exec_lo, s18
	ds_bpermute_b32 v2, v13, v4
	ds_bpermute_b32 v3, v13, v5
	;; [unrolled: 1-line block ×4, first 2 shown]
	s_wait_dscnt 0x0
	s_barrier_signal -1
	s_barrier_wait -1
	v_add_f64_e32 v[2:3], v[4:5], v[2:3]
	v_add_f64_e32 v[4:5], v[8:9], v[10:11]
	ds_bpermute_b32 v8, v14, v2
	ds_bpermute_b32 v9, v14, v3
	ds_bpermute_b32 v10, v14, v4
	ds_bpermute_b32 v11, v14, v5
	s_wait_dscnt 0x2
	v_add_f64_e32 v[2:3], v[2:3], v[8:9]
	s_wait_dscnt 0x0
	v_add_f64_e32 v[4:5], v[4:5], v[10:11]
	ds_bpermute_b32 v8, v15, v2
	ds_bpermute_b32 v9, v15, v3
	ds_bpermute_b32 v10, v15, v4
	ds_bpermute_b32 v11, v15, v5
	s_wait_dscnt 0x2
	v_add_f64_e32 v[2:3], v[2:3], v[8:9]
	s_wait_dscnt 0x0
	;; [unrolled: 8-line block ×3, first 2 shown]
	v_add_f64_e32 v[8:9], v[4:5], v[10:11]
	ds_bpermute_b32 v4, v17, v2
	ds_bpermute_b32 v5, v17, v3
	;; [unrolled: 1-line block ×4, first 2 shown]
	s_and_saveexec_b32 s18, s1
	s_cbranch_execz .LBB135_12
; %bb.11:                               ;   in Loop: Header=BB135_4 Depth=1
	s_wait_dscnt 0x0
	v_add_f64_e32 v[10:11], v[8:9], v[10:11]
	v_add_f64_e32 v[8:9], v[2:3], v[4:5]
	ds_store_b128 v18, v[8:11]
.LBB135_12:                             ;   in Loop: Header=BB135_4 Depth=1
	s_or_b32 exec_lo, exec_lo, s18
	s_wait_dscnt 0x2
	v_mov_b64_e32 v[4:5], 0
	v_mov_b64_e32 v[2:3], 0
	s_wait_dscnt 0x0
	s_barrier_signal -1
	s_barrier_wait -1
	s_and_saveexec_b32 s18, s2
	s_cbranch_execnz .LBB135_15
; %bb.13:                               ;   in Loop: Header=BB135_4 Depth=1
	s_or_b32 exec_lo, exec_lo, s18
	s_and_saveexec_b32 s18, s0
	s_cbranch_execnz .LBB135_16
.LBB135_14:                             ;   in Loop: Header=BB135_4 Depth=1
	s_or_b32 exec_lo, exec_lo, s18
	s_and_saveexec_b32 s24, s3
	s_cbranch_execz .LBB135_3
	s_branch .LBB135_17
.LBB135_15:                             ;   in Loop: Header=BB135_4 Depth=1
	ds_load_b128 v[2:5], v12
	s_or_b32 exec_lo, exec_lo, s18
	s_and_saveexec_b32 s18, s0
	s_cbranch_execz .LBB135_14
.LBB135_16:                             ;   in Loop: Header=BB135_4 Depth=1
	s_wait_dscnt 0x0
	ds_bpermute_b32 v8, v14, v2
	ds_bpermute_b32 v9, v14, v3
	ds_bpermute_b32 v10, v14, v4
	ds_bpermute_b32 v11, v14, v5
	s_wait_dscnt 0x2
	v_add_f64_e32 v[2:3], v[2:3], v[8:9]
	s_wait_dscnt 0x0
	v_add_f64_e32 v[4:5], v[4:5], v[10:11]
	ds_bpermute_b32 v8, v15, v2
	ds_bpermute_b32 v9, v15, v3
	ds_bpermute_b32 v10, v15, v4
	ds_bpermute_b32 v11, v15, v5
	s_wait_dscnt 0x2
	v_add_f64_e32 v[2:3], v[2:3], v[8:9]
	s_wait_dscnt 0x0
	v_add_f64_e32 v[4:5], v[4:5], v[10:11]
	;; [unrolled: 8-line block ×4, first 2 shown]
	s_or_b32 exec_lo, exec_lo, s18
	s_and_saveexec_b32 s24, s3
	s_cbranch_execz .LBB135_3
.LBB135_17:                             ;   in Loop: Header=BB135_4 Depth=1
	s_and_b32 vcc_lo, exec_lo, s22
	s_mov_b32 s25, -1
                                        ; implicit-def: $sgpr18_sgpr19
	s_cbranch_vccz .LBB135_19
; %bb.18:                               ;   in Loop: Header=BB135_4 Depth=1
	s_mul_u64 s[18:19], s[16:17], s[12:13]
	s_mov_b32 s25, 0
	s_lshl_b64 s[18:19], s[18:19], 4
	s_delay_alu instid0(SALU_CYCLE_1)
	s_add_nc_u64 s[18:19], s[4:5], s[18:19]
	s_wait_dscnt 0x0
	global_store_b64 v0, v[2:3], s[18:19]
.LBB135_19:                             ;   in Loop: Header=BB135_4 Depth=1
	s_and_not1_b32 vcc_lo, exec_lo, s25
	s_cbranch_vccnz .LBB135_2
; %bb.20:                               ;   in Loop: Header=BB135_4 Depth=1
	s_wait_xcnt 0x0
	s_lshl_b64 s[18:19], s[12:13], 4
	s_delay_alu instid0(SALU_CYCLE_1)
	s_add_nc_u64 s[18:19], s[6:7], s[18:19]
	s_wait_dscnt 0x0
	global_store_b64 v0, v[2:3], s[18:19]
	s_branch .LBB135_2
.LBB135_21:
	s_endpgm
	.section	.rodata,"a",@progbits
	.p2align	6, 0x0
	.amdhsa_kernel _ZL24rocblas_dot_kernel_magsqIiLb0ELi512ELi2ELb1E19rocblas_complex_numIdEPKPKS1_S1_EviT5_lT_liPT6_PT4_
		.amdhsa_group_segment_fixed_size 512
		.amdhsa_private_segment_fixed_size 0
		.amdhsa_kernarg_size 320
		.amdhsa_user_sgpr_count 2
		.amdhsa_user_sgpr_dispatch_ptr 0
		.amdhsa_user_sgpr_queue_ptr 0
		.amdhsa_user_sgpr_kernarg_segment_ptr 1
		.amdhsa_user_sgpr_dispatch_id 0
		.amdhsa_user_sgpr_kernarg_preload_length 0
		.amdhsa_user_sgpr_kernarg_preload_offset 0
		.amdhsa_user_sgpr_private_segment_size 0
		.amdhsa_wavefront_size32 1
		.amdhsa_uses_dynamic_stack 0
		.amdhsa_enable_private_segment 0
		.amdhsa_system_sgpr_workgroup_id_x 1
		.amdhsa_system_sgpr_workgroup_id_y 0
		.amdhsa_system_sgpr_workgroup_id_z 1
		.amdhsa_system_sgpr_workgroup_info 0
		.amdhsa_system_vgpr_workitem_id 0
		.amdhsa_next_free_vgpr 24
		.amdhsa_next_free_sgpr 26
		.amdhsa_named_barrier_count 0
		.amdhsa_reserve_vcc 1
		.amdhsa_float_round_mode_32 0
		.amdhsa_float_round_mode_16_64 0
		.amdhsa_float_denorm_mode_32 3
		.amdhsa_float_denorm_mode_16_64 3
		.amdhsa_fp16_overflow 0
		.amdhsa_memory_ordered 1
		.amdhsa_forward_progress 1
		.amdhsa_inst_pref_size 11
		.amdhsa_round_robin_scheduling 0
		.amdhsa_exception_fp_ieee_invalid_op 0
		.amdhsa_exception_fp_denorm_src 0
		.amdhsa_exception_fp_ieee_div_zero 0
		.amdhsa_exception_fp_ieee_overflow 0
		.amdhsa_exception_fp_ieee_underflow 0
		.amdhsa_exception_fp_ieee_inexact 0
		.amdhsa_exception_int_div_zero 0
	.end_amdhsa_kernel
	.section	.text._ZL24rocblas_dot_kernel_magsqIiLb0ELi512ELi2ELb1E19rocblas_complex_numIdEPKPKS1_S1_EviT5_lT_liPT6_PT4_,"axG",@progbits,_ZL24rocblas_dot_kernel_magsqIiLb0ELi512ELi2ELb1E19rocblas_complex_numIdEPKPKS1_S1_EviT5_lT_liPT6_PT4_,comdat
.Lfunc_end135:
	.size	_ZL24rocblas_dot_kernel_magsqIiLb0ELi512ELi2ELb1E19rocblas_complex_numIdEPKPKS1_S1_EviT5_lT_liPT6_PT4_, .Lfunc_end135-_ZL24rocblas_dot_kernel_magsqIiLb0ELi512ELi2ELb1E19rocblas_complex_numIdEPKPKS1_S1_EviT5_lT_liPT6_PT4_
                                        ; -- End function
	.set _ZL24rocblas_dot_kernel_magsqIiLb0ELi512ELi2ELb1E19rocblas_complex_numIdEPKPKS1_S1_EviT5_lT_liPT6_PT4_.num_vgpr, 24
	.set _ZL24rocblas_dot_kernel_magsqIiLb0ELi512ELi2ELb1E19rocblas_complex_numIdEPKPKS1_S1_EviT5_lT_liPT6_PT4_.num_agpr, 0
	.set _ZL24rocblas_dot_kernel_magsqIiLb0ELi512ELi2ELb1E19rocblas_complex_numIdEPKPKS1_S1_EviT5_lT_liPT6_PT4_.numbered_sgpr, 26
	.set _ZL24rocblas_dot_kernel_magsqIiLb0ELi512ELi2ELb1E19rocblas_complex_numIdEPKPKS1_S1_EviT5_lT_liPT6_PT4_.num_named_barrier, 0
	.set _ZL24rocblas_dot_kernel_magsqIiLb0ELi512ELi2ELb1E19rocblas_complex_numIdEPKPKS1_S1_EviT5_lT_liPT6_PT4_.private_seg_size, 0
	.set _ZL24rocblas_dot_kernel_magsqIiLb0ELi512ELi2ELb1E19rocblas_complex_numIdEPKPKS1_S1_EviT5_lT_liPT6_PT4_.uses_vcc, 1
	.set _ZL24rocblas_dot_kernel_magsqIiLb0ELi512ELi2ELb1E19rocblas_complex_numIdEPKPKS1_S1_EviT5_lT_liPT6_PT4_.uses_flat_scratch, 0
	.set _ZL24rocblas_dot_kernel_magsqIiLb0ELi512ELi2ELb1E19rocblas_complex_numIdEPKPKS1_S1_EviT5_lT_liPT6_PT4_.has_dyn_sized_stack, 0
	.set _ZL24rocblas_dot_kernel_magsqIiLb0ELi512ELi2ELb1E19rocblas_complex_numIdEPKPKS1_S1_EviT5_lT_liPT6_PT4_.has_recursion, 0
	.set _ZL24rocblas_dot_kernel_magsqIiLb0ELi512ELi2ELb1E19rocblas_complex_numIdEPKPKS1_S1_EviT5_lT_liPT6_PT4_.has_indirect_call, 0
	.section	.AMDGPU.csdata,"",@progbits
; Kernel info:
; codeLenInByte = 1308
; TotalNumSgprs: 28
; NumVgprs: 24
; ScratchSize: 0
; MemoryBound: 0
; FloatMode: 240
; IeeeMode: 1
; LDSByteSize: 512 bytes/workgroup (compile time only)
; SGPRBlocks: 0
; VGPRBlocks: 1
; NumSGPRsForWavesPerEU: 28
; NumVGPRsForWavesPerEU: 24
; NamedBarCnt: 0
; Occupancy: 16
; WaveLimiterHint : 1
; COMPUTE_PGM_RSRC2:SCRATCH_EN: 0
; COMPUTE_PGM_RSRC2:USER_SGPR: 2
; COMPUTE_PGM_RSRC2:TRAP_HANDLER: 0
; COMPUTE_PGM_RSRC2:TGID_X_EN: 1
; COMPUTE_PGM_RSRC2:TGID_Y_EN: 0
; COMPUTE_PGM_RSRC2:TGID_Z_EN: 1
; COMPUTE_PGM_RSRC2:TIDIG_COMP_CNT: 0
	.section	.text._ZL28rocblas_dot_batched_4_kernelIiLi32ELi4ELb0EfDF16_PKDF16_EviT5_lT_lS2_lS3_liPT4_,"axG",@progbits,_ZL28rocblas_dot_batched_4_kernelIiLi32ELi4ELb0EfDF16_PKDF16_EviT5_lT_lS2_lS3_liPT4_,comdat
	.globl	_ZL28rocblas_dot_batched_4_kernelIiLi32ELi4ELb0EfDF16_PKDF16_EviT5_lT_lS2_lS3_liPT4_ ; -- Begin function _ZL28rocblas_dot_batched_4_kernelIiLi32ELi4ELb0EfDF16_PKDF16_EviT5_lT_lS2_lS3_liPT4_
	.p2align	8
	.type	_ZL28rocblas_dot_batched_4_kernelIiLi32ELi4ELb0EfDF16_PKDF16_EviT5_lT_lS2_lS3_liPT4_,@function
_ZL28rocblas_dot_batched_4_kernelIiLi32ELi4ELb0EfDF16_PKDF16_EviT5_lT_lS2_lS3_liPT4_: ; @_ZL28rocblas_dot_batched_4_kernelIiLi32ELi4ELb0EfDF16_PKDF16_EviT5_lT_lS2_lS3_liPT4_
; %bb.0:
	s_load_b32 s2, s[0:1], 0x48
	s_bfe_u32 s3, ttmp6, 0x4000c
	s_and_b32 s4, ttmp6, 15
	s_add_co_i32 s3, s3, 1
	v_bfe_u32 v1, v0, 10, 10
	s_mul_i32 s3, ttmp9, s3
	s_delay_alu instid0(SALU_CYCLE_1) | instskip(SKIP_1) | instid1(SALU_CYCLE_1)
	s_add_co_i32 s4, s4, s3
	s_getreg_b32 s3, hwreg(HW_REG_IB_STS2, 6, 4)
	s_cmp_eq_u32 s3, 0
	s_cselect_b32 s3, ttmp9, s4
	s_delay_alu instid0(SALU_CYCLE_1) | instskip(SKIP_1) | instid1(VALU_DEP_1)
	v_lshl_add_u32 v2, s3, 2, v1
	s_wait_kmcnt 0x0
	v_cmp_gt_u32_e32 vcc_lo, s2, v2
	s_and_saveexec_b32 s2, vcc_lo
	s_cbranch_execz .LBB136_7
; %bb.1:
	s_load_b32 s6, s[0:1], 0x0
	v_mov_b32_e32 v3, 0
	v_and_b32_e32 v0, 0x3ff, v0
	s_mov_b32 s7, exec_lo
	s_delay_alu instid0(VALU_DEP_2) | instskip(SKIP_1) | instid1(VALU_DEP_2)
	v_mov_b32_e32 v1, v3
	s_wait_kmcnt 0x0
	v_cmpx_gt_i32_e64 s6, v0
	s_cbranch_execz .LBB136_5
; %bb.2:
	s_clause 0x3
	s_load_b128 s[8:11], s[0:1], 0x20
	s_load_b64 s[2:3], s[0:1], 0x40
	s_load_b32 s4, s[0:1], 0x18
	s_load_b96 s[16:18], s[0:1], 0x30
	v_mov_b32_e32 v1, 0
	s_load_b128 s[12:15], s[0:1], 0x8
	s_wait_kmcnt 0x0
	v_mul_u64_e32 v[4:5], s[8:9], v[2:3]
	v_mul_u64_e32 v[6:7], s[2:3], v[2:3]
	s_ashr_i32 s5, s4, 31
	s_ashr_i32 s9, s18, 31
	v_mul_u64_e32 v[8:9], s[4:5], v[0:1]
	s_mov_b32 s8, s18
	s_lshl_b64 s[2:3], s[14:15], 1
	s_lshl_b64 s[14:15], s[16:17], 1
	s_add_nc_u64 s[2:3], s[12:13], s[2:3]
	s_add_nc_u64 s[10:11], s[10:11], s[14:15]
	s_delay_alu instid0(VALU_DEP_3) | instskip(NEXT) | instid1(VALU_DEP_3)
	v_lshlrev_b64_e32 v[4:5], 1, v[4:5]
	v_lshlrev_b64_e32 v[6:7], 1, v[6:7]
	s_delay_alu instid0(VALU_DEP_2) | instskip(SKIP_2) | instid1(VALU_DEP_3)
	v_lshl_add_u64 v[4:5], v[8:9], 1, v[4:5]
	v_mov_b32_e32 v8, v0
	v_mul_u64_e32 v[10:11], s[8:9], v[0:1]
	v_add_nc_u64_e32 v[4:5], s[2:3], v[4:5]
	s_lshl_b64 s[2:3], s[4:5], 6
	s_lshl_b64 s[4:5], s[8:9], 6
	s_mov_b32 s8, 0
	s_delay_alu instid0(VALU_DEP_2) | instskip(NEXT) | instid1(VALU_DEP_1)
	v_lshl_add_u64 v[6:7], v[10:11], 1, v[6:7]
	v_add_nc_u64_e32 v[6:7], s[10:11], v[6:7]
.LBB136_3:                              ; =>This Inner Loop Header: Depth=1
	global_load_u16 v9, v[4:5], off
	global_load_u16 v10, v[6:7], off
	v_add_nc_u32_e32 v8, 32, v8
	s_wait_xcnt 0x1
	v_add_nc_u64_e32 v[4:5], s[2:3], v[4:5]
	s_wait_xcnt 0x0
	v_add_nc_u64_e32 v[6:7], s[4:5], v[6:7]
	v_cmp_le_i32_e32 vcc_lo, s6, v8
	s_or_b32 s8, vcc_lo, s8
	s_wait_loadcnt 0x0
	v_fma_mix_f32 v1, v9, v10, v1 op_sel_hi:[1,1,0]
	s_and_not1_b32 exec_lo, exec_lo, s8
	s_cbranch_execnz .LBB136_3
; %bb.4:
	s_or_b32 exec_lo, exec_lo, s8
.LBB136_5:
	s_delay_alu instid0(SALU_CYCLE_1) | instskip(SKIP_4) | instid1(VALU_DEP_1)
	s_or_b32 exec_lo, exec_lo, s7
	v_mbcnt_lo_u32_b32 v4, -1, 0
	s_load_b64 s[0:1], s[0:1], 0x50
	s_barrier_signal -1
	s_barrier_wait -1
	v_lshl_or_b32 v5, v4, 2, 64
	v_cmp_gt_u32_e32 vcc_lo, 24, v4
	ds_bpermute_b32 v5, v5, v1
	v_cndmask_b32_e64 v6, 0, 8, vcc_lo
	v_cmp_gt_u32_e32 vcc_lo, 28, v4
	s_delay_alu instid0(VALU_DEP_2)
	v_add_lshl_u32 v6, v6, v4, 2
	s_wait_dscnt 0x0
	v_add_f32_e32 v1, v1, v5
	ds_bpermute_b32 v5, v6, v1
	v_cndmask_b32_e64 v6, 0, 4, vcc_lo
	v_cmp_gt_u32_e32 vcc_lo, 30, v4
	s_delay_alu instid0(VALU_DEP_2)
	v_add_lshl_u32 v6, v6, v4, 2
	s_wait_dscnt 0x0
	v_add_f32_e32 v1, v1, v5
	ds_bpermute_b32 v5, v6, v1
	v_cndmask_b32_e64 v6, 0, 2, vcc_lo
	v_cmp_ne_u32_e32 vcc_lo, 31, v4
	s_delay_alu instid0(VALU_DEP_2) | instskip(SKIP_3) | instid1(VALU_DEP_2)
	v_add_lshl_u32 v6, v6, v4, 2
	v_add_co_ci_u32_e64 v4, null, 0, v4, vcc_lo
	v_cmp_eq_u32_e32 vcc_lo, 0, v0
	s_wait_dscnt 0x0
	v_dual_add_f32 v1, v1, v5 :: v_dual_lshlrev_b32 v4, 2, v4
	ds_bpermute_b32 v5, v6, v1
	s_wait_dscnt 0x0
	v_add_f32_e32 v1, v1, v5
	ds_bpermute_b32 v4, v4, v1
	s_and_b32 exec_lo, exec_lo, vcc_lo
	s_cbranch_execz .LBB136_7
; %bb.6:
	s_wait_dscnt 0x0
	v_add_f32_e32 v4, v1, v4
	s_wait_kmcnt 0x0
	v_lshl_add_u64 v[0:1], v[2:3], 1, s[0:1]
	s_delay_alu instid0(VALU_DEP_2)
	v_cvt_f16_f32_e32 v2, v4
	global_store_b16 v[0:1], v2, off
.LBB136_7:
	s_endpgm
	.section	.rodata,"a",@progbits
	.p2align	6, 0x0
	.amdhsa_kernel _ZL28rocblas_dot_batched_4_kernelIiLi32ELi4ELb0EfDF16_PKDF16_EviT5_lT_lS2_lS3_liPT4_
		.amdhsa_group_segment_fixed_size 0
		.amdhsa_private_segment_fixed_size 0
		.amdhsa_kernarg_size 88
		.amdhsa_user_sgpr_count 2
		.amdhsa_user_sgpr_dispatch_ptr 0
		.amdhsa_user_sgpr_queue_ptr 0
		.amdhsa_user_sgpr_kernarg_segment_ptr 1
		.amdhsa_user_sgpr_dispatch_id 0
		.amdhsa_user_sgpr_kernarg_preload_length 0
		.amdhsa_user_sgpr_kernarg_preload_offset 0
		.amdhsa_user_sgpr_private_segment_size 0
		.amdhsa_wavefront_size32 1
		.amdhsa_uses_dynamic_stack 0
		.amdhsa_enable_private_segment 0
		.amdhsa_system_sgpr_workgroup_id_x 1
		.amdhsa_system_sgpr_workgroup_id_y 0
		.amdhsa_system_sgpr_workgroup_id_z 0
		.amdhsa_system_sgpr_workgroup_info 0
		.amdhsa_system_vgpr_workitem_id 1
		.amdhsa_next_free_vgpr 12
		.amdhsa_next_free_sgpr 19
		.amdhsa_named_barrier_count 0
		.amdhsa_reserve_vcc 1
		.amdhsa_float_round_mode_32 0
		.amdhsa_float_round_mode_16_64 0
		.amdhsa_float_denorm_mode_32 3
		.amdhsa_float_denorm_mode_16_64 3
		.amdhsa_fp16_overflow 0
		.amdhsa_memory_ordered 1
		.amdhsa_forward_progress 1
		.amdhsa_inst_pref_size 5
		.amdhsa_round_robin_scheduling 0
		.amdhsa_exception_fp_ieee_invalid_op 0
		.amdhsa_exception_fp_denorm_src 0
		.amdhsa_exception_fp_ieee_div_zero 0
		.amdhsa_exception_fp_ieee_overflow 0
		.amdhsa_exception_fp_ieee_underflow 0
		.amdhsa_exception_fp_ieee_inexact 0
		.amdhsa_exception_int_div_zero 0
	.end_amdhsa_kernel
	.section	.text._ZL28rocblas_dot_batched_4_kernelIiLi32ELi4ELb0EfDF16_PKDF16_EviT5_lT_lS2_lS3_liPT4_,"axG",@progbits,_ZL28rocblas_dot_batched_4_kernelIiLi32ELi4ELb0EfDF16_PKDF16_EviT5_lT_lS2_lS3_liPT4_,comdat
.Lfunc_end136:
	.size	_ZL28rocblas_dot_batched_4_kernelIiLi32ELi4ELb0EfDF16_PKDF16_EviT5_lT_lS2_lS3_liPT4_, .Lfunc_end136-_ZL28rocblas_dot_batched_4_kernelIiLi32ELi4ELb0EfDF16_PKDF16_EviT5_lT_lS2_lS3_liPT4_
                                        ; -- End function
	.set _ZL28rocblas_dot_batched_4_kernelIiLi32ELi4ELb0EfDF16_PKDF16_EviT5_lT_lS2_lS3_liPT4_.num_vgpr, 12
	.set _ZL28rocblas_dot_batched_4_kernelIiLi32ELi4ELb0EfDF16_PKDF16_EviT5_lT_lS2_lS3_liPT4_.num_agpr, 0
	.set _ZL28rocblas_dot_batched_4_kernelIiLi32ELi4ELb0EfDF16_PKDF16_EviT5_lT_lS2_lS3_liPT4_.numbered_sgpr, 19
	.set _ZL28rocblas_dot_batched_4_kernelIiLi32ELi4ELb0EfDF16_PKDF16_EviT5_lT_lS2_lS3_liPT4_.num_named_barrier, 0
	.set _ZL28rocblas_dot_batched_4_kernelIiLi32ELi4ELb0EfDF16_PKDF16_EviT5_lT_lS2_lS3_liPT4_.private_seg_size, 0
	.set _ZL28rocblas_dot_batched_4_kernelIiLi32ELi4ELb0EfDF16_PKDF16_EviT5_lT_lS2_lS3_liPT4_.uses_vcc, 1
	.set _ZL28rocblas_dot_batched_4_kernelIiLi32ELi4ELb0EfDF16_PKDF16_EviT5_lT_lS2_lS3_liPT4_.uses_flat_scratch, 0
	.set _ZL28rocblas_dot_batched_4_kernelIiLi32ELi4ELb0EfDF16_PKDF16_EviT5_lT_lS2_lS3_liPT4_.has_dyn_sized_stack, 0
	.set _ZL28rocblas_dot_batched_4_kernelIiLi32ELi4ELb0EfDF16_PKDF16_EviT5_lT_lS2_lS3_liPT4_.has_recursion, 0
	.set _ZL28rocblas_dot_batched_4_kernelIiLi32ELi4ELb0EfDF16_PKDF16_EviT5_lT_lS2_lS3_liPT4_.has_indirect_call, 0
	.section	.AMDGPU.csdata,"",@progbits
; Kernel info:
; codeLenInByte = 620
; TotalNumSgprs: 21
; NumVgprs: 12
; ScratchSize: 0
; MemoryBound: 0
; FloatMode: 240
; IeeeMode: 1
; LDSByteSize: 0 bytes/workgroup (compile time only)
; SGPRBlocks: 0
; VGPRBlocks: 0
; NumSGPRsForWavesPerEU: 21
; NumVGPRsForWavesPerEU: 12
; NamedBarCnt: 0
; Occupancy: 16
; WaveLimiterHint : 0
; COMPUTE_PGM_RSRC2:SCRATCH_EN: 0
; COMPUTE_PGM_RSRC2:USER_SGPR: 2
; COMPUTE_PGM_RSRC2:TRAP_HANDLER: 0
; COMPUTE_PGM_RSRC2:TGID_X_EN: 1
; COMPUTE_PGM_RSRC2:TGID_Y_EN: 0
; COMPUTE_PGM_RSRC2:TGID_Z_EN: 0
; COMPUTE_PGM_RSRC2:TIDIG_COMP_CNT: 1
	.section	.text._ZL28rocblas_dot_batched_4_kernelIiLi64ELi4ELb0EfDF16_PKDF16_EviT5_lT_lS2_lS3_liPT4_,"axG",@progbits,_ZL28rocblas_dot_batched_4_kernelIiLi64ELi4ELb0EfDF16_PKDF16_EviT5_lT_lS2_lS3_liPT4_,comdat
	.globl	_ZL28rocblas_dot_batched_4_kernelIiLi64ELi4ELb0EfDF16_PKDF16_EviT5_lT_lS2_lS3_liPT4_ ; -- Begin function _ZL28rocblas_dot_batched_4_kernelIiLi64ELi4ELb0EfDF16_PKDF16_EviT5_lT_lS2_lS3_liPT4_
	.p2align	8
	.type	_ZL28rocblas_dot_batched_4_kernelIiLi64ELi4ELb0EfDF16_PKDF16_EviT5_lT_lS2_lS3_liPT4_,@function
_ZL28rocblas_dot_batched_4_kernelIiLi64ELi4ELb0EfDF16_PKDF16_EviT5_lT_lS2_lS3_liPT4_: ; @_ZL28rocblas_dot_batched_4_kernelIiLi64ELi4ELb0EfDF16_PKDF16_EviT5_lT_lS2_lS3_liPT4_
; %bb.0:
	s_load_b32 s2, s[0:1], 0x48
	s_bfe_u32 s3, ttmp6, 0x4000c
	s_and_b32 s4, ttmp6, 15
	s_add_co_i32 s3, s3, 1
	v_bfe_u32 v1, v0, 10, 10
	s_mul_i32 s3, ttmp9, s3
	s_delay_alu instid0(SALU_CYCLE_1) | instskip(SKIP_1) | instid1(SALU_CYCLE_1)
	s_add_co_i32 s4, s4, s3
	s_getreg_b32 s3, hwreg(HW_REG_IB_STS2, 6, 4)
	s_cmp_eq_u32 s3, 0
	s_cselect_b32 s3, ttmp9, s4
	s_delay_alu instid0(SALU_CYCLE_1) | instskip(SKIP_1) | instid1(VALU_DEP_1)
	v_lshl_add_u32 v2, s3, 2, v1
	s_wait_kmcnt 0x0
	v_cmp_gt_u32_e32 vcc_lo, s2, v2
	s_and_saveexec_b32 s2, vcc_lo
	s_cbranch_execz .LBB137_7
; %bb.1:
	s_load_b32 s6, s[0:1], 0x0
	v_mov_b32_e32 v3, 0
	v_and_b32_e32 v0, 0x3ff, v0
	s_mov_b32 s7, exec_lo
	s_delay_alu instid0(VALU_DEP_2) | instskip(SKIP_1) | instid1(VALU_DEP_2)
	v_mov_b32_e32 v1, v3
	s_wait_kmcnt 0x0
	v_cmpx_gt_i32_e64 s6, v0
	s_cbranch_execz .LBB137_5
; %bb.2:
	s_clause 0x3
	s_load_b128 s[8:11], s[0:1], 0x20
	s_load_b64 s[2:3], s[0:1], 0x40
	s_load_b32 s4, s[0:1], 0x18
	s_load_b96 s[16:18], s[0:1], 0x30
	v_mov_b32_e32 v1, 0
	s_load_b128 s[12:15], s[0:1], 0x8
	s_wait_kmcnt 0x0
	v_mul_u64_e32 v[4:5], s[8:9], v[2:3]
	v_mul_u64_e32 v[6:7], s[2:3], v[2:3]
	s_ashr_i32 s5, s4, 31
	s_ashr_i32 s9, s18, 31
	v_mul_u64_e32 v[8:9], s[4:5], v[0:1]
	s_mov_b32 s8, s18
	s_lshl_b64 s[2:3], s[14:15], 1
	s_lshl_b64 s[14:15], s[16:17], 1
	s_add_nc_u64 s[2:3], s[12:13], s[2:3]
	s_add_nc_u64 s[10:11], s[10:11], s[14:15]
	s_delay_alu instid0(VALU_DEP_3) | instskip(NEXT) | instid1(VALU_DEP_3)
	v_lshlrev_b64_e32 v[4:5], 1, v[4:5]
	v_lshlrev_b64_e32 v[6:7], 1, v[6:7]
	s_delay_alu instid0(VALU_DEP_2) | instskip(SKIP_2) | instid1(VALU_DEP_3)
	v_lshl_add_u64 v[4:5], v[8:9], 1, v[4:5]
	v_mov_b32_e32 v8, v0
	v_mul_u64_e32 v[10:11], s[8:9], v[0:1]
	v_add_nc_u64_e32 v[4:5], s[2:3], v[4:5]
	s_lshl_b64 s[2:3], s[4:5], 7
	s_lshl_b64 s[4:5], s[8:9], 7
	s_mov_b32 s8, 0
	s_delay_alu instid0(VALU_DEP_2) | instskip(NEXT) | instid1(VALU_DEP_1)
	v_lshl_add_u64 v[6:7], v[10:11], 1, v[6:7]
	v_add_nc_u64_e32 v[6:7], s[10:11], v[6:7]
.LBB137_3:                              ; =>This Inner Loop Header: Depth=1
	global_load_u16 v9, v[4:5], off
	global_load_u16 v10, v[6:7], off
	v_add_nc_u32_e32 v8, 64, v8
	s_wait_xcnt 0x1
	v_add_nc_u64_e32 v[4:5], s[2:3], v[4:5]
	s_wait_xcnt 0x0
	v_add_nc_u64_e32 v[6:7], s[4:5], v[6:7]
	v_cmp_le_i32_e32 vcc_lo, s6, v8
	s_or_b32 s8, vcc_lo, s8
	s_wait_loadcnt 0x0
	v_fma_mix_f32 v1, v9, v10, v1 op_sel_hi:[1,1,0]
	s_and_not1_b32 exec_lo, exec_lo, s8
	s_cbranch_execnz .LBB137_3
; %bb.4:
	s_or_b32 exec_lo, exec_lo, s8
.LBB137_5:
	s_delay_alu instid0(SALU_CYCLE_1) | instskip(SKIP_4) | instid1(VALU_DEP_1)
	s_or_b32 exec_lo, exec_lo, s7
	v_mbcnt_lo_u32_b32 v4, -1, 0
	s_load_b64 s[0:1], s[0:1], 0x50
	s_barrier_signal -1
	s_barrier_wait -1
	v_lshlrev_b32_e32 v5, 2, v4
	v_cmp_gt_u32_e32 vcc_lo, 24, v4
	ds_bpermute_b32 v6, v5, v1
	s_wait_dscnt 0x0
	v_dual_add_f32 v1, v1, v6 :: v_dual_bitop2_b32 v5, 64, v5 bitop3:0x54
	v_cndmask_b32_e64 v6, 0, 8, vcc_lo
	v_cmp_gt_u32_e32 vcc_lo, 28, v4
	ds_bpermute_b32 v5, v5, v1
	v_add_lshl_u32 v6, v6, v4, 2
	s_wait_dscnt 0x0
	v_add_f32_e32 v1, v1, v5
	ds_bpermute_b32 v5, v6, v1
	v_cndmask_b32_e64 v6, 0, 4, vcc_lo
	v_cmp_gt_u32_e32 vcc_lo, 30, v4
	s_delay_alu instid0(VALU_DEP_2)
	v_add_lshl_u32 v6, v6, v4, 2
	s_wait_dscnt 0x0
	v_add_f32_e32 v1, v1, v5
	ds_bpermute_b32 v5, v6, v1
	v_cndmask_b32_e64 v6, 0, 2, vcc_lo
	v_cmp_ne_u32_e32 vcc_lo, 31, v4
	s_delay_alu instid0(VALU_DEP_2) | instskip(SKIP_3) | instid1(VALU_DEP_2)
	v_add_lshl_u32 v6, v6, v4, 2
	v_add_co_ci_u32_e64 v4, null, 0, v4, vcc_lo
	v_cmp_eq_u32_e32 vcc_lo, 0, v0
	s_wait_dscnt 0x0
	v_dual_add_f32 v1, v1, v5 :: v_dual_lshlrev_b32 v4, 2, v4
	ds_bpermute_b32 v5, v6, v1
	s_wait_dscnt 0x0
	v_add_f32_e32 v1, v1, v5
	ds_bpermute_b32 v4, v4, v1
	s_and_b32 exec_lo, exec_lo, vcc_lo
	s_cbranch_execz .LBB137_7
; %bb.6:
	s_wait_dscnt 0x0
	v_add_f32_e32 v4, v1, v4
	s_wait_kmcnt 0x0
	v_lshl_add_u64 v[0:1], v[2:3], 1, s[0:1]
	s_delay_alu instid0(VALU_DEP_2)
	v_cvt_f16_f32_e32 v2, v4
	global_store_b16 v[0:1], v2, off
.LBB137_7:
	s_endpgm
	.section	.rodata,"a",@progbits
	.p2align	6, 0x0
	.amdhsa_kernel _ZL28rocblas_dot_batched_4_kernelIiLi64ELi4ELb0EfDF16_PKDF16_EviT5_lT_lS2_lS3_liPT4_
		.amdhsa_group_segment_fixed_size 0
		.amdhsa_private_segment_fixed_size 0
		.amdhsa_kernarg_size 88
		.amdhsa_user_sgpr_count 2
		.amdhsa_user_sgpr_dispatch_ptr 0
		.amdhsa_user_sgpr_queue_ptr 0
		.amdhsa_user_sgpr_kernarg_segment_ptr 1
		.amdhsa_user_sgpr_dispatch_id 0
		.amdhsa_user_sgpr_kernarg_preload_length 0
		.amdhsa_user_sgpr_kernarg_preload_offset 0
		.amdhsa_user_sgpr_private_segment_size 0
		.amdhsa_wavefront_size32 1
		.amdhsa_uses_dynamic_stack 0
		.amdhsa_enable_private_segment 0
		.amdhsa_system_sgpr_workgroup_id_x 1
		.amdhsa_system_sgpr_workgroup_id_y 0
		.amdhsa_system_sgpr_workgroup_id_z 0
		.amdhsa_system_sgpr_workgroup_info 0
		.amdhsa_system_vgpr_workitem_id 1
		.amdhsa_next_free_vgpr 12
		.amdhsa_next_free_sgpr 19
		.amdhsa_named_barrier_count 0
		.amdhsa_reserve_vcc 1
		.amdhsa_float_round_mode_32 0
		.amdhsa_float_round_mode_16_64 0
		.amdhsa_float_denorm_mode_32 3
		.amdhsa_float_denorm_mode_16_64 3
		.amdhsa_fp16_overflow 0
		.amdhsa_memory_ordered 1
		.amdhsa_forward_progress 1
		.amdhsa_inst_pref_size 5
		.amdhsa_round_robin_scheduling 0
		.amdhsa_exception_fp_ieee_invalid_op 0
		.amdhsa_exception_fp_denorm_src 0
		.amdhsa_exception_fp_ieee_div_zero 0
		.amdhsa_exception_fp_ieee_overflow 0
		.amdhsa_exception_fp_ieee_underflow 0
		.amdhsa_exception_fp_ieee_inexact 0
		.amdhsa_exception_int_div_zero 0
	.end_amdhsa_kernel
	.section	.text._ZL28rocblas_dot_batched_4_kernelIiLi64ELi4ELb0EfDF16_PKDF16_EviT5_lT_lS2_lS3_liPT4_,"axG",@progbits,_ZL28rocblas_dot_batched_4_kernelIiLi64ELi4ELb0EfDF16_PKDF16_EviT5_lT_lS2_lS3_liPT4_,comdat
.Lfunc_end137:
	.size	_ZL28rocblas_dot_batched_4_kernelIiLi64ELi4ELb0EfDF16_PKDF16_EviT5_lT_lS2_lS3_liPT4_, .Lfunc_end137-_ZL28rocblas_dot_batched_4_kernelIiLi64ELi4ELb0EfDF16_PKDF16_EviT5_lT_lS2_lS3_liPT4_
                                        ; -- End function
	.set _ZL28rocblas_dot_batched_4_kernelIiLi64ELi4ELb0EfDF16_PKDF16_EviT5_lT_lS2_lS3_liPT4_.num_vgpr, 12
	.set _ZL28rocblas_dot_batched_4_kernelIiLi64ELi4ELb0EfDF16_PKDF16_EviT5_lT_lS2_lS3_liPT4_.num_agpr, 0
	.set _ZL28rocblas_dot_batched_4_kernelIiLi64ELi4ELb0EfDF16_PKDF16_EviT5_lT_lS2_lS3_liPT4_.numbered_sgpr, 19
	.set _ZL28rocblas_dot_batched_4_kernelIiLi64ELi4ELb0EfDF16_PKDF16_EviT5_lT_lS2_lS3_liPT4_.num_named_barrier, 0
	.set _ZL28rocblas_dot_batched_4_kernelIiLi64ELi4ELb0EfDF16_PKDF16_EviT5_lT_lS2_lS3_liPT4_.private_seg_size, 0
	.set _ZL28rocblas_dot_batched_4_kernelIiLi64ELi4ELb0EfDF16_PKDF16_EviT5_lT_lS2_lS3_liPT4_.uses_vcc, 1
	.set _ZL28rocblas_dot_batched_4_kernelIiLi64ELi4ELb0EfDF16_PKDF16_EviT5_lT_lS2_lS3_liPT4_.uses_flat_scratch, 0
	.set _ZL28rocblas_dot_batched_4_kernelIiLi64ELi4ELb0EfDF16_PKDF16_EviT5_lT_lS2_lS3_liPT4_.has_dyn_sized_stack, 0
	.set _ZL28rocblas_dot_batched_4_kernelIiLi64ELi4ELb0EfDF16_PKDF16_EviT5_lT_lS2_lS3_liPT4_.has_recursion, 0
	.set _ZL28rocblas_dot_batched_4_kernelIiLi64ELi4ELb0EfDF16_PKDF16_EviT5_lT_lS2_lS3_liPT4_.has_indirect_call, 0
	.section	.AMDGPU.csdata,"",@progbits
; Kernel info:
; codeLenInByte = 636
; TotalNumSgprs: 21
; NumVgprs: 12
; ScratchSize: 0
; MemoryBound: 0
; FloatMode: 240
; IeeeMode: 1
; LDSByteSize: 0 bytes/workgroup (compile time only)
; SGPRBlocks: 0
; VGPRBlocks: 0
; NumSGPRsForWavesPerEU: 21
; NumVGPRsForWavesPerEU: 12
; NamedBarCnt: 0
; Occupancy: 16
; WaveLimiterHint : 0
; COMPUTE_PGM_RSRC2:SCRATCH_EN: 0
; COMPUTE_PGM_RSRC2:USER_SGPR: 2
; COMPUTE_PGM_RSRC2:TRAP_HANDLER: 0
; COMPUTE_PGM_RSRC2:TGID_X_EN: 1
; COMPUTE_PGM_RSRC2:TGID_Y_EN: 0
; COMPUTE_PGM_RSRC2:TGID_Z_EN: 0
; COMPUTE_PGM_RSRC2:TIDIG_COMP_CNT: 1
	.section	.text._ZL26rocblas_dot_kernel_inc1by2ILb1ELi1024ELi32ELb0EDF16_PKDF16_fEviT4_llS2_lliPT5_PT3_,"axG",@progbits,_ZL26rocblas_dot_kernel_inc1by2ILb1ELi1024ELi32ELb0EDF16_PKDF16_fEviT4_llS2_lliPT5_PT3_,comdat
	.globl	_ZL26rocblas_dot_kernel_inc1by2ILb1ELi1024ELi32ELb0EDF16_PKDF16_fEviT4_llS2_lliPT5_PT3_ ; -- Begin function _ZL26rocblas_dot_kernel_inc1by2ILb1ELi1024ELi32ELb0EDF16_PKDF16_fEviT4_llS2_lliPT5_PT3_
	.p2align	8
	.type	_ZL26rocblas_dot_kernel_inc1by2ILb1ELi1024ELi32ELb0EDF16_PKDF16_fEviT4_llS2_lliPT5_PT3_,@function
_ZL26rocblas_dot_kernel_inc1by2ILb1ELi1024ELi32ELb0EDF16_PKDF16_fEviT4_llS2_lliPT5_PT3_: ; @_ZL26rocblas_dot_kernel_inc1by2ILb1ELi1024ELi32ELb0EDF16_PKDF16_fEviT4_llS2_lliPT5_PT3_
; %bb.0:
	s_load_b32 s3, s[0:1], 0x38
	s_bfe_u32 s2, ttmp6, 0x40014
	s_lshr_b32 s4, ttmp7, 16
	s_add_co_i32 s2, s2, 1
	s_bfe_u32 s5, ttmp6, 0x40008
	s_mul_i32 s2, s4, s2
	s_getreg_b32 s6, hwreg(HW_REG_IB_STS2, 6, 4)
	s_add_co_i32 s5, s5, s2
	s_cmp_eq_u32 s6, 0
	s_mov_b32 s13, 0
	s_cselect_b32 s12, s4, s5
	s_wait_kmcnt 0x0
	s_cmp_ge_u32 s12, s3
	s_cbranch_scc1 .LBB138_19
; %bb.1:
	s_clause 0x4
	s_load_b32 s20, s[0:1], 0x0
	s_load_b128 s[4:7], s[0:1], 0x10
	s_load_b128 s[8:11], s[0:1], 0x28
	s_load_b64 s[16:17], s[0:1], 0x8
	s_load_b64 s[18:19], s[0:1], 0x20
	v_mbcnt_lo_u32_b32 v2, -1, 0
	s_load_b64 s[14:15], s[0:1], 0x48
	v_dual_mov_b32 v13, 0 :: v_dual_bitop2_b32 v1, 31, v0 bitop3:0x40
	v_cmp_gt_u32_e32 vcc_lo, 32, v0
	s_wait_xcnt 0x0
	v_cmp_gt_u32_e64 s0, 24, v2
	v_lshl_or_b32 v7, v2, 2, 64
	s_delay_alu instid0(VALU_DEP_2) | instskip(SKIP_1) | instid1(VALU_DEP_2)
	v_cndmask_b32_e64 v3, 0, 8, s0
	v_cmp_gt_u32_e64 s0, 28, v2
	v_add_lshl_u32 v8, v3, v2, 2
	s_delay_alu instid0(VALU_DEP_2)
	v_cndmask_b32_e64 v4, 0, 4, s0
	s_wait_kmcnt 0x0
	s_lshl_b64 s[0:1], s[4:5], 1
	v_lshrrev_b32_e32 v3, 3, v0
	s_add_nc_u64 s[4:5], s[16:17], s[0:1]
	v_cmp_gt_u32_e64 s0, 30, v2
	s_ashr_i32 s21, s20, 31
	s_lshl_b64 s[8:9], s[8:9], 1
	s_add_co_i32 s22, s20, -1
	v_add_lshl_u32 v9, v4, v2, 2
	v_cndmask_b32_e64 v5, 0, 2, s0
	v_cmp_ne_u32_e64 s0, 31, v2
	v_and_b32_e32 v12, 0x7c, v3
	v_cmp_eq_u32_e64 s1, 0, v0
	s_bitcmp1_b32 s20, 0
	v_add_lshl_u32 v10, v5, v2, 2
	v_add_co_ci_u32_e64 v11, null, 0, v2, s0
	v_lshlrev_b32_e32 v6, 2, v1
	v_cmp_eq_u32_e64 s0, 0, v1
	s_add_nc_u64 s[8:9], s[18:19], s[8:9]
	v_lshlrev_b32_e32 v11, 2, v11
	s_cselect_b32 s23, -1, 0
	s_lshl_b64 s[16:17], s[10:11], 1
	s_lshl_b64 s[18:19], s[6:7], 1
	;; [unrolled: 1-line block ×3, first 2 shown]
	s_branch .LBB138_3
.LBB138_2:                              ;   in Loop: Header=BB138_3 Depth=1
	s_wait_xcnt 0x0
	s_or_b32 exec_lo, exec_lo, s2
	s_add_co_i32 s12, s12, 0x10000
	s_delay_alu instid0(SALU_CYCLE_1)
	s_cmp_lt_u32 s12, s3
	s_cbranch_scc0 .LBB138_19
.LBB138_3:                              ; =>This Loop Header: Depth=1
                                        ;     Child Loop BB138_5 Depth 2
	s_wait_dscnt 0x0
	v_dual_mov_b32 v1, 0 :: v_dual_lshlrev_b32 v0, 1, v0
	s_mov_b32 s24, exec_lo
	s_delay_alu instid0(VALU_DEP_1)
	v_cmpx_gt_i32_e64 s22, v0
	s_cbranch_execz .LBB138_7
; %bb.4:                                ;   in Loop: Header=BB138_3 Depth=1
	v_ashrrev_i32_e32 v1, 31, v0
	s_mul_u64 s[26:27], s[16:17], s[12:13]
	s_mul_u64 s[28:29], s[18:19], s[12:13]
	s_add_nc_u64 s[26:27], s[8:9], s[26:27]
	s_add_nc_u64 s[28:29], s[4:5], s[28:29]
	v_lshlrev_b64_e32 v[4:5], 1, v[0:1]
	v_mov_b32_e32 v1, 0
	s_mov_b32 s25, 0
	s_mov_b32 s2, 0
	s_delay_alu instid0(VALU_DEP_2)
	v_add_nc_u64_e32 v[2:3], s[26:27], v[4:5]
	v_add_nc_u64_e32 v[4:5], s[28:29], v[4:5]
.LBB138_5:                              ;   Parent Loop BB138_3 Depth=1
                                        ; =>  This Inner Loop Header: Depth=2
	global_load_b32 v14, v[2:3], off
	global_load_b32 v15, v[4:5], off
	s_add_co_i32 s26, s2, 1
	s_cmp_gt_u32 s2, 30
	s_wait_xcnt 0x1
	v_add_nc_u64_e32 v[2:3], 0x1000, v[2:3]
	s_cselect_b32 s27, -1, 0
	s_wait_xcnt 0x0
	v_add_nc_u64_e32 v[4:5], 0x1000, v[4:5]
	s_wait_loadcnt 0x0
	v_dual_lshrrev_b32 v17, 16, v14 :: v_dual_lshrrev_b32 v18, 16, v15
	v_cvt_f32_f16_e32 v14, v14
	v_cvt_f32_f16_e32 v16, v15
	s_delay_alu instid0(VALU_DEP_3) | instskip(NEXT) | instid1(VALU_DEP_4)
	v_cvt_f32_f16_e32 v15, v17
	v_cvt_f32_f16_e32 v17, v18
	s_delay_alu instid0(VALU_DEP_1) | instskip(NEXT) | instid1(VALU_DEP_1)
	v_pk_mul_f32 v[14:15], v[14:15], v[16:17]
	v_dual_add_f32 v1, v1, v14 :: v_dual_add_nc_u32 v0, 0x800, v0
	s_delay_alu instid0(VALU_DEP_1) | instskip(NEXT) | instid1(VALU_DEP_2)
	v_cmp_le_i32_e64 s2, s22, v0
	v_add_f32_e32 v1, v1, v15
	s_or_b32 s2, s27, s2
	s_delay_alu instid0(SALU_CYCLE_1) | instskip(NEXT) | instid1(SALU_CYCLE_1)
	s_and_b32 s2, exec_lo, s2
	s_or_b32 s25, s2, s25
	s_mov_b32 s2, s26
	s_and_not1_b32 exec_lo, exec_lo, s25
	s_cbranch_execnz .LBB138_5
; %bb.6:                                ;   in Loop: Header=BB138_3 Depth=1
	s_or_b32 exec_lo, exec_lo, s25
.LBB138_7:                              ;   in Loop: Header=BB138_3 Depth=1
	s_delay_alu instid0(SALU_CYCLE_1) | instskip(SKIP_2) | instid1(SALU_CYCLE_1)
	s_or_b32 exec_lo, exec_lo, s24
	v_cmp_eq_u32_e64 s2, s22, v0
	s_and_b32 s24, s23, s2
	s_and_saveexec_b32 s2, s24
	s_cbranch_execz .LBB138_9
; %bb.8:                                ;   in Loop: Header=BB138_3 Depth=1
	s_mul_u64 s[24:25], s[10:11], s[12:13]
	s_mul_u64 s[26:27], s[6:7], s[12:13]
	s_lshl_b64 s[24:25], s[24:25], 1
	s_lshl_b64 s[26:27], s[26:27], 1
	s_add_nc_u64 s[24:25], s[8:9], s[24:25]
	s_add_nc_u64 s[26:27], s[4:5], s[26:27]
	;; [unrolled: 1-line block ×4, first 2 shown]
	s_clause 0x1
	global_load_u16 v2, v13, s[24:25] offset:-2
	global_load_u16 v3, v13, s[26:27] offset:-2
	s_wait_loadcnt 0x0
	v_fma_mix_f32 v1, v2, v3, v1 op_sel_hi:[1,1,0]
.LBB138_9:                              ;   in Loop: Header=BB138_3 Depth=1
	s_wait_xcnt 0x0
	s_or_b32 exec_lo, exec_lo, s2
	s_and_saveexec_b32 s2, vcc_lo
; %bb.10:                               ;   in Loop: Header=BB138_3 Depth=1
	ds_store_b32 v6, v13
; %bb.11:                               ;   in Loop: Header=BB138_3 Depth=1
	s_or_b32 exec_lo, exec_lo, s2
	ds_bpermute_b32 v2, v7, v1
	s_wait_dscnt 0x0
	s_barrier_signal -1
	s_barrier_wait -1
	v_add_f32_e32 v1, v1, v2
	ds_bpermute_b32 v2, v8, v1
	s_wait_dscnt 0x0
	v_add_f32_e32 v1, v1, v2
	ds_bpermute_b32 v2, v9, v1
	s_wait_dscnt 0x0
	;; [unrolled: 3-line block ×3, first 2 shown]
	v_add_f32_e32 v1, v1, v2
	ds_bpermute_b32 v2, v11, v1
	s_and_saveexec_b32 s2, s0
	s_cbranch_execz .LBB138_13
; %bb.12:                               ;   in Loop: Header=BB138_3 Depth=1
	s_wait_dscnt 0x0
	v_add_f32_e32 v1, v1, v2
	ds_store_b32 v12, v1
.LBB138_13:                             ;   in Loop: Header=BB138_3 Depth=1
	s_or_b32 exec_lo, exec_lo, s2
	v_mov_b32_e32 v1, 0
	s_wait_dscnt 0x0
	s_barrier_signal -1
	s_barrier_wait -1
	s_and_saveexec_b32 s2, vcc_lo
	s_cbranch_execnz .LBB138_16
; %bb.14:                               ;   in Loop: Header=BB138_3 Depth=1
	s_or_b32 exec_lo, exec_lo, s2
	s_and_saveexec_b32 s2, vcc_lo
	s_cbranch_execnz .LBB138_17
.LBB138_15:                             ;   in Loop: Header=BB138_3 Depth=1
	s_or_b32 exec_lo, exec_lo, s2
	s_and_saveexec_b32 s2, s1
	s_cbranch_execz .LBB138_2
	s_branch .LBB138_18
.LBB138_16:                             ;   in Loop: Header=BB138_3 Depth=1
	ds_load_b32 v1, v6
	s_or_b32 exec_lo, exec_lo, s2
	s_and_saveexec_b32 s2, vcc_lo
	s_cbranch_execz .LBB138_15
.LBB138_17:                             ;   in Loop: Header=BB138_3 Depth=1
	s_wait_dscnt 0x0
	ds_bpermute_b32 v2, v7, v1
	s_wait_dscnt 0x0
	v_add_f32_e32 v1, v1, v2
	ds_bpermute_b32 v2, v8, v1
	s_wait_dscnt 0x0
	v_add_f32_e32 v1, v1, v2
	;; [unrolled: 3-line block ×5, first 2 shown]
	s_or_b32 exec_lo, exec_lo, s2
	s_and_saveexec_b32 s2, s1
	s_cbranch_execz .LBB138_2
.LBB138_18:                             ;   in Loop: Header=BB138_3 Depth=1
	s_wait_dscnt 0x0
	v_cvt_f16_f32_e32 v1, v1
	s_lshl_b64 s[24:25], s[12:13], 1
	s_delay_alu instid0(SALU_CYCLE_1)
	s_add_nc_u64 s[24:25], s[14:15], s[24:25]
	global_store_b16 v13, v1, s[24:25]
	s_branch .LBB138_2
.LBB138_19:
	s_endpgm
	.section	.rodata,"a",@progbits
	.p2align	6, 0x0
	.amdhsa_kernel _ZL26rocblas_dot_kernel_inc1by2ILb1ELi1024ELi32ELb0EDF16_PKDF16_fEviT4_llS2_lliPT5_PT3_
		.amdhsa_group_segment_fixed_size 128
		.amdhsa_private_segment_fixed_size 0
		.amdhsa_kernarg_size 80
		.amdhsa_user_sgpr_count 2
		.amdhsa_user_sgpr_dispatch_ptr 0
		.amdhsa_user_sgpr_queue_ptr 0
		.amdhsa_user_sgpr_kernarg_segment_ptr 1
		.amdhsa_user_sgpr_dispatch_id 0
		.amdhsa_user_sgpr_kernarg_preload_length 0
		.amdhsa_user_sgpr_kernarg_preload_offset 0
		.amdhsa_user_sgpr_private_segment_size 0
		.amdhsa_wavefront_size32 1
		.amdhsa_uses_dynamic_stack 0
		.amdhsa_enable_private_segment 0
		.amdhsa_system_sgpr_workgroup_id_x 1
		.amdhsa_system_sgpr_workgroup_id_y 0
		.amdhsa_system_sgpr_workgroup_id_z 1
		.amdhsa_system_sgpr_workgroup_info 0
		.amdhsa_system_vgpr_workitem_id 0
		.amdhsa_next_free_vgpr 19
		.amdhsa_next_free_sgpr 30
		.amdhsa_named_barrier_count 0
		.amdhsa_reserve_vcc 1
		.amdhsa_float_round_mode_32 0
		.amdhsa_float_round_mode_16_64 0
		.amdhsa_float_denorm_mode_32 3
		.amdhsa_float_denorm_mode_16_64 3
		.amdhsa_fp16_overflow 0
		.amdhsa_memory_ordered 1
		.amdhsa_forward_progress 1
		.amdhsa_inst_pref_size 9
		.amdhsa_round_robin_scheduling 0
		.amdhsa_exception_fp_ieee_invalid_op 0
		.amdhsa_exception_fp_denorm_src 0
		.amdhsa_exception_fp_ieee_div_zero 0
		.amdhsa_exception_fp_ieee_overflow 0
		.amdhsa_exception_fp_ieee_underflow 0
		.amdhsa_exception_fp_ieee_inexact 0
		.amdhsa_exception_int_div_zero 0
	.end_amdhsa_kernel
	.section	.text._ZL26rocblas_dot_kernel_inc1by2ILb1ELi1024ELi32ELb0EDF16_PKDF16_fEviT4_llS2_lliPT5_PT3_,"axG",@progbits,_ZL26rocblas_dot_kernel_inc1by2ILb1ELi1024ELi32ELb0EDF16_PKDF16_fEviT4_llS2_lliPT5_PT3_,comdat
.Lfunc_end138:
	.size	_ZL26rocblas_dot_kernel_inc1by2ILb1ELi1024ELi32ELb0EDF16_PKDF16_fEviT4_llS2_lliPT5_PT3_, .Lfunc_end138-_ZL26rocblas_dot_kernel_inc1by2ILb1ELi1024ELi32ELb0EDF16_PKDF16_fEviT4_llS2_lliPT5_PT3_
                                        ; -- End function
	.set _ZL26rocblas_dot_kernel_inc1by2ILb1ELi1024ELi32ELb0EDF16_PKDF16_fEviT4_llS2_lliPT5_PT3_.num_vgpr, 19
	.set _ZL26rocblas_dot_kernel_inc1by2ILb1ELi1024ELi32ELb0EDF16_PKDF16_fEviT4_llS2_lliPT5_PT3_.num_agpr, 0
	.set _ZL26rocblas_dot_kernel_inc1by2ILb1ELi1024ELi32ELb0EDF16_PKDF16_fEviT4_llS2_lliPT5_PT3_.numbered_sgpr, 30
	.set _ZL26rocblas_dot_kernel_inc1by2ILb1ELi1024ELi32ELb0EDF16_PKDF16_fEviT4_llS2_lliPT5_PT3_.num_named_barrier, 0
	.set _ZL26rocblas_dot_kernel_inc1by2ILb1ELi1024ELi32ELb0EDF16_PKDF16_fEviT4_llS2_lliPT5_PT3_.private_seg_size, 0
	.set _ZL26rocblas_dot_kernel_inc1by2ILb1ELi1024ELi32ELb0EDF16_PKDF16_fEviT4_llS2_lliPT5_PT3_.uses_vcc, 1
	.set _ZL26rocblas_dot_kernel_inc1by2ILb1ELi1024ELi32ELb0EDF16_PKDF16_fEviT4_llS2_lliPT5_PT3_.uses_flat_scratch, 0
	.set _ZL26rocblas_dot_kernel_inc1by2ILb1ELi1024ELi32ELb0EDF16_PKDF16_fEviT4_llS2_lliPT5_PT3_.has_dyn_sized_stack, 0
	.set _ZL26rocblas_dot_kernel_inc1by2ILb1ELi1024ELi32ELb0EDF16_PKDF16_fEviT4_llS2_lliPT5_PT3_.has_recursion, 0
	.set _ZL26rocblas_dot_kernel_inc1by2ILb1ELi1024ELi32ELb0EDF16_PKDF16_fEviT4_llS2_lliPT5_PT3_.has_indirect_call, 0
	.section	.AMDGPU.csdata,"",@progbits
; Kernel info:
; codeLenInByte = 1056
; TotalNumSgprs: 32
; NumVgprs: 19
; ScratchSize: 0
; MemoryBound: 0
; FloatMode: 240
; IeeeMode: 1
; LDSByteSize: 128 bytes/workgroup (compile time only)
; SGPRBlocks: 0
; VGPRBlocks: 1
; NumSGPRsForWavesPerEU: 32
; NumVGPRsForWavesPerEU: 19
; NamedBarCnt: 0
; Occupancy: 16
; WaveLimiterHint : 0
; COMPUTE_PGM_RSRC2:SCRATCH_EN: 0
; COMPUTE_PGM_RSRC2:USER_SGPR: 2
; COMPUTE_PGM_RSRC2:TRAP_HANDLER: 0
; COMPUTE_PGM_RSRC2:TGID_X_EN: 1
; COMPUTE_PGM_RSRC2:TGID_Y_EN: 0
; COMPUTE_PGM_RSRC2:TGID_Z_EN: 1
; COMPUTE_PGM_RSRC2:TIDIG_COMP_CNT: 0
	.section	.text._ZL18rocblas_dot_kernelIiLb1ELi1024ELi32ELb0EDF16_PKDF16_fEviT5_lT_lS2_lS3_liPT6_PT4_,"axG",@progbits,_ZL18rocblas_dot_kernelIiLb1ELi1024ELi32ELb0EDF16_PKDF16_fEviT5_lT_lS2_lS3_liPT6_PT4_,comdat
	.globl	_ZL18rocblas_dot_kernelIiLb1ELi1024ELi32ELb0EDF16_PKDF16_fEviT5_lT_lS2_lS3_liPT6_PT4_ ; -- Begin function _ZL18rocblas_dot_kernelIiLb1ELi1024ELi32ELb0EDF16_PKDF16_fEviT5_lT_lS2_lS3_liPT6_PT4_
	.p2align	8
	.type	_ZL18rocblas_dot_kernelIiLb1ELi1024ELi32ELb0EDF16_PKDF16_fEviT5_lT_lS2_lS3_liPT6_PT4_,@function
_ZL18rocblas_dot_kernelIiLb1ELi1024ELi32ELb0EDF16_PKDF16_fEviT5_lT_lS2_lS3_liPT6_PT4_: ; @_ZL18rocblas_dot_kernelIiLb1ELi1024ELi32ELb0EDF16_PKDF16_fEviT5_lT_lS2_lS3_liPT6_PT4_
; %bb.0:
	s_load_b32 s3, s[0:1], 0x48
	s_bfe_u32 s2, ttmp6, 0x40014
	s_lshr_b32 s4, ttmp7, 16
	s_add_co_i32 s2, s2, 1
	s_bfe_u32 s5, ttmp6, 0x40008
	s_mul_i32 s2, s4, s2
	s_getreg_b32 s6, hwreg(HW_REG_IB_STS2, 6, 4)
	s_add_co_i32 s5, s5, s2
	s_cmp_eq_u32 s6, 0
	s_mov_b32 s17, 0
	s_cselect_b32 s16, s4, s5
	s_wait_kmcnt 0x0
	s_cmp_ge_u32 s16, s3
	s_cbranch_scc1 .LBB139_17
; %bb.1:
	v_mbcnt_lo_u32_b32 v3, -1, 0
	s_clause 0x6
	s_load_b32 s24, s[0:1], 0x18
	s_load_b96 s[12:14], s[0:1], 0x30
	s_load_b96 s[8:10], s[0:1], 0x58
	s_load_b128 s[4:7], s[0:1], 0x20
	s_load_b128 s[20:23], s[0:1], 0x8
	s_load_b32 s26, s[0:1], 0x0
	s_load_b64 s[28:29], s[0:1], 0x40
	v_and_b32_e32 v2, 31, v0
	s_wait_xcnt 0x0
	v_cmp_eq_u32_e64 s1, 0, v0
	v_cmp_gt_u32_e64 s0, 24, v3
	v_lshl_or_b32 v6, v3, 2, 64
	v_cmp_gt_u32_e32 vcc_lo, 32, v0
	v_mov_b32_e32 v12, 0
	s_delay_alu instid0(VALU_DEP_4) | instskip(SKIP_1) | instid1(VALU_DEP_2)
	v_cndmask_b32_e64 v4, 0, 8, s0
	v_cmp_gt_u32_e64 s0, 28, v3
	v_add_lshl_u32 v7, v4, v3, 2
	s_delay_alu instid0(VALU_DEP_2)
	v_cndmask_b32_e64 v5, 0, 4, s0
	v_cmp_gt_u32_e64 s0, 30, v3
	v_lshrrev_b32_e32 v4, 3, v0
	s_wait_kmcnt 0x0
	s_ashr_i32 s25, s24, 31
	s_lshl_b32 s10, s10, 10
	s_ashr_i32 s31, s14, 31
	v_cndmask_b32_e64 v9, 0, 2, s0
	v_cmp_ne_u32_e64 s0, 31, v3
	s_mov_b32 s30, s14
	s_lshl_b64 s[14:15], s[22:23], 1
	s_ashr_i32 s11, s10, 31
	v_lshlrev_b32_e32 v1, 2, v2
	v_add_co_ci_u32_e64 v10, null, 0, v3, s0
	v_add_lshl_u32 v8, v5, v3, 2
	v_add_lshl_u32 v9, v9, v3, 2
	v_cmp_eq_u32_e64 s0, 0, v2
	s_delay_alu instid0(VALU_DEP_4)
	v_lshlrev_b32_e32 v10, 2, v10
	v_and_b32_e32 v11, 0x7c, v4
	s_add_nc_u64 s[14:15], s[20:21], s[14:15]
	s_lshl_b64 s[18:19], s[24:25], 1
	s_mul_u64 s[20:21], s[24:25], s[10:11]
	s_lshl_b64 s[22:23], s[12:13], 1
	s_mul_u64 s[24:25], s[30:31], s[10:11]
	s_lshl_b64 s[4:5], s[4:5], 1
	s_lshl_b64 s[12:13], s[20:21], 1
	s_add_nc_u64 s[6:7], s[6:7], s[22:23]
	s_lshl_b64 s[20:21], s[30:31], 1
	s_lshl_b64 s[22:23], s[28:29], 1
	;; [unrolled: 1-line block ×3, first 2 shown]
	s_branch .LBB139_3
.LBB139_2:                              ;   in Loop: Header=BB139_3 Depth=1
	s_wait_xcnt 0x0
	s_or_b32 exec_lo, exec_lo, s2
	s_add_co_i32 s16, s16, 0x10000
	s_delay_alu instid0(SALU_CYCLE_1)
	s_cmp_lt_u32 s16, s3
	s_cbranch_scc0 .LBB139_17
.LBB139_3:                              ; =>This Loop Header: Depth=1
                                        ;     Child Loop BB139_5 Depth 2
	v_mov_b32_e32 v13, 0
	s_mov_b32 s11, exec_lo
	v_cmpx_gt_i32_e64 s26, v0
	s_cbranch_execz .LBB139_7
; %bb.4:                                ;   in Loop: Header=BB139_3 Depth=1
	s_mul_u64 s[28:29], s[4:5], s[16:17]
	s_mul_u64 s[30:31], s[22:23], s[16:17]
	s_add_nc_u64 s[28:29], s[14:15], s[28:29]
	s_add_nc_u64 s[30:31], s[6:7], s[30:31]
	s_wait_dscnt 0x0
	v_mad_nc_u64_u32 v[2:3], s18, v0, s[28:29]
	v_mad_nc_u64_u32 v[4:5], s20, v0, s[30:31]
	v_ashrrev_i32_e32 v13, 31, v0
	s_mov_b32 s27, 0
	s_mov_b32 s28, 0
	s_delay_alu instid0(VALU_DEP_3) | instskip(NEXT) | instid1(VALU_DEP_3)
	v_mad_u32 v3, s19, v0, v3
	v_mad_u32 v5, s21, v0, v5
	s_delay_alu instid0(VALU_DEP_2) | instskip(NEXT) | instid1(VALU_DEP_2)
	v_mad_u32 v3, s18, v13, v3
	v_mad_u32 v5, s20, v13, v5
	v_mov_b32_e32 v13, 0
.LBB139_5:                              ;   Parent Loop BB139_3 Depth=1
                                        ; =>  This Inner Loop Header: Depth=2
	global_load_u16 v14, v[4:5], off
	global_load_u16 v15, v[2:3], off
	v_add_nc_u32_e32 v0, s10, v0
	s_add_co_i32 s29, s28, 1
	s_cmp_gt_u32 s28, 30
	s_wait_xcnt 0x0
	v_add_nc_u64_e32 v[2:3], s[12:13], v[2:3]
	s_cselect_b32 s28, -1, 0
	v_cmp_le_i32_e64 s2, s26, v0
	v_add_nc_u64_e32 v[4:5], s[24:25], v[4:5]
	s_or_b32 s2, s28, s2
	s_mov_b32 s28, s29
	s_and_b32 s2, exec_lo, s2
	s_delay_alu instid0(SALU_CYCLE_1)
	s_or_b32 s27, s2, s27
	s_wait_loadcnt 0x0
	v_fma_mix_f32 v13, v14, v15, v13 op_sel_hi:[1,1,0]
	s_and_not1_b32 exec_lo, exec_lo, s27
	s_cbranch_execnz .LBB139_5
; %bb.6:                                ;   in Loop: Header=BB139_3 Depth=1
	s_or_b32 exec_lo, exec_lo, s27
.LBB139_7:                              ;   in Loop: Header=BB139_3 Depth=1
	s_delay_alu instid0(SALU_CYCLE_1)
	s_or_b32 exec_lo, exec_lo, s11
	s_and_saveexec_b32 s2, vcc_lo
; %bb.8:                                ;   in Loop: Header=BB139_3 Depth=1
	ds_store_b32 v1, v12
; %bb.9:                                ;   in Loop: Header=BB139_3 Depth=1
	s_or_b32 exec_lo, exec_lo, s2
	s_wait_dscnt 0x0
	ds_bpermute_b32 v2, v6, v13
	s_wait_dscnt 0x0
	s_barrier_signal -1
	s_barrier_wait -1
	v_add_f32_e32 v2, v13, v2
	ds_bpermute_b32 v3, v7, v2
	s_wait_dscnt 0x0
	v_add_f32_e32 v2, v2, v3
	ds_bpermute_b32 v3, v8, v2
	s_wait_dscnt 0x0
	v_add_f32_e32 v2, v2, v3
	ds_bpermute_b32 v3, v9, v2
	s_wait_dscnt 0x0
	v_add_f32_e32 v2, v2, v3
	ds_bpermute_b32 v3, v10, v2
	s_and_saveexec_b32 s2, s0
	s_cbranch_execz .LBB139_11
; %bb.10:                               ;   in Loop: Header=BB139_3 Depth=1
	s_wait_dscnt 0x0
	v_add_f32_e32 v2, v2, v3
	ds_store_b32 v11, v2
.LBB139_11:                             ;   in Loop: Header=BB139_3 Depth=1
	s_or_b32 exec_lo, exec_lo, s2
	v_mov_b32_e32 v2, 0
	s_wait_dscnt 0x0
	s_barrier_signal -1
	s_barrier_wait -1
	s_and_saveexec_b32 s2, vcc_lo
	s_cbranch_execnz .LBB139_14
; %bb.12:                               ;   in Loop: Header=BB139_3 Depth=1
	s_or_b32 exec_lo, exec_lo, s2
	s_and_saveexec_b32 s2, vcc_lo
	s_cbranch_execnz .LBB139_15
.LBB139_13:                             ;   in Loop: Header=BB139_3 Depth=1
	s_or_b32 exec_lo, exec_lo, s2
	s_and_saveexec_b32 s2, s1
	s_cbranch_execz .LBB139_2
	s_branch .LBB139_16
.LBB139_14:                             ;   in Loop: Header=BB139_3 Depth=1
	ds_load_b32 v2, v1
	s_or_b32 exec_lo, exec_lo, s2
	s_and_saveexec_b32 s2, vcc_lo
	s_cbranch_execz .LBB139_13
.LBB139_15:                             ;   in Loop: Header=BB139_3 Depth=1
	s_wait_dscnt 0x0
	ds_bpermute_b32 v3, v6, v2
	s_wait_dscnt 0x0
	v_add_f32_e32 v2, v2, v3
	ds_bpermute_b32 v3, v7, v2
	s_wait_dscnt 0x0
	v_add_f32_e32 v2, v2, v3
	;; [unrolled: 3-line block ×5, first 2 shown]
	s_or_b32 exec_lo, exec_lo, s2
	s_and_saveexec_b32 s2, s1
	s_cbranch_execz .LBB139_2
.LBB139_16:                             ;   in Loop: Header=BB139_3 Depth=1
	s_wait_dscnt 0x0
	v_cvt_f16_f32_e32 v2, v2
	s_lshl_b64 s[28:29], s[16:17], 1
	s_delay_alu instid0(SALU_CYCLE_1)
	s_add_nc_u64 s[28:29], s[8:9], s[28:29]
	global_store_b16 v12, v2, s[28:29]
	s_branch .LBB139_2
.LBB139_17:
	s_endpgm
	.section	.rodata,"a",@progbits
	.p2align	6, 0x0
	.amdhsa_kernel _ZL18rocblas_dot_kernelIiLb1ELi1024ELi32ELb0EDF16_PKDF16_fEviT5_lT_lS2_lS3_liPT6_PT4_
		.amdhsa_group_segment_fixed_size 128
		.amdhsa_private_segment_fixed_size 0
		.amdhsa_kernarg_size 352
		.amdhsa_user_sgpr_count 2
		.amdhsa_user_sgpr_dispatch_ptr 0
		.amdhsa_user_sgpr_queue_ptr 0
		.amdhsa_user_sgpr_kernarg_segment_ptr 1
		.amdhsa_user_sgpr_dispatch_id 0
		.amdhsa_user_sgpr_kernarg_preload_length 0
		.amdhsa_user_sgpr_kernarg_preload_offset 0
		.amdhsa_user_sgpr_private_segment_size 0
		.amdhsa_wavefront_size32 1
		.amdhsa_uses_dynamic_stack 0
		.amdhsa_enable_private_segment 0
		.amdhsa_system_sgpr_workgroup_id_x 1
		.amdhsa_system_sgpr_workgroup_id_y 0
		.amdhsa_system_sgpr_workgroup_id_z 1
		.amdhsa_system_sgpr_workgroup_info 0
		.amdhsa_system_vgpr_workitem_id 0
		.amdhsa_next_free_vgpr 16
		.amdhsa_next_free_sgpr 32
		.amdhsa_named_barrier_count 0
		.amdhsa_reserve_vcc 1
		.amdhsa_float_round_mode_32 0
		.amdhsa_float_round_mode_16_64 0
		.amdhsa_float_denorm_mode_32 3
		.amdhsa_float_denorm_mode_16_64 3
		.amdhsa_fp16_overflow 0
		.amdhsa_memory_ordered 1
		.amdhsa_forward_progress 1
		.amdhsa_inst_pref_size 8
		.amdhsa_round_robin_scheduling 0
		.amdhsa_exception_fp_ieee_invalid_op 0
		.amdhsa_exception_fp_denorm_src 0
		.amdhsa_exception_fp_ieee_div_zero 0
		.amdhsa_exception_fp_ieee_overflow 0
		.amdhsa_exception_fp_ieee_underflow 0
		.amdhsa_exception_fp_ieee_inexact 0
		.amdhsa_exception_int_div_zero 0
	.end_amdhsa_kernel
	.section	.text._ZL18rocblas_dot_kernelIiLb1ELi1024ELi32ELb0EDF16_PKDF16_fEviT5_lT_lS2_lS3_liPT6_PT4_,"axG",@progbits,_ZL18rocblas_dot_kernelIiLb1ELi1024ELi32ELb0EDF16_PKDF16_fEviT5_lT_lS2_lS3_liPT6_PT4_,comdat
.Lfunc_end139:
	.size	_ZL18rocblas_dot_kernelIiLb1ELi1024ELi32ELb0EDF16_PKDF16_fEviT5_lT_lS2_lS3_liPT6_PT4_, .Lfunc_end139-_ZL18rocblas_dot_kernelIiLb1ELi1024ELi32ELb0EDF16_PKDF16_fEviT5_lT_lS2_lS3_liPT6_PT4_
                                        ; -- End function
	.set _ZL18rocblas_dot_kernelIiLb1ELi1024ELi32ELb0EDF16_PKDF16_fEviT5_lT_lS2_lS3_liPT6_PT4_.num_vgpr, 16
	.set _ZL18rocblas_dot_kernelIiLb1ELi1024ELi32ELb0EDF16_PKDF16_fEviT5_lT_lS2_lS3_liPT6_PT4_.num_agpr, 0
	.set _ZL18rocblas_dot_kernelIiLb1ELi1024ELi32ELb0EDF16_PKDF16_fEviT5_lT_lS2_lS3_liPT6_PT4_.numbered_sgpr, 32
	.set _ZL18rocblas_dot_kernelIiLb1ELi1024ELi32ELb0EDF16_PKDF16_fEviT5_lT_lS2_lS3_liPT6_PT4_.num_named_barrier, 0
	.set _ZL18rocblas_dot_kernelIiLb1ELi1024ELi32ELb0EDF16_PKDF16_fEviT5_lT_lS2_lS3_liPT6_PT4_.private_seg_size, 0
	.set _ZL18rocblas_dot_kernelIiLb1ELi1024ELi32ELb0EDF16_PKDF16_fEviT5_lT_lS2_lS3_liPT6_PT4_.uses_vcc, 1
	.set _ZL18rocblas_dot_kernelIiLb1ELi1024ELi32ELb0EDF16_PKDF16_fEviT5_lT_lS2_lS3_liPT6_PT4_.uses_flat_scratch, 0
	.set _ZL18rocblas_dot_kernelIiLb1ELi1024ELi32ELb0EDF16_PKDF16_fEviT5_lT_lS2_lS3_liPT6_PT4_.has_dyn_sized_stack, 0
	.set _ZL18rocblas_dot_kernelIiLb1ELi1024ELi32ELb0EDF16_PKDF16_fEviT5_lT_lS2_lS3_liPT6_PT4_.has_recursion, 0
	.set _ZL18rocblas_dot_kernelIiLb1ELi1024ELi32ELb0EDF16_PKDF16_fEviT5_lT_lS2_lS3_liPT6_PT4_.has_indirect_call, 0
	.section	.AMDGPU.csdata,"",@progbits
; Kernel info:
; codeLenInByte = 960
; TotalNumSgprs: 34
; NumVgprs: 16
; ScratchSize: 0
; MemoryBound: 0
; FloatMode: 240
; IeeeMode: 1
; LDSByteSize: 128 bytes/workgroup (compile time only)
; SGPRBlocks: 0
; VGPRBlocks: 0
; NumSGPRsForWavesPerEU: 34
; NumVGPRsForWavesPerEU: 16
; NamedBarCnt: 0
; Occupancy: 16
; WaveLimiterHint : 0
; COMPUTE_PGM_RSRC2:SCRATCH_EN: 0
; COMPUTE_PGM_RSRC2:USER_SGPR: 2
; COMPUTE_PGM_RSRC2:TRAP_HANDLER: 0
; COMPUTE_PGM_RSRC2:TGID_X_EN: 1
; COMPUTE_PGM_RSRC2:TGID_Y_EN: 0
; COMPUTE_PGM_RSRC2:TGID_Z_EN: 1
; COMPUTE_PGM_RSRC2:TIDIG_COMP_CNT: 0
	.section	.text._ZL24rocblas_dot_kernel_magsqIiLb1ELi1024ELi32ELb0EDF16_PKDF16_fEviT5_lT_liPT6_PT4_,"axG",@progbits,_ZL24rocblas_dot_kernel_magsqIiLb1ELi1024ELi32ELb0EDF16_PKDF16_fEviT5_lT_liPT6_PT4_,comdat
	.globl	_ZL24rocblas_dot_kernel_magsqIiLb1ELi1024ELi32ELb0EDF16_PKDF16_fEviT5_lT_liPT6_PT4_ ; -- Begin function _ZL24rocblas_dot_kernel_magsqIiLb1ELi1024ELi32ELb0EDF16_PKDF16_fEviT5_lT_liPT6_PT4_
	.p2align	8
	.type	_ZL24rocblas_dot_kernel_magsqIiLb1ELi1024ELi32ELb0EDF16_PKDF16_fEviT5_lT_liPT6_PT4_,@function
_ZL24rocblas_dot_kernel_magsqIiLb1ELi1024ELi32ELb0EDF16_PKDF16_fEviT5_lT_liPT6_PT4_: ; @_ZL24rocblas_dot_kernel_magsqIiLb1ELi1024ELi32ELb0EDF16_PKDF16_fEviT5_lT_liPT6_PT4_
; %bb.0:
	s_load_b32 s3, s[0:1], 0x28
	s_bfe_u32 s2, ttmp6, 0x40014
	s_lshr_b32 s4, ttmp7, 16
	s_add_co_i32 s2, s2, 1
	s_bfe_u32 s5, ttmp6, 0x40008
	s_mul_i32 s2, s4, s2
	s_getreg_b32 s6, hwreg(HW_REG_IB_STS2, 6, 4)
	s_add_co_i32 s5, s5, s2
	s_cmp_eq_u32 s6, 0
	s_mov_b32 s9, 0
	s_cselect_b32 s8, s4, s5
	s_wait_kmcnt 0x0
	s_cmp_ge_u32 s8, s3
	s_cbranch_scc1 .LBB140_17
; %bb.1:
	v_mbcnt_lo_u32_b32 v3, -1, 0
	s_clause 0x4
	s_load_b32 s16, s[0:1], 0x18
	s_load_b96 s[4:6], s[0:1], 0x38
	s_load_b128 s[12:15], s[0:1], 0x8
	s_load_b64 s[20:21], s[0:1], 0x20
	s_load_b32 s18, s[0:1], 0x0
	v_dual_lshrrev_b32 v9, 3, v0 :: v_dual_bitop2_b32 v2, 31, v0 bitop3:0x40
	s_wait_xcnt 0x0
	v_cmp_gt_u32_e64 s0, 24, v3
	v_lshl_or_b32 v4, v3, 2, 64
	v_cmp_eq_u32_e64 s1, 0, v0
	v_mov_b32_e32 v10, 0
	v_and_b32_e32 v9, 0x7c, v9
	v_cndmask_b32_e64 v5, 0, 8, s0
	v_cmp_gt_u32_e64 s0, 28, v3
	v_cmp_gt_u32_e32 vcc_lo, 32, v0
	s_delay_alu instid0(VALU_DEP_3) | instskip(NEXT) | instid1(VALU_DEP_3)
	v_add_lshl_u32 v5, v5, v3, 2
	v_cndmask_b32_e64 v6, 0, 4, s0
	v_cmp_gt_u32_e64 s0, 30, v3
	s_wait_kmcnt 0x0
	s_lshl_b64 s[10:11], s[14:15], 1
	s_lshl_b32 s6, s6, 10
	v_cndmask_b32_e64 v7, 0, 2, s0
	v_cmp_ne_u32_e64 s0, 31, v3
	s_ashr_i32 s17, s16, 31
	s_ashr_i32 s7, s6, 31
	v_add_lshl_u32 v6, v6, v3, 2
	v_add_lshl_u32 v7, v7, v3, 2
	v_add_co_ci_u32_e64 v8, null, 0, v3, s0
	v_lshlrev_b32_e32 v1, 2, v2
	v_cmp_eq_u32_e64 s0, 0, v2
	s_add_nc_u64 s[10:11], s[12:13], s[10:11]
	v_lshlrev_b32_e32 v8, 2, v8
	s_lshl_b64 s[12:13], s[16:17], 1
	s_mul_u64 s[16:17], s[16:17], s[6:7]
	s_lshl_b64 s[14:15], s[20:21], 1
	s_lshl_b64 s[16:17], s[16:17], 1
	s_branch .LBB140_3
.LBB140_2:                              ;   in Loop: Header=BB140_3 Depth=1
	s_wait_xcnt 0x0
	s_or_b32 exec_lo, exec_lo, s2
	s_add_co_i32 s8, s8, 0x10000
	s_delay_alu instid0(SALU_CYCLE_1)
	s_cmp_lt_u32 s8, s3
	s_cbranch_scc0 .LBB140_17
.LBB140_3:                              ; =>This Loop Header: Depth=1
                                        ;     Child Loop BB140_5 Depth 2
	v_mov_b32_e32 v11, 0
	s_mov_b32 s7, exec_lo
	v_cmpx_gt_i32_e64 s18, v0
	s_cbranch_execz .LBB140_7
; %bb.4:                                ;   in Loop: Header=BB140_3 Depth=1
	s_mul_u64 s[20:21], s[14:15], s[8:9]
	v_ashrrev_i32_e32 v11, 31, v0
	s_add_nc_u64 s[20:21], s[10:11], s[20:21]
	s_mov_b32 s19, 0
	s_wait_dscnt 0x0
	v_mad_nc_u64_u32 v[2:3], s12, v0, s[20:21]
	s_mov_b32 s20, 0
	s_delay_alu instid0(VALU_DEP_1) | instskip(NEXT) | instid1(VALU_DEP_1)
	v_mad_u32 v3, s13, v0, v3
	v_mad_u32 v3, s12, v11, v3
	v_mov_b32_e32 v11, 0
.LBB140_5:                              ;   Parent Loop BB140_3 Depth=1
                                        ; =>  This Inner Loop Header: Depth=2
	global_load_u16 v12, v[2:3], off
	v_add_nc_u32_e32 v0, s6, v0
	s_add_co_i32 s21, s20, 1
	s_cmp_gt_u32 s20, 30
	s_wait_xcnt 0x0
	v_add_nc_u64_e32 v[2:3], s[16:17], v[2:3]
	s_cselect_b32 s20, -1, 0
	v_cmp_le_i32_e64 s2, s18, v0
	s_or_b32 s2, s20, s2
	s_mov_b32 s20, s21
	s_and_b32 s2, exec_lo, s2
	s_delay_alu instid0(SALU_CYCLE_1)
	s_or_b32 s19, s2, s19
	s_wait_loadcnt 0x0
	v_fma_mix_f32 v11, v12, v12, v11 op_sel_hi:[1,1,0]
	s_and_not1_b32 exec_lo, exec_lo, s19
	s_cbranch_execnz .LBB140_5
; %bb.6:                                ;   in Loop: Header=BB140_3 Depth=1
	s_or_b32 exec_lo, exec_lo, s19
.LBB140_7:                              ;   in Loop: Header=BB140_3 Depth=1
	s_delay_alu instid0(SALU_CYCLE_1)
	s_or_b32 exec_lo, exec_lo, s7
	s_and_saveexec_b32 s2, vcc_lo
; %bb.8:                                ;   in Loop: Header=BB140_3 Depth=1
	ds_store_b32 v1, v10
; %bb.9:                                ;   in Loop: Header=BB140_3 Depth=1
	s_or_b32 exec_lo, exec_lo, s2
	s_wait_dscnt 0x0
	ds_bpermute_b32 v2, v4, v11
	s_wait_dscnt 0x0
	s_barrier_signal -1
	s_barrier_wait -1
	v_add_f32_e32 v2, v11, v2
	ds_bpermute_b32 v3, v5, v2
	s_wait_dscnt 0x0
	v_add_f32_e32 v2, v2, v3
	ds_bpermute_b32 v3, v6, v2
	s_wait_dscnt 0x0
	;; [unrolled: 3-line block ×3, first 2 shown]
	v_add_f32_e32 v2, v2, v3
	ds_bpermute_b32 v3, v8, v2
	s_and_saveexec_b32 s2, s0
	s_cbranch_execz .LBB140_11
; %bb.10:                               ;   in Loop: Header=BB140_3 Depth=1
	s_wait_dscnt 0x0
	v_add_f32_e32 v2, v2, v3
	ds_store_b32 v9, v2
.LBB140_11:                             ;   in Loop: Header=BB140_3 Depth=1
	s_or_b32 exec_lo, exec_lo, s2
	v_mov_b32_e32 v2, 0
	s_wait_dscnt 0x0
	s_barrier_signal -1
	s_barrier_wait -1
	s_and_saveexec_b32 s2, vcc_lo
	s_cbranch_execnz .LBB140_14
; %bb.12:                               ;   in Loop: Header=BB140_3 Depth=1
	s_or_b32 exec_lo, exec_lo, s2
	s_and_saveexec_b32 s2, vcc_lo
	s_cbranch_execnz .LBB140_15
.LBB140_13:                             ;   in Loop: Header=BB140_3 Depth=1
	s_or_b32 exec_lo, exec_lo, s2
	s_and_saveexec_b32 s2, s1
	s_cbranch_execz .LBB140_2
	s_branch .LBB140_16
.LBB140_14:                             ;   in Loop: Header=BB140_3 Depth=1
	ds_load_b32 v2, v1
	s_or_b32 exec_lo, exec_lo, s2
	s_and_saveexec_b32 s2, vcc_lo
	s_cbranch_execz .LBB140_13
.LBB140_15:                             ;   in Loop: Header=BB140_3 Depth=1
	s_wait_dscnt 0x0
	ds_bpermute_b32 v3, v4, v2
	s_wait_dscnt 0x0
	v_add_f32_e32 v2, v2, v3
	ds_bpermute_b32 v3, v5, v2
	s_wait_dscnt 0x0
	v_add_f32_e32 v2, v2, v3
	;; [unrolled: 3-line block ×5, first 2 shown]
	s_or_b32 exec_lo, exec_lo, s2
	s_and_saveexec_b32 s2, s1
	s_cbranch_execz .LBB140_2
.LBB140_16:                             ;   in Loop: Header=BB140_3 Depth=1
	s_wait_dscnt 0x0
	v_cvt_f16_f32_e32 v2, v2
	s_lshl_b64 s[20:21], s[8:9], 1
	s_delay_alu instid0(SALU_CYCLE_1)
	s_add_nc_u64 s[20:21], s[4:5], s[20:21]
	global_store_b16 v10, v2, s[20:21]
	s_branch .LBB140_2
.LBB140_17:
	s_endpgm
	.section	.rodata,"a",@progbits
	.p2align	6, 0x0
	.amdhsa_kernel _ZL24rocblas_dot_kernel_magsqIiLb1ELi1024ELi32ELb0EDF16_PKDF16_fEviT5_lT_liPT6_PT4_
		.amdhsa_group_segment_fixed_size 128
		.amdhsa_private_segment_fixed_size 0
		.amdhsa_kernarg_size 320
		.amdhsa_user_sgpr_count 2
		.amdhsa_user_sgpr_dispatch_ptr 0
		.amdhsa_user_sgpr_queue_ptr 0
		.amdhsa_user_sgpr_kernarg_segment_ptr 1
		.amdhsa_user_sgpr_dispatch_id 0
		.amdhsa_user_sgpr_kernarg_preload_length 0
		.amdhsa_user_sgpr_kernarg_preload_offset 0
		.amdhsa_user_sgpr_private_segment_size 0
		.amdhsa_wavefront_size32 1
		.amdhsa_uses_dynamic_stack 0
		.amdhsa_enable_private_segment 0
		.amdhsa_system_sgpr_workgroup_id_x 1
		.amdhsa_system_sgpr_workgroup_id_y 0
		.amdhsa_system_sgpr_workgroup_id_z 1
		.amdhsa_system_sgpr_workgroup_info 0
		.amdhsa_system_vgpr_workitem_id 0
		.amdhsa_next_free_vgpr 13
		.amdhsa_next_free_sgpr 22
		.amdhsa_named_barrier_count 0
		.amdhsa_reserve_vcc 1
		.amdhsa_float_round_mode_32 0
		.amdhsa_float_round_mode_16_64 0
		.amdhsa_float_denorm_mode_32 3
		.amdhsa_float_denorm_mode_16_64 3
		.amdhsa_fp16_overflow 0
		.amdhsa_memory_ordered 1
		.amdhsa_forward_progress 1
		.amdhsa_inst_pref_size 7
		.amdhsa_round_robin_scheduling 0
		.amdhsa_exception_fp_ieee_invalid_op 0
		.amdhsa_exception_fp_denorm_src 0
		.amdhsa_exception_fp_ieee_div_zero 0
		.amdhsa_exception_fp_ieee_overflow 0
		.amdhsa_exception_fp_ieee_underflow 0
		.amdhsa_exception_fp_ieee_inexact 0
		.amdhsa_exception_int_div_zero 0
	.end_amdhsa_kernel
	.section	.text._ZL24rocblas_dot_kernel_magsqIiLb1ELi1024ELi32ELb0EDF16_PKDF16_fEviT5_lT_liPT6_PT4_,"axG",@progbits,_ZL24rocblas_dot_kernel_magsqIiLb1ELi1024ELi32ELb0EDF16_PKDF16_fEviT5_lT_liPT6_PT4_,comdat
.Lfunc_end140:
	.size	_ZL24rocblas_dot_kernel_magsqIiLb1ELi1024ELi32ELb0EDF16_PKDF16_fEviT5_lT_liPT6_PT4_, .Lfunc_end140-_ZL24rocblas_dot_kernel_magsqIiLb1ELi1024ELi32ELb0EDF16_PKDF16_fEviT5_lT_liPT6_PT4_
                                        ; -- End function
	.set _ZL24rocblas_dot_kernel_magsqIiLb1ELi1024ELi32ELb0EDF16_PKDF16_fEviT5_lT_liPT6_PT4_.num_vgpr, 13
	.set _ZL24rocblas_dot_kernel_magsqIiLb1ELi1024ELi32ELb0EDF16_PKDF16_fEviT5_lT_liPT6_PT4_.num_agpr, 0
	.set _ZL24rocblas_dot_kernel_magsqIiLb1ELi1024ELi32ELb0EDF16_PKDF16_fEviT5_lT_liPT6_PT4_.numbered_sgpr, 22
	.set _ZL24rocblas_dot_kernel_magsqIiLb1ELi1024ELi32ELb0EDF16_PKDF16_fEviT5_lT_liPT6_PT4_.num_named_barrier, 0
	.set _ZL24rocblas_dot_kernel_magsqIiLb1ELi1024ELi32ELb0EDF16_PKDF16_fEviT5_lT_liPT6_PT4_.private_seg_size, 0
	.set _ZL24rocblas_dot_kernel_magsqIiLb1ELi1024ELi32ELb0EDF16_PKDF16_fEviT5_lT_liPT6_PT4_.uses_vcc, 1
	.set _ZL24rocblas_dot_kernel_magsqIiLb1ELi1024ELi32ELb0EDF16_PKDF16_fEviT5_lT_liPT6_PT4_.uses_flat_scratch, 0
	.set _ZL24rocblas_dot_kernel_magsqIiLb1ELi1024ELi32ELb0EDF16_PKDF16_fEviT5_lT_liPT6_PT4_.has_dyn_sized_stack, 0
	.set _ZL24rocblas_dot_kernel_magsqIiLb1ELi1024ELi32ELb0EDF16_PKDF16_fEviT5_lT_liPT6_PT4_.has_recursion, 0
	.set _ZL24rocblas_dot_kernel_magsqIiLb1ELi1024ELi32ELb0EDF16_PKDF16_fEviT5_lT_liPT6_PT4_.has_indirect_call, 0
	.section	.AMDGPU.csdata,"",@progbits
; Kernel info:
; codeLenInByte = 856
; TotalNumSgprs: 24
; NumVgprs: 13
; ScratchSize: 0
; MemoryBound: 0
; FloatMode: 240
; IeeeMode: 1
; LDSByteSize: 128 bytes/workgroup (compile time only)
; SGPRBlocks: 0
; VGPRBlocks: 0
; NumSGPRsForWavesPerEU: 24
; NumVGPRsForWavesPerEU: 13
; NamedBarCnt: 0
; Occupancy: 16
; WaveLimiterHint : 0
; COMPUTE_PGM_RSRC2:SCRATCH_EN: 0
; COMPUTE_PGM_RSRC2:USER_SGPR: 2
; COMPUTE_PGM_RSRC2:TRAP_HANDLER: 0
; COMPUTE_PGM_RSRC2:TGID_X_EN: 1
; COMPUTE_PGM_RSRC2:TGID_Y_EN: 0
; COMPUTE_PGM_RSRC2:TGID_Z_EN: 1
; COMPUTE_PGM_RSRC2:TIDIG_COMP_CNT: 0
	.section	.text._ZL38rocblas_dot_kernel_gfx942_float_doubleIiLi1024EDF16_PKDF16_fEviT2_lT_lS2_lS3_lPT3_PT1_,"axG",@progbits,_ZL38rocblas_dot_kernel_gfx942_float_doubleIiLi1024EDF16_PKDF16_fEviT2_lT_lS2_lS3_lPT3_PT1_,comdat
	.globl	_ZL38rocblas_dot_kernel_gfx942_float_doubleIiLi1024EDF16_PKDF16_fEviT2_lT_lS2_lS3_lPT3_PT1_ ; -- Begin function _ZL38rocblas_dot_kernel_gfx942_float_doubleIiLi1024EDF16_PKDF16_fEviT2_lT_lS2_lS3_lPT3_PT1_
	.p2align	8
	.type	_ZL38rocblas_dot_kernel_gfx942_float_doubleIiLi1024EDF16_PKDF16_fEviT2_lT_lS2_lS3_lPT3_PT1_,@function
_ZL38rocblas_dot_kernel_gfx942_float_doubleIiLi1024EDF16_PKDF16_fEviT2_lT_lS2_lS3_lPT3_PT1_: ; @_ZL38rocblas_dot_kernel_gfx942_float_doubleIiLi1024EDF16_PKDF16_fEviT2_lT_lS2_lS3_lPT3_PT1_
; %bb.0:
	s_endpgm
	.section	.rodata,"a",@progbits
	.p2align	6, 0x0
	.amdhsa_kernel _ZL38rocblas_dot_kernel_gfx942_float_doubleIiLi1024EDF16_PKDF16_fEviT2_lT_lS2_lS3_lPT3_PT1_
		.amdhsa_group_segment_fixed_size 0
		.amdhsa_private_segment_fixed_size 0
		.amdhsa_kernarg_size 88
		.amdhsa_user_sgpr_count 2
		.amdhsa_user_sgpr_dispatch_ptr 0
		.amdhsa_user_sgpr_queue_ptr 0
		.amdhsa_user_sgpr_kernarg_segment_ptr 1
		.amdhsa_user_sgpr_dispatch_id 0
		.amdhsa_user_sgpr_kernarg_preload_length 0
		.amdhsa_user_sgpr_kernarg_preload_offset 0
		.amdhsa_user_sgpr_private_segment_size 0
		.amdhsa_wavefront_size32 1
		.amdhsa_uses_dynamic_stack 0
		.amdhsa_enable_private_segment 0
		.amdhsa_system_sgpr_workgroup_id_x 1
		.amdhsa_system_sgpr_workgroup_id_y 0
		.amdhsa_system_sgpr_workgroup_id_z 0
		.amdhsa_system_sgpr_workgroup_info 0
		.amdhsa_system_vgpr_workitem_id 0
		.amdhsa_next_free_vgpr 1
		.amdhsa_next_free_sgpr 1
		.amdhsa_named_barrier_count 0
		.amdhsa_reserve_vcc 0
		.amdhsa_float_round_mode_32 0
		.amdhsa_float_round_mode_16_64 0
		.amdhsa_float_denorm_mode_32 3
		.amdhsa_float_denorm_mode_16_64 3
		.amdhsa_fp16_overflow 0
		.amdhsa_memory_ordered 1
		.amdhsa_forward_progress 1
		.amdhsa_inst_pref_size 1
		.amdhsa_round_robin_scheduling 0
		.amdhsa_exception_fp_ieee_invalid_op 0
		.amdhsa_exception_fp_denorm_src 0
		.amdhsa_exception_fp_ieee_div_zero 0
		.amdhsa_exception_fp_ieee_overflow 0
		.amdhsa_exception_fp_ieee_underflow 0
		.amdhsa_exception_fp_ieee_inexact 0
		.amdhsa_exception_int_div_zero 0
	.end_amdhsa_kernel
	.section	.text._ZL38rocblas_dot_kernel_gfx942_float_doubleIiLi1024EDF16_PKDF16_fEviT2_lT_lS2_lS3_lPT3_PT1_,"axG",@progbits,_ZL38rocblas_dot_kernel_gfx942_float_doubleIiLi1024EDF16_PKDF16_fEviT2_lT_lS2_lS3_lPT3_PT1_,comdat
.Lfunc_end141:
	.size	_ZL38rocblas_dot_kernel_gfx942_float_doubleIiLi1024EDF16_PKDF16_fEviT2_lT_lS2_lS3_lPT3_PT1_, .Lfunc_end141-_ZL38rocblas_dot_kernel_gfx942_float_doubleIiLi1024EDF16_PKDF16_fEviT2_lT_lS2_lS3_lPT3_PT1_
                                        ; -- End function
	.set _ZL38rocblas_dot_kernel_gfx942_float_doubleIiLi1024EDF16_PKDF16_fEviT2_lT_lS2_lS3_lPT3_PT1_.num_vgpr, 0
	.set _ZL38rocblas_dot_kernel_gfx942_float_doubleIiLi1024EDF16_PKDF16_fEviT2_lT_lS2_lS3_lPT3_PT1_.num_agpr, 0
	.set _ZL38rocblas_dot_kernel_gfx942_float_doubleIiLi1024EDF16_PKDF16_fEviT2_lT_lS2_lS3_lPT3_PT1_.numbered_sgpr, 0
	.set _ZL38rocblas_dot_kernel_gfx942_float_doubleIiLi1024EDF16_PKDF16_fEviT2_lT_lS2_lS3_lPT3_PT1_.num_named_barrier, 0
	.set _ZL38rocblas_dot_kernel_gfx942_float_doubleIiLi1024EDF16_PKDF16_fEviT2_lT_lS2_lS3_lPT3_PT1_.private_seg_size, 0
	.set _ZL38rocblas_dot_kernel_gfx942_float_doubleIiLi1024EDF16_PKDF16_fEviT2_lT_lS2_lS3_lPT3_PT1_.uses_vcc, 0
	.set _ZL38rocblas_dot_kernel_gfx942_float_doubleIiLi1024EDF16_PKDF16_fEviT2_lT_lS2_lS3_lPT3_PT1_.uses_flat_scratch, 0
	.set _ZL38rocblas_dot_kernel_gfx942_float_doubleIiLi1024EDF16_PKDF16_fEviT2_lT_lS2_lS3_lPT3_PT1_.has_dyn_sized_stack, 0
	.set _ZL38rocblas_dot_kernel_gfx942_float_doubleIiLi1024EDF16_PKDF16_fEviT2_lT_lS2_lS3_lPT3_PT1_.has_recursion, 0
	.set _ZL38rocblas_dot_kernel_gfx942_float_doubleIiLi1024EDF16_PKDF16_fEviT2_lT_lS2_lS3_lPT3_PT1_.has_indirect_call, 0
	.section	.AMDGPU.csdata,"",@progbits
; Kernel info:
; codeLenInByte = 4
; TotalNumSgprs: 0
; NumVgprs: 0
; ScratchSize: 0
; MemoryBound: 0
; FloatMode: 240
; IeeeMode: 1
; LDSByteSize: 0 bytes/workgroup (compile time only)
; SGPRBlocks: 0
; VGPRBlocks: 0
; NumSGPRsForWavesPerEU: 1
; NumVGPRsForWavesPerEU: 1
; NamedBarCnt: 0
; Occupancy: 16
; WaveLimiterHint : 0
; COMPUTE_PGM_RSRC2:SCRATCH_EN: 0
; COMPUTE_PGM_RSRC2:USER_SGPR: 2
; COMPUTE_PGM_RSRC2:TRAP_HANDLER: 0
; COMPUTE_PGM_RSRC2:TGID_X_EN: 1
; COMPUTE_PGM_RSRC2:TGID_Y_EN: 0
; COMPUTE_PGM_RSRC2:TGID_Z_EN: 0
; COMPUTE_PGM_RSRC2:TIDIG_COMP_CNT: 0
	.section	.text._ZL30rocblas_reduction_kernel_part2ILi1024ELi4E25rocblas_finalize_identityfDF16_EviPT2_PT3_,"axG",@progbits,_ZL30rocblas_reduction_kernel_part2ILi1024ELi4E25rocblas_finalize_identityfDF16_EviPT2_PT3_,comdat
	.globl	_ZL30rocblas_reduction_kernel_part2ILi1024ELi4E25rocblas_finalize_identityfDF16_EviPT2_PT3_ ; -- Begin function _ZL30rocblas_reduction_kernel_part2ILi1024ELi4E25rocblas_finalize_identityfDF16_EviPT2_PT3_
	.p2align	8
	.type	_ZL30rocblas_reduction_kernel_part2ILi1024ELi4E25rocblas_finalize_identityfDF16_EviPT2_PT3_,@function
_ZL30rocblas_reduction_kernel_part2ILi1024ELi4E25rocblas_finalize_identityfDF16_EviPT2_PT3_: ; @_ZL30rocblas_reduction_kernel_part2ILi1024ELi4E25rocblas_finalize_identityfDF16_EviPT2_PT3_
; %bb.0:
	s_clause 0x1
	s_load_b32 s6, s[0:1], 0x0
	s_load_b64 s[8:9], s[0:1], 0x8
	s_bfe_u32 s2, ttmp6, 0x4000c
	s_and_b32 s3, ttmp6, 15
	s_add_co_i32 s2, s2, 1
	s_getreg_b32 s4, hwreg(HW_REG_IB_STS2, 6, 4)
	s_mul_i32 s2, ttmp9, s2
	v_dual_lshlrev_b32 v1, 2, v0 :: v_dual_mov_b32 v3, 0
	s_add_co_i32 s3, s3, s2
	s_wait_kmcnt 0x0
	s_ashr_i32 s7, s6, 31
	s_cmp_eq_u32 s4, 0
	s_mov_b32 s4, exec_lo
	s_cselect_b32 s2, ttmp9, s3
	s_lshr_b32 s3, s7, 30
	s_delay_alu instid0(SALU_CYCLE_1) | instskip(NEXT) | instid1(SALU_CYCLE_1)
	s_add_co_i32 s3, s6, s3
	s_and_b32 s12, s3, -4
	s_mov_b32 s3, 0
	s_delay_alu instid0(SALU_CYCLE_1)
	s_mul_u64 s[10:11], s[6:7], s[2:3]
	v_cmpx_gt_i32_e64 s12, v1
	s_cbranch_execz .LBB142_4
; %bb.1:
	v_dual_mov_b32 v3, 0 :: v_dual_lshlrev_b32 v2, 4, v0
	s_lshl_b64 s[14:15], s[10:11], 2
	s_mov_b32 s5, s3
	s_add_nc_u64 s[14:15], s[8:9], s[14:15]
	s_delay_alu instid0(VALU_DEP_1) | instid1(SALU_CYCLE_1)
	v_add_nc_u64_e32 v[4:5], s[14:15], v[2:3]
	s_delay_alu instid0(VALU_DEP_1)
	v_add_nc_u64_e32 v[4:5], 8, v[4:5]
.LBB142_2:                              ; =>This Inner Loop Header: Depth=1
	global_load_b128 v[6:9], v[4:5], off offset:-8
	s_wait_xcnt 0x0
	v_add_nc_u64_e32 v[4:5], 0x4000, v[4:5]
	v_add_nc_u32_e32 v1, 0x1000, v1
	s_delay_alu instid0(VALU_DEP_1) | instskip(SKIP_3) | instid1(VALU_DEP_1)
	v_cmp_le_i32_e32 vcc_lo, s12, v1
	s_or_b32 s5, vcc_lo, s5
	s_wait_loadcnt 0x0
	v_add_f32_e32 v2, v3, v6
	v_add_f32_e32 v2, v2, v7
	s_delay_alu instid0(VALU_DEP_1) | instskip(NEXT) | instid1(VALU_DEP_1)
	v_add_f32_e32 v2, v2, v8
	v_add_f32_e32 v3, v2, v9
	s_and_not1_b32 exec_lo, exec_lo, s5
	s_cbranch_execnz .LBB142_2
; %bb.3:
	s_or_b32 exec_lo, exec_lo, s5
.LBB142_4:
	s_delay_alu instid0(SALU_CYCLE_1) | instskip(SKIP_3) | instid1(SALU_CYCLE_1)
	s_or_b32 exec_lo, exec_lo, s4
	s_load_b64 s[4:5], s[0:1], 0x10
	s_wait_xcnt 0x0
	s_sub_co_i32 s0, s6, s12
	v_cmp_gt_u32_e32 vcc_lo, s0, v0
	s_and_saveexec_b32 s0, vcc_lo
	s_cbranch_execz .LBB142_6
; %bb.5:
	v_xad_u32 v1, v0, -1, s6
	s_lshl_b64 s[6:7], s[10:11], 2
	s_delay_alu instid0(SALU_CYCLE_1)
	s_add_nc_u64 s[6:7], s[8:9], s[6:7]
	global_load_b32 v1, v1, s[6:7] scale_offset
	s_wait_loadcnt 0x0
	v_add_f32_e32 v3, v3, v1
.LBB142_6:
	s_or_b32 exec_lo, exec_lo, s0
	v_and_b32_e32 v7, 31, v0
	v_cmp_gt_u32_e32 vcc_lo, 32, v0
	s_delay_alu instid0(VALU_DEP_2)
	v_lshlrev_b32_e32 v1, 2, v7
	s_and_saveexec_b32 s0, vcc_lo
; %bb.7:
	v_mov_b32_e32 v2, 0
	ds_store_b32 v1, v2
; %bb.8:
	s_or_b32 exec_lo, exec_lo, s0
	v_mbcnt_lo_u32_b32 v6, -1, 0
	s_mov_b32 s1, exec_lo
	s_wait_dscnt 0x0
	s_barrier_signal -1
	s_barrier_wait -1
	v_lshl_or_b32 v2, v6, 2, 64
	v_cmp_gt_u32_e64 s0, 24, v6
	ds_bpermute_b32 v5, v2, v3
	v_cndmask_b32_e64 v4, 0, 8, s0
	v_cmp_gt_u32_e64 s0, 28, v6
	s_delay_alu instid0(VALU_DEP_2) | instskip(SKIP_2) | instid1(VALU_DEP_3)
	v_add_lshl_u32 v4, v4, v6, 2
	s_wait_dscnt 0x0
	v_add_f32_e32 v5, v3, v5
	v_cndmask_b32_e64 v3, 0, 4, s0
	v_cmp_gt_u32_e64 s0, 30, v6
	ds_bpermute_b32 v8, v4, v5
	v_add_lshl_u32 v3, v3, v6, 2
	s_wait_dscnt 0x0
	v_add_f32_e32 v8, v5, v8
	v_cndmask_b32_e64 v5, 0, 2, s0
	v_cmp_ne_u32_e64 s0, 31, v6
	ds_bpermute_b32 v9, v3, v8
	v_add_lshl_u32 v5, v5, v6, 2
	v_add_co_ci_u32_e64 v6, null, 0, v6, s0
	s_wait_dscnt 0x0
	s_delay_alu instid0(VALU_DEP_1)
	v_dual_lshlrev_b32 v6, 2, v6 :: v_dual_add_f32 v8, v8, v9
	ds_bpermute_b32 v9, v5, v8
	s_wait_dscnt 0x0
	v_add_f32_e32 v8, v8, v9
	ds_bpermute_b32 v9, v6, v8
	v_cmpx_eq_u32_e32 0, v7
	s_cbranch_execz .LBB142_10
; %bb.9:
	s_wait_dscnt 0x0
	v_dual_add_f32 v8, v8, v9 :: v_dual_lshrrev_b32 v7, 3, v0
	s_delay_alu instid0(VALU_DEP_1)
	v_and_b32_e32 v7, 0x7c, v7
	ds_store_b32 v7, v8
.LBB142_10:
	s_or_b32 exec_lo, exec_lo, s1
	v_mov_b32_e32 v7, 0
	s_wait_dscnt 0x0
	s_barrier_signal -1
	s_barrier_wait -1
	s_and_saveexec_b32 s0, vcc_lo
; %bb.11:
	ds_load_b32 v7, v1
; %bb.12:
	s_or_b32 exec_lo, exec_lo, s0
	s_and_saveexec_b32 s0, vcc_lo
	s_cbranch_execz .LBB142_14
; %bb.13:
	s_wait_dscnt 0x0
	ds_bpermute_b32 v1, v2, v7
	s_wait_dscnt 0x0
	v_add_f32_e32 v1, v7, v1
	ds_bpermute_b32 v2, v4, v1
	s_wait_dscnt 0x0
	v_add_f32_e32 v1, v1, v2
	;; [unrolled: 3-line block ×5, first 2 shown]
.LBB142_14:
	s_or_b32 exec_lo, exec_lo, s0
	s_delay_alu instid0(SALU_CYCLE_1)
	s_mov_b32 s0, exec_lo
	v_cmpx_eq_u32_e32 0, v0
	s_cbranch_execz .LBB142_16
; %bb.15:
	v_mov_b32_e32 v0, 0
	s_wait_dscnt 0x0
	v_cvt_f16_f32_e32 v1, v7
	s_lshl_b64 s[0:1], s[2:3], 1
	s_wait_kmcnt 0x0
	s_add_nc_u64 s[0:1], s[4:5], s[0:1]
	global_store_b16 v0, v1, s[0:1]
.LBB142_16:
	s_endpgm
	.section	.rodata,"a",@progbits
	.p2align	6, 0x0
	.amdhsa_kernel _ZL30rocblas_reduction_kernel_part2ILi1024ELi4E25rocblas_finalize_identityfDF16_EviPT2_PT3_
		.amdhsa_group_segment_fixed_size 128
		.amdhsa_private_segment_fixed_size 0
		.amdhsa_kernarg_size 24
		.amdhsa_user_sgpr_count 2
		.amdhsa_user_sgpr_dispatch_ptr 0
		.amdhsa_user_sgpr_queue_ptr 0
		.amdhsa_user_sgpr_kernarg_segment_ptr 1
		.amdhsa_user_sgpr_dispatch_id 0
		.amdhsa_user_sgpr_kernarg_preload_length 0
		.amdhsa_user_sgpr_kernarg_preload_offset 0
		.amdhsa_user_sgpr_private_segment_size 0
		.amdhsa_wavefront_size32 1
		.amdhsa_uses_dynamic_stack 0
		.amdhsa_enable_private_segment 0
		.amdhsa_system_sgpr_workgroup_id_x 1
		.amdhsa_system_sgpr_workgroup_id_y 0
		.amdhsa_system_sgpr_workgroup_id_z 0
		.amdhsa_system_sgpr_workgroup_info 0
		.amdhsa_system_vgpr_workitem_id 0
		.amdhsa_next_free_vgpr 10
		.amdhsa_next_free_sgpr 16
		.amdhsa_named_barrier_count 0
		.amdhsa_reserve_vcc 1
		.amdhsa_float_round_mode_32 0
		.amdhsa_float_round_mode_16_64 0
		.amdhsa_float_denorm_mode_32 3
		.amdhsa_float_denorm_mode_16_64 3
		.amdhsa_fp16_overflow 0
		.amdhsa_memory_ordered 1
		.amdhsa_forward_progress 1
		.amdhsa_inst_pref_size 7
		.amdhsa_round_robin_scheduling 0
		.amdhsa_exception_fp_ieee_invalid_op 0
		.amdhsa_exception_fp_denorm_src 0
		.amdhsa_exception_fp_ieee_div_zero 0
		.amdhsa_exception_fp_ieee_overflow 0
		.amdhsa_exception_fp_ieee_underflow 0
		.amdhsa_exception_fp_ieee_inexact 0
		.amdhsa_exception_int_div_zero 0
	.end_amdhsa_kernel
	.section	.text._ZL30rocblas_reduction_kernel_part2ILi1024ELi4E25rocblas_finalize_identityfDF16_EviPT2_PT3_,"axG",@progbits,_ZL30rocblas_reduction_kernel_part2ILi1024ELi4E25rocblas_finalize_identityfDF16_EviPT2_PT3_,comdat
.Lfunc_end142:
	.size	_ZL30rocblas_reduction_kernel_part2ILi1024ELi4E25rocblas_finalize_identityfDF16_EviPT2_PT3_, .Lfunc_end142-_ZL30rocblas_reduction_kernel_part2ILi1024ELi4E25rocblas_finalize_identityfDF16_EviPT2_PT3_
                                        ; -- End function
	.set _ZL30rocblas_reduction_kernel_part2ILi1024ELi4E25rocblas_finalize_identityfDF16_EviPT2_PT3_.num_vgpr, 10
	.set _ZL30rocblas_reduction_kernel_part2ILi1024ELi4E25rocblas_finalize_identityfDF16_EviPT2_PT3_.num_agpr, 0
	.set _ZL30rocblas_reduction_kernel_part2ILi1024ELi4E25rocblas_finalize_identityfDF16_EviPT2_PT3_.numbered_sgpr, 16
	.set _ZL30rocblas_reduction_kernel_part2ILi1024ELi4E25rocblas_finalize_identityfDF16_EviPT2_PT3_.num_named_barrier, 0
	.set _ZL30rocblas_reduction_kernel_part2ILi1024ELi4E25rocblas_finalize_identityfDF16_EviPT2_PT3_.private_seg_size, 0
	.set _ZL30rocblas_reduction_kernel_part2ILi1024ELi4E25rocblas_finalize_identityfDF16_EviPT2_PT3_.uses_vcc, 1
	.set _ZL30rocblas_reduction_kernel_part2ILi1024ELi4E25rocblas_finalize_identityfDF16_EviPT2_PT3_.uses_flat_scratch, 0
	.set _ZL30rocblas_reduction_kernel_part2ILi1024ELi4E25rocblas_finalize_identityfDF16_EviPT2_PT3_.has_dyn_sized_stack, 0
	.set _ZL30rocblas_reduction_kernel_part2ILi1024ELi4E25rocblas_finalize_identityfDF16_EviPT2_PT3_.has_recursion, 0
	.set _ZL30rocblas_reduction_kernel_part2ILi1024ELi4E25rocblas_finalize_identityfDF16_EviPT2_PT3_.has_indirect_call, 0
	.section	.AMDGPU.csdata,"",@progbits
; Kernel info:
; codeLenInByte = 788
; TotalNumSgprs: 18
; NumVgprs: 10
; ScratchSize: 0
; MemoryBound: 0
; FloatMode: 240
; IeeeMode: 1
; LDSByteSize: 128 bytes/workgroup (compile time only)
; SGPRBlocks: 0
; VGPRBlocks: 0
; NumSGPRsForWavesPerEU: 18
; NumVGPRsForWavesPerEU: 10
; NamedBarCnt: 0
; Occupancy: 16
; WaveLimiterHint : 0
; COMPUTE_PGM_RSRC2:SCRATCH_EN: 0
; COMPUTE_PGM_RSRC2:USER_SGPR: 2
; COMPUTE_PGM_RSRC2:TRAP_HANDLER: 0
; COMPUTE_PGM_RSRC2:TGID_X_EN: 1
; COMPUTE_PGM_RSRC2:TGID_Y_EN: 0
; COMPUTE_PGM_RSRC2:TGID_Z_EN: 0
; COMPUTE_PGM_RSRC2:TIDIG_COMP_CNT: 0
	.section	.text._ZL23rocblas_dot_kernel_inc1ILb0ELi512ELi8ELb0EDF16_PKDF16_fEviT4_llS2_lliPT5_PT3_,"axG",@progbits,_ZL23rocblas_dot_kernel_inc1ILb0ELi512ELi8ELb0EDF16_PKDF16_fEviT4_llS2_lliPT5_PT3_,comdat
	.globl	_ZL23rocblas_dot_kernel_inc1ILb0ELi512ELi8ELb0EDF16_PKDF16_fEviT4_llS2_lliPT5_PT3_ ; -- Begin function _ZL23rocblas_dot_kernel_inc1ILb0ELi512ELi8ELb0EDF16_PKDF16_fEviT4_llS2_lliPT5_PT3_
	.p2align	8
	.type	_ZL23rocblas_dot_kernel_inc1ILb0ELi512ELi8ELb0EDF16_PKDF16_fEviT4_llS2_lliPT5_PT3_,@function
_ZL23rocblas_dot_kernel_inc1ILb0ELi512ELi8ELb0EDF16_PKDF16_fEviT4_llS2_lliPT5_PT3_: ; @_ZL23rocblas_dot_kernel_inc1ILb0ELi512ELi8ELb0EDF16_PKDF16_fEviT4_llS2_lliPT5_PT3_
; %bb.0:
	s_load_b32 s28, s[0:1], 0x38
	s_bfe_u32 s2, ttmp6, 0x40014
	s_lshr_b32 s3, ttmp7, 16
	s_add_co_i32 s2, s2, 1
	s_bfe_u32 s5, ttmp6, 0x40008
	s_mul_i32 s4, s3, s2
	s_getreg_b32 s2, hwreg(HW_REG_IB_STS2, 6, 4)
	s_add_co_i32 s5, s5, s4
	s_cmp_eq_u32 s2, 0
	s_mov_b32 s17, 0
	s_cselect_b32 s16, s3, s5
	s_wait_kmcnt 0x0
	s_cmp_ge_u32 s16, s28
	s_cbranch_scc1 .LBB143_20
; %bb.1:
	v_mbcnt_lo_u32_b32 v3, -1, 0
	s_clause 0x6
	s_load_b32 s18, s[0:1], 0x50
	s_load_b64 s[22:23], s[0:1], 0x8
	s_load_b32 s29, s[0:1], 0x0
	s_load_b64 s[24:25], s[0:1], 0x20
	s_load_b128 s[8:11], s[0:1], 0x10
	s_load_b128 s[4:7], s[0:1], 0x40
	;; [unrolled: 1-line block ×3, first 2 shown]
	s_wait_xcnt 0x0
	s_bfe_u32 s0, ttmp6, 0x4000c
	s_and_b32 s1, ttmp6, 15
	s_add_co_i32 s3, s0, 1
	v_cmp_gt_u32_e32 vcc_lo, 24, v3
	s_mul_i32 s3, ttmp9, s3
	v_dual_lshrrev_b32 v10, 3, v0 :: v_dual_bitop2_b32 v1, 31, v0 bitop3:0x40
	s_add_co_i32 s1, s1, s3
	v_cndmask_b32_e64 v6, 0, 8, vcc_lo
	v_cmp_gt_u32_e32 vcc_lo, 28, v3
	s_cmp_eq_u32 s2, 0
	s_mov_b32 s27, s17
	s_cselect_b32 s26, ttmp9, s1
	s_wait_kmcnt 0x0
	s_cmp_lg_u32 s18, 1
	v_cndmask_b32_e64 v7, 0, 4, vcc_lo
	v_cmp_gt_u32_e32 vcc_lo, 30, v3
	s_cselect_b32 s30, -1, 0
	s_lshl_b32 s20, s18, 9
	v_cmp_gt_u32_e64 s0, 32, v0
	s_lshl_b64 s[12:13], s[12:13], 1
	v_cndmask_b32_e64 v8, 0, 2, vcc_lo
	v_cmp_ne_u32_e32 vcc_lo, 31, v3
	v_dual_lshlrev_b32 v4, 2, v1 :: v_dual_bitop2_b32 v10, 60, v10 bitop3:0x40
	v_lshl_or_b32 v2, s26, 9, v0
	v_lshl_or_b32 v5, v3, 2, 64
	v_add_co_ci_u32_e64 v9, null, 0, v3, vcc_lo
	v_add_lshl_u32 v6, v6, v3, 2
	v_add_lshl_u32 v7, v7, v3, 2
	;; [unrolled: 1-line block ×3, first 2 shown]
	s_delay_alu instid0(VALU_DEP_4)
	v_dual_lshlrev_b32 v9, 2, v9 :: v_dual_mov_b32 v11, 0
	v_cmp_eq_u32_e64 s1, 0, v1
	v_cmp_gt_u32_e64 s2, 16, v0
	v_cmp_eq_u32_e64 s3, 0, v0
	s_lshl_b64 s[26:27], s[26:27], 2
	s_add_nc_u64 s[12:13], s[24:25], s[12:13]
	s_ashr_i32 s21, s20, 31
	s_lshl_b64 s[24:25], s[8:9], 1
	s_mov_b32 s19, s17
	s_add_nc_u64 s[4:5], s[4:5], s[26:27]
	s_lshl_b64 s[14:15], s[14:15], 1
	s_lshl_b64 s[8:9], s[20:21], 1
	s_add_nc_u64 s[22:23], s[22:23], s[24:25]
	s_lshl_b64 s[10:11], s[10:11], 1
	s_branch .LBB143_3
.LBB143_2:                              ;   in Loop: Header=BB143_3 Depth=1
	s_wait_xcnt 0x0
	s_or_b32 exec_lo, exec_lo, s21
	s_add_co_i32 s16, s16, 0x10000
	s_delay_alu instid0(SALU_CYCLE_1)
	s_cmp_lt_u32 s16, s28
	s_cbranch_scc0 .LBB143_20
.LBB143_3:                              ; =>This Loop Header: Depth=1
                                        ;     Child Loop BB143_5 Depth 2
	v_mov_b32_e32 v3, 0
	s_mov_b32 s21, exec_lo
	v_cmpx_gt_i32_e64 s29, v2
	s_cbranch_execz .LBB143_7
; %bb.4:                                ;   in Loop: Header=BB143_3 Depth=1
	v_ashrrev_i32_e32 v3, 31, v2
	s_mul_u64 s[24:25], s[14:15], s[16:17]
	s_mul_u64 s[26:27], s[10:11], s[16:17]
	s_add_nc_u64 s[24:25], s[12:13], s[24:25]
	s_add_nc_u64 s[26:27], s[22:23], s[26:27]
	s_wait_dscnt 0x0
	v_lshlrev_b64_e32 v[0:1], 1, v[2:3]
	v_mov_b32_e32 v3, 0
	s_mov_b32 s31, 0
	s_mov_b32 s33, 0
.LBB143_5:                              ;   Parent Loop BB143_3 Depth=1
                                        ; =>  This Inner Loop Header: Depth=2
	s_delay_alu instid0(VALU_DEP_2)
	v_add_nc_u64_e32 v[12:13], s[24:25], v[0:1]
	v_add_nc_u64_e32 v[14:15], s[26:27], v[0:1]
	v_add_nc_u32_e32 v2, s20, v2
	s_add_co_i32 s34, s33, 1
	s_cmp_gt_u32 s33, 6
	v_add_nc_u64_e32 v[0:1], s[8:9], v[0:1]
	s_cselect_b32 s33, -1, 0
	global_load_u16 v16, v[12:13], off
	global_load_u16 v17, v[14:15], off
	v_cmp_le_i32_e32 vcc_lo, s29, v2
	s_or_b32 s33, s33, vcc_lo
	s_delay_alu instid0(SALU_CYCLE_1) | instskip(NEXT) | instid1(SALU_CYCLE_1)
	s_and_b32 s33, exec_lo, s33
	s_or_b32 s31, s33, s31
	s_mov_b32 s33, s34
	s_wait_loadcnt 0x0
	v_fma_mix_f32 v3, v16, v17, v3 op_sel_hi:[1,1,0]
	s_wait_xcnt 0x0
	s_and_not1_b32 exec_lo, exec_lo, s31
	s_cbranch_execnz .LBB143_5
; %bb.6:                                ;   in Loop: Header=BB143_3 Depth=1
	s_or_b32 exec_lo, exec_lo, s31
.LBB143_7:                              ;   in Loop: Header=BB143_3 Depth=1
	s_delay_alu instid0(SALU_CYCLE_1)
	s_or_b32 exec_lo, exec_lo, s21
	s_and_saveexec_b32 s21, s0
; %bb.8:                                ;   in Loop: Header=BB143_3 Depth=1
	ds_store_b32 v4, v11
; %bb.9:                                ;   in Loop: Header=BB143_3 Depth=1
	s_or_b32 exec_lo, exec_lo, s21
	s_wait_dscnt 0x0
	ds_bpermute_b32 v0, v5, v3
	s_wait_dscnt 0x0
	s_barrier_signal -1
	s_barrier_wait -1
	v_add_f32_e32 v0, v3, v0
	ds_bpermute_b32 v1, v6, v0
	s_wait_dscnt 0x0
	v_add_f32_e32 v0, v0, v1
	ds_bpermute_b32 v1, v7, v0
	s_wait_dscnt 0x0
	;; [unrolled: 3-line block ×3, first 2 shown]
	v_add_f32_e32 v0, v0, v1
	ds_bpermute_b32 v1, v9, v0
	s_and_saveexec_b32 s21, s1
	s_cbranch_execz .LBB143_11
; %bb.10:                               ;   in Loop: Header=BB143_3 Depth=1
	s_wait_dscnt 0x0
	v_add_f32_e32 v0, v0, v1
	ds_store_b32 v10, v0
.LBB143_11:                             ;   in Loop: Header=BB143_3 Depth=1
	s_or_b32 exec_lo, exec_lo, s21
	v_mov_b32_e32 v0, 0
	s_wait_dscnt 0x0
	s_barrier_signal -1
	s_barrier_wait -1
	s_and_saveexec_b32 s21, s2
	s_cbranch_execnz .LBB143_14
; %bb.12:                               ;   in Loop: Header=BB143_3 Depth=1
	s_or_b32 exec_lo, exec_lo, s21
	s_and_saveexec_b32 s21, s0
	s_cbranch_execnz .LBB143_15
.LBB143_13:                             ;   in Loop: Header=BB143_3 Depth=1
	s_or_b32 exec_lo, exec_lo, s21
	s_and_saveexec_b32 s21, s3
	s_cbranch_execz .LBB143_2
	s_branch .LBB143_16
.LBB143_14:                             ;   in Loop: Header=BB143_3 Depth=1
	ds_load_b32 v0, v4
	s_or_b32 exec_lo, exec_lo, s21
	s_and_saveexec_b32 s21, s0
	s_cbranch_execz .LBB143_13
.LBB143_15:                             ;   in Loop: Header=BB143_3 Depth=1
	s_wait_dscnt 0x0
	ds_bpermute_b32 v1, v6, v0
	s_wait_dscnt 0x0
	v_add_f32_e32 v0, v0, v1
	ds_bpermute_b32 v1, v7, v0
	s_wait_dscnt 0x0
	v_add_f32_e32 v0, v0, v1
	;; [unrolled: 3-line block ×4, first 2 shown]
	s_or_b32 exec_lo, exec_lo, s21
	s_and_saveexec_b32 s21, s3
	s_cbranch_execz .LBB143_2
.LBB143_16:                             ;   in Loop: Header=BB143_3 Depth=1
	s_and_b32 vcc_lo, exec_lo, s30
	s_mov_b32 s24, -1
	s_cbranch_vccz .LBB143_18
; %bb.17:                               ;   in Loop: Header=BB143_3 Depth=1
	s_mul_u64 s[24:25], s[18:19], s[16:17]
	s_delay_alu instid0(SALU_CYCLE_1) | instskip(NEXT) | instid1(SALU_CYCLE_1)
	s_lshl_b64 s[24:25], s[24:25], 2
	s_add_nc_u64 s[26:27], s[4:5], s[24:25]
	s_mov_b32 s24, 0
	s_wait_dscnt 0x0
	global_store_b32 v11, v0, s[26:27]
.LBB143_18:                             ;   in Loop: Header=BB143_3 Depth=1
	s_and_not1_b32 vcc_lo, exec_lo, s24
	s_cbranch_vccnz .LBB143_2
; %bb.19:                               ;   in Loop: Header=BB143_3 Depth=1
	s_wait_dscnt 0x0
	s_wait_xcnt 0x0
	v_cvt_f16_f32_e32 v0, v0
	s_lshl_b64 s[24:25], s[16:17], 1
	s_delay_alu instid0(SALU_CYCLE_1)
	s_add_nc_u64 s[24:25], s[6:7], s[24:25]
	global_store_b16 v11, v0, s[24:25]
	s_branch .LBB143_2
.LBB143_20:
	s_endpgm
	.section	.rodata,"a",@progbits
	.p2align	6, 0x0
	.amdhsa_kernel _ZL23rocblas_dot_kernel_inc1ILb0ELi512ELi8ELb0EDF16_PKDF16_fEviT4_llS2_lliPT5_PT3_
		.amdhsa_group_segment_fixed_size 128
		.amdhsa_private_segment_fixed_size 0
		.amdhsa_kernarg_size 336
		.amdhsa_user_sgpr_count 2
		.amdhsa_user_sgpr_dispatch_ptr 0
		.amdhsa_user_sgpr_queue_ptr 0
		.amdhsa_user_sgpr_kernarg_segment_ptr 1
		.amdhsa_user_sgpr_dispatch_id 0
		.amdhsa_user_sgpr_kernarg_preload_length 0
		.amdhsa_user_sgpr_kernarg_preload_offset 0
		.amdhsa_user_sgpr_private_segment_size 0
		.amdhsa_wavefront_size32 1
		.amdhsa_uses_dynamic_stack 0
		.amdhsa_enable_private_segment 0
		.amdhsa_system_sgpr_workgroup_id_x 1
		.amdhsa_system_sgpr_workgroup_id_y 0
		.amdhsa_system_sgpr_workgroup_id_z 1
		.amdhsa_system_sgpr_workgroup_info 0
		.amdhsa_system_vgpr_workitem_id 0
		.amdhsa_next_free_vgpr 18
		.amdhsa_next_free_sgpr 35
		.amdhsa_named_barrier_count 0
		.amdhsa_reserve_vcc 1
		.amdhsa_float_round_mode_32 0
		.amdhsa_float_round_mode_16_64 0
		.amdhsa_float_denorm_mode_32 3
		.amdhsa_float_denorm_mode_16_64 3
		.amdhsa_fp16_overflow 0
		.amdhsa_memory_ordered 1
		.amdhsa_forward_progress 1
		.amdhsa_inst_pref_size 8
		.amdhsa_round_robin_scheduling 0
		.amdhsa_exception_fp_ieee_invalid_op 0
		.amdhsa_exception_fp_denorm_src 0
		.amdhsa_exception_fp_ieee_div_zero 0
		.amdhsa_exception_fp_ieee_overflow 0
		.amdhsa_exception_fp_ieee_underflow 0
		.amdhsa_exception_fp_ieee_inexact 0
		.amdhsa_exception_int_div_zero 0
	.end_amdhsa_kernel
	.section	.text._ZL23rocblas_dot_kernel_inc1ILb0ELi512ELi8ELb0EDF16_PKDF16_fEviT4_llS2_lliPT5_PT3_,"axG",@progbits,_ZL23rocblas_dot_kernel_inc1ILb0ELi512ELi8ELb0EDF16_PKDF16_fEviT4_llS2_lliPT5_PT3_,comdat
.Lfunc_end143:
	.size	_ZL23rocblas_dot_kernel_inc1ILb0ELi512ELi8ELb0EDF16_PKDF16_fEviT4_llS2_lliPT5_PT3_, .Lfunc_end143-_ZL23rocblas_dot_kernel_inc1ILb0ELi512ELi8ELb0EDF16_PKDF16_fEviT4_llS2_lliPT5_PT3_
                                        ; -- End function
	.set _ZL23rocblas_dot_kernel_inc1ILb0ELi512ELi8ELb0EDF16_PKDF16_fEviT4_llS2_lliPT5_PT3_.num_vgpr, 18
	.set _ZL23rocblas_dot_kernel_inc1ILb0ELi512ELi8ELb0EDF16_PKDF16_fEviT4_llS2_lliPT5_PT3_.num_agpr, 0
	.set _ZL23rocblas_dot_kernel_inc1ILb0ELi512ELi8ELb0EDF16_PKDF16_fEviT4_llS2_lliPT5_PT3_.numbered_sgpr, 35
	.set _ZL23rocblas_dot_kernel_inc1ILb0ELi512ELi8ELb0EDF16_PKDF16_fEviT4_llS2_lliPT5_PT3_.num_named_barrier, 0
	.set _ZL23rocblas_dot_kernel_inc1ILb0ELi512ELi8ELb0EDF16_PKDF16_fEviT4_llS2_lliPT5_PT3_.private_seg_size, 0
	.set _ZL23rocblas_dot_kernel_inc1ILb0ELi512ELi8ELb0EDF16_PKDF16_fEviT4_llS2_lliPT5_PT3_.uses_vcc, 1
	.set _ZL23rocblas_dot_kernel_inc1ILb0ELi512ELi8ELb0EDF16_PKDF16_fEviT4_llS2_lliPT5_PT3_.uses_flat_scratch, 0
	.set _ZL23rocblas_dot_kernel_inc1ILb0ELi512ELi8ELb0EDF16_PKDF16_fEviT4_llS2_lliPT5_PT3_.has_dyn_sized_stack, 0
	.set _ZL23rocblas_dot_kernel_inc1ILb0ELi512ELi8ELb0EDF16_PKDF16_fEviT4_llS2_lliPT5_PT3_.has_recursion, 0
	.set _ZL23rocblas_dot_kernel_inc1ILb0ELi512ELi8ELb0EDF16_PKDF16_fEviT4_llS2_lliPT5_PT3_.has_indirect_call, 0
	.section	.AMDGPU.csdata,"",@progbits
; Kernel info:
; codeLenInByte = 984
; TotalNumSgprs: 37
; NumVgprs: 18
; ScratchSize: 0
; MemoryBound: 0
; FloatMode: 240
; IeeeMode: 1
; LDSByteSize: 128 bytes/workgroup (compile time only)
; SGPRBlocks: 0
; VGPRBlocks: 1
; NumSGPRsForWavesPerEU: 37
; NumVGPRsForWavesPerEU: 18
; NamedBarCnt: 0
; Occupancy: 16
; WaveLimiterHint : 0
; COMPUTE_PGM_RSRC2:SCRATCH_EN: 0
; COMPUTE_PGM_RSRC2:USER_SGPR: 2
; COMPUTE_PGM_RSRC2:TRAP_HANDLER: 0
; COMPUTE_PGM_RSRC2:TGID_X_EN: 1
; COMPUTE_PGM_RSRC2:TGID_Y_EN: 0
; COMPUTE_PGM_RSRC2:TGID_Z_EN: 1
; COMPUTE_PGM_RSRC2:TIDIG_COMP_CNT: 0
	.section	.text._ZL18rocblas_dot_kernelIiLb0ELi512ELi8ELb0EDF16_PKDF16_fEviT5_lT_lS2_lS3_liPT6_PT4_,"axG",@progbits,_ZL18rocblas_dot_kernelIiLb0ELi512ELi8ELb0EDF16_PKDF16_fEviT5_lT_lS2_lS3_liPT6_PT4_,comdat
	.globl	_ZL18rocblas_dot_kernelIiLb0ELi512ELi8ELb0EDF16_PKDF16_fEviT5_lT_lS2_lS3_liPT6_PT4_ ; -- Begin function _ZL18rocblas_dot_kernelIiLb0ELi512ELi8ELb0EDF16_PKDF16_fEviT5_lT_lS2_lS3_liPT6_PT4_
	.p2align	8
	.type	_ZL18rocblas_dot_kernelIiLb0ELi512ELi8ELb0EDF16_PKDF16_fEviT5_lT_lS2_lS3_liPT6_PT4_,@function
_ZL18rocblas_dot_kernelIiLb0ELi512ELi8ELb0EDF16_PKDF16_fEviT5_lT_lS2_lS3_liPT6_PT4_: ; @_ZL18rocblas_dot_kernelIiLb0ELi512ELi8ELb0EDF16_PKDF16_fEviT5_lT_lS2_lS3_liPT6_PT4_
; %bb.0:
	s_load_b32 s30, s[0:1], 0x48
	s_bfe_u32 s2, ttmp6, 0x40014
	s_lshr_b32 s3, ttmp7, 16
	s_add_co_i32 s2, s2, 1
	s_bfe_u32 s5, ttmp6, 0x40008
	s_mul_i32 s4, s3, s2
	s_getreg_b32 s2, hwreg(HW_REG_IB_STS2, 6, 4)
	s_add_co_i32 s5, s5, s4
	s_cmp_eq_u32 s2, 0
	s_mov_b32 s21, 0
	s_cselect_b32 s20, s3, s5
	s_wait_kmcnt 0x0
	s_cmp_ge_u32 s20, s30
	s_cbranch_scc1 .LBB144_20
; %bb.1:
	v_mbcnt_lo_u32_b32 v2, -1, 0
	s_clause 0x7
	s_load_b32 s24, s[0:1], 0x18
	s_load_b96 s[16:18], s[0:1], 0x30
	s_load_b32 s22, s[0:1], 0x60
	s_load_b128 s[8:11], s[0:1], 0x20
	s_load_b128 s[12:15], s[0:1], 0x8
	s_load_b32 s31, s[0:1], 0x0
	s_load_b128 s[4:7], s[0:1], 0x50
	s_load_b64 s[26:27], s[0:1], 0x40
	s_wait_xcnt 0x0
	s_bfe_u32 s0, ttmp6, 0x4000c
	s_and_b32 s1, ttmp6, 15
	s_add_co_i32 s3, s0, 1
	v_cmp_gt_u32_e32 vcc_lo, 24, v2
	s_mul_i32 s3, ttmp9, s3
	v_and_b32_e32 v1, 31, v0
	s_add_co_i32 s1, s1, s3
	s_mov_b32 s35, s21
	v_cndmask_b32_e64 v3, 0, 8, vcc_lo
	v_cmp_gt_u32_e32 vcc_lo, 28, v2
	v_cmp_gt_u32_e64 s0, 32, v0
	v_lshl_or_b32 v6, v2, 2, 64
	s_wait_kmcnt 0x0
	s_ashr_i32 s25, s24, 31
	s_ashr_i32 s29, s18, 31
	v_cndmask_b32_e64 v8, 0, 4, vcc_lo
	v_cmp_gt_u32_e32 vcc_lo, 30, v2
	s_cmp_eq_u32 s2, 0
	s_mov_b32 s28, s18
	s_cselect_b32 s34, ttmp9, s1
	s_cmp_lg_u32 s22, 1
	v_cndmask_b32_e64 v9, 0, 2, vcc_lo
	v_cmp_ne_u32_e32 vcc_lo, 31, v2
	s_cselect_b32 s33, -1, 0
	s_lshl_b32 s18, s22, 9
	v_add_lshl_u32 v7, v3, v2, 2
	v_lshrrev_b32_e32 v3, 3, v0
	v_add_co_ci_u32_e64 v10, null, 0, v2, vcc_lo
	s_lshl_b64 s[14:15], s[14:15], 1
	s_ashr_i32 s19, s18, 31
	v_lshl_or_b32 v4, s34, 9, v0
	s_lshl_b64 s[34:35], s[34:35], 2
	s_add_nc_u64 s[12:13], s[12:13], s[14:15]
	s_lshl_b64 s[14:15], s[24:25], 1
	s_mul_u64 s[24:25], s[24:25], s[18:19]
	v_dual_lshlrev_b32 v5, 2, v1 :: v_dual_lshlrev_b32 v10, 2, v10
	v_add_lshl_u32 v8, v8, v2, 2
	v_add_lshl_u32 v9, v9, v2, 2
	v_cmp_eq_u32_e64 s1, 0, v1
	v_dual_mov_b32 v12, 0 :: v_dual_bitop2_b32 v11, 60, v3 bitop3:0x40
	v_cmp_gt_u32_e64 s2, 16, v0
	v_cmp_eq_u32_e64 s3, 0, v0
	s_add_nc_u64 s[4:5], s[4:5], s[34:35]
	s_lshl_b64 s[34:35], s[16:17], 1
	s_lshl_b64 s[16:17], s[24:25], 1
	;; [unrolled: 1-line block ×3, first 2 shown]
	s_mul_u64 s[28:29], s[28:29], s[18:19]
	s_mov_b32 s23, s21
	s_lshl_b64 s[8:9], s[8:9], 1
	s_add_nc_u64 s[10:11], s[10:11], s[34:35]
	s_lshl_b64 s[26:27], s[26:27], 1
	s_lshl_b64 s[28:29], s[28:29], 1
	s_branch .LBB144_3
.LBB144_2:                              ;   in Loop: Header=BB144_3 Depth=1
	s_wait_xcnt 0x0
	s_or_b32 exec_lo, exec_lo, s19
	s_add_co_i32 s20, s20, 0x10000
	s_delay_alu instid0(SALU_CYCLE_1)
	s_cmp_lt_u32 s20, s30
	s_cbranch_scc0 .LBB144_20
.LBB144_3:                              ; =>This Loop Header: Depth=1
                                        ;     Child Loop BB144_5 Depth 2
	v_mov_b32_e32 v13, 0
	s_mov_b32 s19, exec_lo
	v_cmpx_gt_i32_e64 s31, v4
	s_cbranch_execz .LBB144_7
; %bb.4:                                ;   in Loop: Header=BB144_3 Depth=1
	s_mul_u64 s[34:35], s[8:9], s[20:21]
	s_mul_u64 s[36:37], s[26:27], s[20:21]
	s_add_nc_u64 s[34:35], s[12:13], s[34:35]
	s_add_nc_u64 s[36:37], s[10:11], s[36:37]
	s_wait_dscnt 0x0
	v_mad_nc_u64_u32 v[0:1], s14, v4, s[34:35]
	v_mad_nc_u64_u32 v[2:3], s24, v4, s[36:37]
	v_ashrrev_i32_e32 v13, 31, v4
	s_mov_b32 s34, 0
	s_mov_b32 s35, 0
	s_delay_alu instid0(VALU_DEP_3) | instskip(NEXT) | instid1(VALU_DEP_3)
	v_mad_u32 v1, s15, v4, v1
	v_mad_u32 v3, s25, v4, v3
	s_delay_alu instid0(VALU_DEP_2) | instskip(NEXT) | instid1(VALU_DEP_2)
	v_mad_u32 v1, s14, v13, v1
	v_mad_u32 v3, s24, v13, v3
	v_mov_b32_e32 v13, 0
.LBB144_5:                              ;   Parent Loop BB144_3 Depth=1
                                        ; =>  This Inner Loop Header: Depth=2
	global_load_u16 v14, v[2:3], off
	global_load_u16 v15, v[0:1], off
	v_add_nc_u32_e32 v4, s18, v4
	s_add_co_i32 s36, s35, 1
	s_cmp_gt_u32 s35, 6
	s_wait_xcnt 0x0
	v_add_nc_u64_e32 v[0:1], s[16:17], v[0:1]
	s_cselect_b32 s35, -1, 0
	v_cmp_le_i32_e32 vcc_lo, s31, v4
	v_add_nc_u64_e32 v[2:3], s[28:29], v[2:3]
	s_or_b32 s35, s35, vcc_lo
	s_delay_alu instid0(SALU_CYCLE_1) | instskip(NEXT) | instid1(SALU_CYCLE_1)
	s_and_b32 s35, exec_lo, s35
	s_or_b32 s34, s35, s34
	s_mov_b32 s35, s36
	s_wait_loadcnt 0x0
	v_fma_mix_f32 v13, v14, v15, v13 op_sel_hi:[1,1,0]
	s_and_not1_b32 exec_lo, exec_lo, s34
	s_cbranch_execnz .LBB144_5
; %bb.6:                                ;   in Loop: Header=BB144_3 Depth=1
	s_or_b32 exec_lo, exec_lo, s34
.LBB144_7:                              ;   in Loop: Header=BB144_3 Depth=1
	s_delay_alu instid0(SALU_CYCLE_1)
	s_or_b32 exec_lo, exec_lo, s19
	s_and_saveexec_b32 s19, s0
; %bb.8:                                ;   in Loop: Header=BB144_3 Depth=1
	ds_store_b32 v5, v12
; %bb.9:                                ;   in Loop: Header=BB144_3 Depth=1
	s_or_b32 exec_lo, exec_lo, s19
	s_wait_dscnt 0x0
	ds_bpermute_b32 v0, v6, v13
	s_wait_dscnt 0x0
	s_barrier_signal -1
	s_barrier_wait -1
	v_add_f32_e32 v0, v13, v0
	ds_bpermute_b32 v1, v7, v0
	s_wait_dscnt 0x0
	v_add_f32_e32 v0, v0, v1
	ds_bpermute_b32 v1, v8, v0
	s_wait_dscnt 0x0
	v_add_f32_e32 v0, v0, v1
	ds_bpermute_b32 v1, v9, v0
	s_wait_dscnt 0x0
	v_add_f32_e32 v0, v0, v1
	ds_bpermute_b32 v1, v10, v0
	s_and_saveexec_b32 s19, s1
	s_cbranch_execz .LBB144_11
; %bb.10:                               ;   in Loop: Header=BB144_3 Depth=1
	s_wait_dscnt 0x0
	v_add_f32_e32 v0, v0, v1
	ds_store_b32 v11, v0
.LBB144_11:                             ;   in Loop: Header=BB144_3 Depth=1
	s_or_b32 exec_lo, exec_lo, s19
	v_mov_b32_e32 v0, 0
	s_wait_dscnt 0x0
	s_barrier_signal -1
	s_barrier_wait -1
	s_and_saveexec_b32 s19, s2
	s_cbranch_execnz .LBB144_14
; %bb.12:                               ;   in Loop: Header=BB144_3 Depth=1
	s_or_b32 exec_lo, exec_lo, s19
	s_and_saveexec_b32 s19, s0
	s_cbranch_execnz .LBB144_15
.LBB144_13:                             ;   in Loop: Header=BB144_3 Depth=1
	s_or_b32 exec_lo, exec_lo, s19
	s_and_saveexec_b32 s19, s3
	s_cbranch_execz .LBB144_2
	s_branch .LBB144_16
.LBB144_14:                             ;   in Loop: Header=BB144_3 Depth=1
	ds_load_b32 v0, v5
	s_or_b32 exec_lo, exec_lo, s19
	s_and_saveexec_b32 s19, s0
	s_cbranch_execz .LBB144_13
.LBB144_15:                             ;   in Loop: Header=BB144_3 Depth=1
	s_wait_dscnt 0x0
	ds_bpermute_b32 v1, v7, v0
	s_wait_dscnt 0x0
	v_add_f32_e32 v0, v0, v1
	ds_bpermute_b32 v1, v8, v0
	s_wait_dscnt 0x0
	v_add_f32_e32 v0, v0, v1
	;; [unrolled: 3-line block ×4, first 2 shown]
	s_or_b32 exec_lo, exec_lo, s19
	s_and_saveexec_b32 s19, s3
	s_cbranch_execz .LBB144_2
.LBB144_16:                             ;   in Loop: Header=BB144_3 Depth=1
	s_and_b32 vcc_lo, exec_lo, s33
	s_mov_b32 s34, -1
	s_cbranch_vccz .LBB144_18
; %bb.17:                               ;   in Loop: Header=BB144_3 Depth=1
	s_mul_u64 s[34:35], s[22:23], s[20:21]
	s_delay_alu instid0(SALU_CYCLE_1) | instskip(NEXT) | instid1(SALU_CYCLE_1)
	s_lshl_b64 s[34:35], s[34:35], 2
	s_add_nc_u64 s[36:37], s[4:5], s[34:35]
	s_mov_b32 s34, 0
	s_wait_dscnt 0x0
	global_store_b32 v12, v0, s[36:37]
.LBB144_18:                             ;   in Loop: Header=BB144_3 Depth=1
	s_and_not1_b32 vcc_lo, exec_lo, s34
	s_cbranch_vccnz .LBB144_2
; %bb.19:                               ;   in Loop: Header=BB144_3 Depth=1
	s_wait_dscnt 0x0
	s_wait_xcnt 0x0
	v_cvt_f16_f32_e32 v0, v0
	s_lshl_b64 s[34:35], s[20:21], 1
	s_delay_alu instid0(SALU_CYCLE_1)
	s_add_nc_u64 s[34:35], s[6:7], s[34:35]
	global_store_b16 v12, v0, s[34:35]
	s_branch .LBB144_2
.LBB144_20:
	s_endpgm
	.section	.rodata,"a",@progbits
	.p2align	6, 0x0
	.amdhsa_kernel _ZL18rocblas_dot_kernelIiLb0ELi512ELi8ELb0EDF16_PKDF16_fEviT5_lT_lS2_lS3_liPT6_PT4_
		.amdhsa_group_segment_fixed_size 128
		.amdhsa_private_segment_fixed_size 0
		.amdhsa_kernarg_size 352
		.amdhsa_user_sgpr_count 2
		.amdhsa_user_sgpr_dispatch_ptr 0
		.amdhsa_user_sgpr_queue_ptr 0
		.amdhsa_user_sgpr_kernarg_segment_ptr 1
		.amdhsa_user_sgpr_dispatch_id 0
		.amdhsa_user_sgpr_kernarg_preload_length 0
		.amdhsa_user_sgpr_kernarg_preload_offset 0
		.amdhsa_user_sgpr_private_segment_size 0
		.amdhsa_wavefront_size32 1
		.amdhsa_uses_dynamic_stack 0
		.amdhsa_enable_private_segment 0
		.amdhsa_system_sgpr_workgroup_id_x 1
		.amdhsa_system_sgpr_workgroup_id_y 0
		.amdhsa_system_sgpr_workgroup_id_z 1
		.amdhsa_system_sgpr_workgroup_info 0
		.amdhsa_system_vgpr_workitem_id 0
		.amdhsa_next_free_vgpr 16
		.amdhsa_next_free_sgpr 38
		.amdhsa_named_barrier_count 0
		.amdhsa_reserve_vcc 1
		.amdhsa_float_round_mode_32 0
		.amdhsa_float_round_mode_16_64 0
		.amdhsa_float_denorm_mode_32 3
		.amdhsa_float_denorm_mode_16_64 3
		.amdhsa_fp16_overflow 0
		.amdhsa_memory_ordered 1
		.amdhsa_forward_progress 1
		.amdhsa_inst_pref_size 9
		.amdhsa_round_robin_scheduling 0
		.amdhsa_exception_fp_ieee_invalid_op 0
		.amdhsa_exception_fp_denorm_src 0
		.amdhsa_exception_fp_ieee_div_zero 0
		.amdhsa_exception_fp_ieee_overflow 0
		.amdhsa_exception_fp_ieee_underflow 0
		.amdhsa_exception_fp_ieee_inexact 0
		.amdhsa_exception_int_div_zero 0
	.end_amdhsa_kernel
	.section	.text._ZL18rocblas_dot_kernelIiLb0ELi512ELi8ELb0EDF16_PKDF16_fEviT5_lT_lS2_lS3_liPT6_PT4_,"axG",@progbits,_ZL18rocblas_dot_kernelIiLb0ELi512ELi8ELb0EDF16_PKDF16_fEviT5_lT_lS2_lS3_liPT6_PT4_,comdat
.Lfunc_end144:
	.size	_ZL18rocblas_dot_kernelIiLb0ELi512ELi8ELb0EDF16_PKDF16_fEviT5_lT_lS2_lS3_liPT6_PT4_, .Lfunc_end144-_ZL18rocblas_dot_kernelIiLb0ELi512ELi8ELb0EDF16_PKDF16_fEviT5_lT_lS2_lS3_liPT6_PT4_
                                        ; -- End function
	.set _ZL18rocblas_dot_kernelIiLb0ELi512ELi8ELb0EDF16_PKDF16_fEviT5_lT_lS2_lS3_liPT6_PT4_.num_vgpr, 16
	.set _ZL18rocblas_dot_kernelIiLb0ELi512ELi8ELb0EDF16_PKDF16_fEviT5_lT_lS2_lS3_liPT6_PT4_.num_agpr, 0
	.set _ZL18rocblas_dot_kernelIiLb0ELi512ELi8ELb0EDF16_PKDF16_fEviT5_lT_lS2_lS3_liPT6_PT4_.numbered_sgpr, 38
	.set _ZL18rocblas_dot_kernelIiLb0ELi512ELi8ELb0EDF16_PKDF16_fEviT5_lT_lS2_lS3_liPT6_PT4_.num_named_barrier, 0
	.set _ZL18rocblas_dot_kernelIiLb0ELi512ELi8ELb0EDF16_PKDF16_fEviT5_lT_lS2_lS3_liPT6_PT4_.private_seg_size, 0
	.set _ZL18rocblas_dot_kernelIiLb0ELi512ELi8ELb0EDF16_PKDF16_fEviT5_lT_lS2_lS3_liPT6_PT4_.uses_vcc, 1
	.set _ZL18rocblas_dot_kernelIiLb0ELi512ELi8ELb0EDF16_PKDF16_fEviT5_lT_lS2_lS3_liPT6_PT4_.uses_flat_scratch, 0
	.set _ZL18rocblas_dot_kernelIiLb0ELi512ELi8ELb0EDF16_PKDF16_fEviT5_lT_lS2_lS3_liPT6_PT4_.has_dyn_sized_stack, 0
	.set _ZL18rocblas_dot_kernelIiLb0ELi512ELi8ELb0EDF16_PKDF16_fEviT5_lT_lS2_lS3_liPT6_PT4_.has_recursion, 0
	.set _ZL18rocblas_dot_kernelIiLb0ELi512ELi8ELb0EDF16_PKDF16_fEviT5_lT_lS2_lS3_liPT6_PT4_.has_indirect_call, 0
	.section	.AMDGPU.csdata,"",@progbits
; Kernel info:
; codeLenInByte = 1060
; TotalNumSgprs: 40
; NumVgprs: 16
; ScratchSize: 0
; MemoryBound: 0
; FloatMode: 240
; IeeeMode: 1
; LDSByteSize: 128 bytes/workgroup (compile time only)
; SGPRBlocks: 0
; VGPRBlocks: 0
; NumSGPRsForWavesPerEU: 40
; NumVGPRsForWavesPerEU: 16
; NamedBarCnt: 0
; Occupancy: 16
; WaveLimiterHint : 0
; COMPUTE_PGM_RSRC2:SCRATCH_EN: 0
; COMPUTE_PGM_RSRC2:USER_SGPR: 2
; COMPUTE_PGM_RSRC2:TRAP_HANDLER: 0
; COMPUTE_PGM_RSRC2:TGID_X_EN: 1
; COMPUTE_PGM_RSRC2:TGID_Y_EN: 0
; COMPUTE_PGM_RSRC2:TGID_Z_EN: 1
; COMPUTE_PGM_RSRC2:TIDIG_COMP_CNT: 0
	.section	.text._ZL24rocblas_dot_kernel_magsqIiLb0ELi512ELi8ELb0EDF16_PKDF16_fEviT5_lT_liPT6_PT4_,"axG",@progbits,_ZL24rocblas_dot_kernel_magsqIiLb0ELi512ELi8ELb0EDF16_PKDF16_fEviT5_lT_liPT6_PT4_,comdat
	.globl	_ZL24rocblas_dot_kernel_magsqIiLb0ELi512ELi8ELb0EDF16_PKDF16_fEviT5_lT_liPT6_PT4_ ; -- Begin function _ZL24rocblas_dot_kernel_magsqIiLb0ELi512ELi8ELb0EDF16_PKDF16_fEviT5_lT_liPT6_PT4_
	.p2align	8
	.type	_ZL24rocblas_dot_kernel_magsqIiLb0ELi512ELi8ELb0EDF16_PKDF16_fEviT5_lT_liPT6_PT4_,@function
_ZL24rocblas_dot_kernel_magsqIiLb0ELi512ELi8ELb0EDF16_PKDF16_fEviT5_lT_liPT6_PT4_: ; @_ZL24rocblas_dot_kernel_magsqIiLb0ELi512ELi8ELb0EDF16_PKDF16_fEviT5_lT_liPT6_PT4_
; %bb.0:
	s_load_b32 s22, s[0:1], 0x28
	s_bfe_u32 s2, ttmp6, 0x40014
	s_lshr_b32 s3, ttmp7, 16
	s_add_co_i32 s2, s2, 1
	s_bfe_u32 s5, ttmp6, 0x40008
	s_mul_i32 s4, s3, s2
	s_getreg_b32 s2, hwreg(HW_REG_IB_STS2, 6, 4)
	s_add_co_i32 s5, s5, s4
	s_cmp_eq_u32 s2, 0
	s_mov_b32 s13, 0
	s_cselect_b32 s12, s3, s5
	s_wait_kmcnt 0x0
	s_cmp_ge_u32 s12, s22
	s_cbranch_scc1 .LBB145_20
; %bb.1:
	v_mbcnt_lo_u32_b32 v7, -1, 0
	s_clause 0x5
	s_load_b32 s18, s[0:1], 0x18
	s_load_b128 s[4:7], s[0:1], 0x30
	s_load_b32 s14, s[0:1], 0x40
	s_load_b128 s[8:11], s[0:1], 0x8
	s_load_b64 s[20:21], s[0:1], 0x20
	s_load_b32 s23, s[0:1], 0x0
	s_wait_xcnt 0x0
	s_bfe_u32 s0, ttmp6, 0x4000c
	s_and_b32 s1, ttmp6, 15
	s_add_co_i32 s3, s0, 1
	v_cmp_gt_u32_e32 vcc_lo, 24, v7
	s_mul_i32 s3, ttmp9, s3
	v_dual_lshrrev_b32 v10, 3, v0 :: v_dual_bitop2_b32 v1, 31, v0 bitop3:0x40
	s_add_co_i32 s1, s1, s3
	v_cndmask_b32_e64 v5, 0, 8, vcc_lo
	v_cmp_gt_u32_e32 vcc_lo, 28, v7
	s_mov_b32 s27, s13
	v_cmp_gt_u32_e64 s0, 32, v0
	v_lshlrev_b32_e32 v2, 2, v1
	v_lshl_or_b32 v3, v7, 2, 64
	v_cndmask_b32_e64 v6, 0, 4, vcc_lo
	v_cmp_gt_u32_e32 vcc_lo, 30, v7
	s_wait_kmcnt 0x0
	s_ashr_i32 s19, s18, 31
	s_cmp_eq_u32 s2, 0
	v_add_lshl_u32 v5, v5, v7, 2
	s_cselect_b32 s26, ttmp9, s1
	v_cndmask_b32_e64 v8, 0, 2, vcc_lo
	v_cmp_ne_u32_e32 vcc_lo, 31, v7
	s_cmp_lg_u32 s14, 1
	v_lshl_or_b32 v4, s26, 9, v0
	s_cselect_b32 s24, -1, 0
	s_lshl_b32 s16, s14, 9
	v_add_co_ci_u32_e64 v9, null, 0, v7, vcc_lo
	s_lshl_b64 s[26:27], s[26:27], 2
	s_ashr_i32 s17, s16, 31
	v_add_lshl_u32 v6, v6, v7, 2
	v_add_lshl_u32 v7, v8, v7, 2
	v_lshlrev_b32_e32 v8, 2, v9
	v_cmp_eq_u32_e64 s1, 0, v1
	v_and_b32_e32 v9, 60, v10
	v_cmp_gt_u32_e64 s2, 16, v0
	v_cmp_eq_u32_e64 s3, 0, v0
	v_mov_b32_e32 v10, 0
	s_lshl_b64 s[10:11], s[10:11], 1
	s_add_nc_u64 s[4:5], s[4:5], s[26:27]
	s_mul_u64 s[26:27], s[18:19], s[16:17]
	s_mov_b32 s15, s13
	s_add_nc_u64 s[8:9], s[8:9], s[10:11]
	s_lshl_b64 s[10:11], s[18:19], 1
	s_lshl_b64 s[18:19], s[20:21], 1
	;; [unrolled: 1-line block ×3, first 2 shown]
	s_branch .LBB145_3
.LBB145_2:                              ;   in Loop: Header=BB145_3 Depth=1
	s_wait_xcnt 0x0
	s_or_b32 exec_lo, exec_lo, s17
	s_add_co_i32 s12, s12, 0x10000
	s_delay_alu instid0(SALU_CYCLE_1)
	s_cmp_lt_u32 s12, s22
	s_cbranch_scc0 .LBB145_20
.LBB145_3:                              ; =>This Loop Header: Depth=1
                                        ;     Child Loop BB145_5 Depth 2
	v_mov_b32_e32 v11, 0
	s_mov_b32 s17, exec_lo
	v_cmpx_gt_i32_e64 s23, v4
	s_cbranch_execz .LBB145_7
; %bb.4:                                ;   in Loop: Header=BB145_3 Depth=1
	s_mul_u64 s[26:27], s[18:19], s[12:13]
	v_ashrrev_i32_e32 v11, 31, v4
	s_add_nc_u64 s[26:27], s[8:9], s[26:27]
	s_mov_b32 s25, 0
	s_wait_dscnt 0x0
	v_mad_nc_u64_u32 v[0:1], s10, v4, s[26:27]
	s_mov_b32 s26, 0
	s_delay_alu instid0(VALU_DEP_1) | instskip(NEXT) | instid1(VALU_DEP_1)
	v_mad_u32 v1, s11, v4, v1
	v_mad_u32 v1, s10, v11, v1
	v_mov_b32_e32 v11, 0
.LBB145_5:                              ;   Parent Loop BB145_3 Depth=1
                                        ; =>  This Inner Loop Header: Depth=2
	global_load_u16 v12, v[0:1], off
	v_add_nc_u32_e32 v4, s16, v4
	s_add_co_i32 s27, s26, 1
	s_cmp_gt_u32 s26, 6
	s_wait_xcnt 0x0
	v_add_nc_u64_e32 v[0:1], s[20:21], v[0:1]
	s_cselect_b32 s26, -1, 0
	v_cmp_le_i32_e32 vcc_lo, s23, v4
	s_or_b32 s26, s26, vcc_lo
	s_delay_alu instid0(SALU_CYCLE_1) | instskip(NEXT) | instid1(SALU_CYCLE_1)
	s_and_b32 s26, exec_lo, s26
	s_or_b32 s25, s26, s25
	s_mov_b32 s26, s27
	s_wait_loadcnt 0x0
	v_fma_mix_f32 v11, v12, v12, v11 op_sel_hi:[1,1,0]
	s_and_not1_b32 exec_lo, exec_lo, s25
	s_cbranch_execnz .LBB145_5
; %bb.6:                                ;   in Loop: Header=BB145_3 Depth=1
	s_or_b32 exec_lo, exec_lo, s25
.LBB145_7:                              ;   in Loop: Header=BB145_3 Depth=1
	s_delay_alu instid0(SALU_CYCLE_1)
	s_or_b32 exec_lo, exec_lo, s17
	s_and_saveexec_b32 s17, s0
; %bb.8:                                ;   in Loop: Header=BB145_3 Depth=1
	ds_store_b32 v2, v10
; %bb.9:                                ;   in Loop: Header=BB145_3 Depth=1
	s_or_b32 exec_lo, exec_lo, s17
	s_wait_dscnt 0x0
	ds_bpermute_b32 v0, v3, v11
	s_wait_dscnt 0x0
	s_barrier_signal -1
	s_barrier_wait -1
	v_add_f32_e32 v0, v11, v0
	ds_bpermute_b32 v1, v5, v0
	s_wait_dscnt 0x0
	v_add_f32_e32 v0, v0, v1
	ds_bpermute_b32 v1, v6, v0
	s_wait_dscnt 0x0
	;; [unrolled: 3-line block ×3, first 2 shown]
	v_add_f32_e32 v0, v0, v1
	ds_bpermute_b32 v1, v8, v0
	s_and_saveexec_b32 s17, s1
	s_cbranch_execz .LBB145_11
; %bb.10:                               ;   in Loop: Header=BB145_3 Depth=1
	s_wait_dscnt 0x0
	v_add_f32_e32 v0, v0, v1
	ds_store_b32 v9, v0
.LBB145_11:                             ;   in Loop: Header=BB145_3 Depth=1
	s_or_b32 exec_lo, exec_lo, s17
	v_mov_b32_e32 v0, 0
	s_wait_dscnt 0x0
	s_barrier_signal -1
	s_barrier_wait -1
	s_and_saveexec_b32 s17, s2
	s_cbranch_execnz .LBB145_14
; %bb.12:                               ;   in Loop: Header=BB145_3 Depth=1
	s_or_b32 exec_lo, exec_lo, s17
	s_and_saveexec_b32 s17, s0
	s_cbranch_execnz .LBB145_15
.LBB145_13:                             ;   in Loop: Header=BB145_3 Depth=1
	s_or_b32 exec_lo, exec_lo, s17
	s_and_saveexec_b32 s17, s3
	s_cbranch_execz .LBB145_2
	s_branch .LBB145_16
.LBB145_14:                             ;   in Loop: Header=BB145_3 Depth=1
	ds_load_b32 v0, v2
	s_or_b32 exec_lo, exec_lo, s17
	s_and_saveexec_b32 s17, s0
	s_cbranch_execz .LBB145_13
.LBB145_15:                             ;   in Loop: Header=BB145_3 Depth=1
	s_wait_dscnt 0x0
	ds_bpermute_b32 v1, v5, v0
	s_wait_dscnt 0x0
	v_add_f32_e32 v0, v0, v1
	ds_bpermute_b32 v1, v6, v0
	s_wait_dscnt 0x0
	v_add_f32_e32 v0, v0, v1
	;; [unrolled: 3-line block ×4, first 2 shown]
	s_or_b32 exec_lo, exec_lo, s17
	s_and_saveexec_b32 s17, s3
	s_cbranch_execz .LBB145_2
.LBB145_16:                             ;   in Loop: Header=BB145_3 Depth=1
	s_and_b32 vcc_lo, exec_lo, s24
	s_mov_b32 s25, -1
	s_cbranch_vccz .LBB145_18
; %bb.17:                               ;   in Loop: Header=BB145_3 Depth=1
	s_mul_u64 s[26:27], s[14:15], s[12:13]
	s_mov_b32 s25, 0
	s_lshl_b64 s[26:27], s[26:27], 2
	s_delay_alu instid0(SALU_CYCLE_1)
	s_add_nc_u64 s[26:27], s[4:5], s[26:27]
	s_wait_dscnt 0x0
	global_store_b32 v10, v0, s[26:27]
.LBB145_18:                             ;   in Loop: Header=BB145_3 Depth=1
	s_and_not1_b32 vcc_lo, exec_lo, s25
	s_cbranch_vccnz .LBB145_2
; %bb.19:                               ;   in Loop: Header=BB145_3 Depth=1
	s_wait_dscnt 0x0
	s_wait_xcnt 0x0
	v_cvt_f16_f32_e32 v0, v0
	s_lshl_b64 s[26:27], s[12:13], 1
	s_delay_alu instid0(SALU_CYCLE_1)
	s_add_nc_u64 s[26:27], s[6:7], s[26:27]
	global_store_b16 v10, v0, s[26:27]
	s_branch .LBB145_2
.LBB145_20:
	s_endpgm
	.section	.rodata,"a",@progbits
	.p2align	6, 0x0
	.amdhsa_kernel _ZL24rocblas_dot_kernel_magsqIiLb0ELi512ELi8ELb0EDF16_PKDF16_fEviT5_lT_liPT6_PT4_
		.amdhsa_group_segment_fixed_size 128
		.amdhsa_private_segment_fixed_size 0
		.amdhsa_kernarg_size 320
		.amdhsa_user_sgpr_count 2
		.amdhsa_user_sgpr_dispatch_ptr 0
		.amdhsa_user_sgpr_queue_ptr 0
		.amdhsa_user_sgpr_kernarg_segment_ptr 1
		.amdhsa_user_sgpr_dispatch_id 0
		.amdhsa_user_sgpr_kernarg_preload_length 0
		.amdhsa_user_sgpr_kernarg_preload_offset 0
		.amdhsa_user_sgpr_private_segment_size 0
		.amdhsa_wavefront_size32 1
		.amdhsa_uses_dynamic_stack 0
		.amdhsa_enable_private_segment 0
		.amdhsa_system_sgpr_workgroup_id_x 1
		.amdhsa_system_sgpr_workgroup_id_y 0
		.amdhsa_system_sgpr_workgroup_id_z 1
		.amdhsa_system_sgpr_workgroup_info 0
		.amdhsa_system_vgpr_workitem_id 0
		.amdhsa_next_free_vgpr 13
		.amdhsa_next_free_sgpr 28
		.amdhsa_named_barrier_count 0
		.amdhsa_reserve_vcc 1
		.amdhsa_float_round_mode_32 0
		.amdhsa_float_round_mode_16_64 0
		.amdhsa_float_denorm_mode_32 3
		.amdhsa_float_denorm_mode_16_64 3
		.amdhsa_fp16_overflow 0
		.amdhsa_memory_ordered 1
		.amdhsa_forward_progress 1
		.amdhsa_inst_pref_size 8
		.amdhsa_round_robin_scheduling 0
		.amdhsa_exception_fp_ieee_invalid_op 0
		.amdhsa_exception_fp_denorm_src 0
		.amdhsa_exception_fp_ieee_div_zero 0
		.amdhsa_exception_fp_ieee_overflow 0
		.amdhsa_exception_fp_ieee_underflow 0
		.amdhsa_exception_fp_ieee_inexact 0
		.amdhsa_exception_int_div_zero 0
	.end_amdhsa_kernel
	.section	.text._ZL24rocblas_dot_kernel_magsqIiLb0ELi512ELi8ELb0EDF16_PKDF16_fEviT5_lT_liPT6_PT4_,"axG",@progbits,_ZL24rocblas_dot_kernel_magsqIiLb0ELi512ELi8ELb0EDF16_PKDF16_fEviT5_lT_liPT6_PT4_,comdat
.Lfunc_end145:
	.size	_ZL24rocblas_dot_kernel_magsqIiLb0ELi512ELi8ELb0EDF16_PKDF16_fEviT5_lT_liPT6_PT4_, .Lfunc_end145-_ZL24rocblas_dot_kernel_magsqIiLb0ELi512ELi8ELb0EDF16_PKDF16_fEviT5_lT_liPT6_PT4_
                                        ; -- End function
	.set _ZL24rocblas_dot_kernel_magsqIiLb0ELi512ELi8ELb0EDF16_PKDF16_fEviT5_lT_liPT6_PT4_.num_vgpr, 13
	.set _ZL24rocblas_dot_kernel_magsqIiLb0ELi512ELi8ELb0EDF16_PKDF16_fEviT5_lT_liPT6_PT4_.num_agpr, 0
	.set _ZL24rocblas_dot_kernel_magsqIiLb0ELi512ELi8ELb0EDF16_PKDF16_fEviT5_lT_liPT6_PT4_.numbered_sgpr, 28
	.set _ZL24rocblas_dot_kernel_magsqIiLb0ELi512ELi8ELb0EDF16_PKDF16_fEviT5_lT_liPT6_PT4_.num_named_barrier, 0
	.set _ZL24rocblas_dot_kernel_magsqIiLb0ELi512ELi8ELb0EDF16_PKDF16_fEviT5_lT_liPT6_PT4_.private_seg_size, 0
	.set _ZL24rocblas_dot_kernel_magsqIiLb0ELi512ELi8ELb0EDF16_PKDF16_fEviT5_lT_liPT6_PT4_.uses_vcc, 1
	.set _ZL24rocblas_dot_kernel_magsqIiLb0ELi512ELi8ELb0EDF16_PKDF16_fEviT5_lT_liPT6_PT4_.uses_flat_scratch, 0
	.set _ZL24rocblas_dot_kernel_magsqIiLb0ELi512ELi8ELb0EDF16_PKDF16_fEviT5_lT_liPT6_PT4_.has_dyn_sized_stack, 0
	.set _ZL24rocblas_dot_kernel_magsqIiLb0ELi512ELi8ELb0EDF16_PKDF16_fEviT5_lT_liPT6_PT4_.has_recursion, 0
	.set _ZL24rocblas_dot_kernel_magsqIiLb0ELi512ELi8ELb0EDF16_PKDF16_fEviT5_lT_liPT6_PT4_.has_indirect_call, 0
	.section	.AMDGPU.csdata,"",@progbits
; Kernel info:
; codeLenInByte = 956
; TotalNumSgprs: 30
; NumVgprs: 13
; ScratchSize: 0
; MemoryBound: 0
; FloatMode: 240
; IeeeMode: 1
; LDSByteSize: 128 bytes/workgroup (compile time only)
; SGPRBlocks: 0
; VGPRBlocks: 0
; NumSGPRsForWavesPerEU: 30
; NumVGPRsForWavesPerEU: 13
; NamedBarCnt: 0
; Occupancy: 16
; WaveLimiterHint : 0
; COMPUTE_PGM_RSRC2:SCRATCH_EN: 0
; COMPUTE_PGM_RSRC2:USER_SGPR: 2
; COMPUTE_PGM_RSRC2:TRAP_HANDLER: 0
; COMPUTE_PGM_RSRC2:TGID_X_EN: 1
; COMPUTE_PGM_RSRC2:TGID_Y_EN: 0
; COMPUTE_PGM_RSRC2:TGID_Z_EN: 1
; COMPUTE_PGM_RSRC2:TIDIG_COMP_CNT: 0
	.section	.text._ZL30rocblas_reduction_kernel_part2ILi512ELi8E25rocblas_finalize_identityfDF16_EviPT2_PT3_,"axG",@progbits,_ZL30rocblas_reduction_kernel_part2ILi512ELi8E25rocblas_finalize_identityfDF16_EviPT2_PT3_,comdat
	.globl	_ZL30rocblas_reduction_kernel_part2ILi512ELi8E25rocblas_finalize_identityfDF16_EviPT2_PT3_ ; -- Begin function _ZL30rocblas_reduction_kernel_part2ILi512ELi8E25rocblas_finalize_identityfDF16_EviPT2_PT3_
	.p2align	8
	.type	_ZL30rocblas_reduction_kernel_part2ILi512ELi8E25rocblas_finalize_identityfDF16_EviPT2_PT3_,@function
_ZL30rocblas_reduction_kernel_part2ILi512ELi8E25rocblas_finalize_identityfDF16_EviPT2_PT3_: ; @_ZL30rocblas_reduction_kernel_part2ILi512ELi8E25rocblas_finalize_identityfDF16_EviPT2_PT3_
; %bb.0:
	s_clause 0x1
	s_load_b32 s6, s[0:1], 0x0
	s_load_b64 s[8:9], s[0:1], 0x8
	s_bfe_u32 s2, ttmp6, 0x4000c
	s_and_b32 s3, ttmp6, 15
	s_add_co_i32 s2, s2, 1
	s_getreg_b32 s4, hwreg(HW_REG_IB_STS2, 6, 4)
	s_mul_i32 s2, ttmp9, s2
	v_dual_lshlrev_b32 v1, 3, v0 :: v_dual_mov_b32 v3, 0
	s_add_co_i32 s3, s3, s2
	s_wait_kmcnt 0x0
	s_ashr_i32 s7, s6, 31
	s_cmp_eq_u32 s4, 0
	s_mov_b32 s4, exec_lo
	s_cselect_b32 s2, ttmp9, s3
	s_lshr_b32 s3, s7, 29
	s_delay_alu instid0(SALU_CYCLE_1) | instskip(NEXT) | instid1(SALU_CYCLE_1)
	s_add_co_i32 s3, s6, s3
	s_and_b32 s12, s3, -8
	s_mov_b32 s3, 0
	s_delay_alu instid0(SALU_CYCLE_1)
	s_mul_u64 s[10:11], s[6:7], s[2:3]
	v_cmpx_gt_i32_e64 s12, v1
	s_cbranch_execz .LBB146_4
; %bb.1:
	v_dual_mov_b32 v3, 0 :: v_dual_lshlrev_b32 v2, 5, v0
	s_lshl_b64 s[14:15], s[10:11], 2
	s_mov_b32 s5, s3
	s_add_nc_u64 s[14:15], s[8:9], s[14:15]
	s_delay_alu instid0(VALU_DEP_1) | instid1(SALU_CYCLE_1)
	v_add_nc_u64_e32 v[4:5], s[14:15], v[2:3]
	s_delay_alu instid0(VALU_DEP_1)
	v_add_nc_u64_e32 v[4:5], 28, v[4:5]
.LBB146_2:                              ; =>This Inner Loop Header: Depth=1
	s_clause 0x1
	global_load_b128 v[6:9], v[4:5], off offset:-28
	global_load_b128 v[10:13], v[4:5], off offset:-12
	s_wait_xcnt 0x0
	v_add_nc_u64_e32 v[4:5], 0x4000, v[4:5]
	v_add_nc_u32_e32 v1, 0x1000, v1
	s_delay_alu instid0(VALU_DEP_1) | instskip(SKIP_3) | instid1(VALU_DEP_1)
	v_cmp_le_i32_e32 vcc_lo, s12, v1
	s_or_b32 s5, vcc_lo, s5
	s_wait_loadcnt 0x1
	v_add_f32_e32 v2, v3, v6
	v_add_f32_e32 v2, v2, v7
	s_delay_alu instid0(VALU_DEP_1) | instskip(NEXT) | instid1(VALU_DEP_1)
	v_add_f32_e32 v2, v2, v8
	v_add_f32_e32 v2, v2, v9
	s_wait_loadcnt 0x0
	s_delay_alu instid0(VALU_DEP_1) | instskip(NEXT) | instid1(VALU_DEP_1)
	v_add_f32_e32 v2, v2, v10
	v_add_f32_e32 v2, v2, v11
	s_delay_alu instid0(VALU_DEP_1) | instskip(NEXT) | instid1(VALU_DEP_1)
	v_add_f32_e32 v2, v2, v12
	v_add_f32_e32 v3, v2, v13
	s_and_not1_b32 exec_lo, exec_lo, s5
	s_cbranch_execnz .LBB146_2
; %bb.3:
	s_or_b32 exec_lo, exec_lo, s5
.LBB146_4:
	s_delay_alu instid0(SALU_CYCLE_1) | instskip(SKIP_3) | instid1(SALU_CYCLE_1)
	s_or_b32 exec_lo, exec_lo, s4
	s_load_b64 s[4:5], s[0:1], 0x10
	s_wait_xcnt 0x0
	s_sub_co_i32 s0, s6, s12
	v_cmp_gt_u32_e32 vcc_lo, s0, v0
	s_and_saveexec_b32 s0, vcc_lo
	s_cbranch_execz .LBB146_6
; %bb.5:
	v_xad_u32 v1, v0, -1, s6
	s_lshl_b64 s[6:7], s[10:11], 2
	s_delay_alu instid0(SALU_CYCLE_1)
	s_add_nc_u64 s[6:7], s[8:9], s[6:7]
	global_load_b32 v1, v1, s[6:7] scale_offset
	s_wait_loadcnt 0x0
	v_add_f32_e32 v3, v3, v1
.LBB146_6:
	s_or_b32 exec_lo, exec_lo, s0
	v_and_b32_e32 v6, 31, v0
	v_cmp_gt_u32_e32 vcc_lo, 32, v0
	s_delay_alu instid0(VALU_DEP_2)
	v_lshlrev_b32_e32 v1, 2, v6
	s_and_saveexec_b32 s0, vcc_lo
; %bb.7:
	v_mov_b32_e32 v2, 0
	ds_store_b32 v1, v2
; %bb.8:
	s_or_b32 exec_lo, exec_lo, s0
	v_mbcnt_lo_u32_b32 v5, -1, 0
	s_mov_b32 s1, exec_lo
	s_wait_dscnt 0x0
	s_barrier_signal -1
	s_barrier_wait -1
	v_lshl_or_b32 v2, v5, 2, 64
	v_cmp_gt_u32_e64 s0, 24, v5
	ds_bpermute_b32 v4, v2, v3
	v_cndmask_b32_e64 v2, 0, 8, s0
	v_cmp_gt_u32_e64 s0, 28, v5
	s_delay_alu instid0(VALU_DEP_2) | instskip(SKIP_2) | instid1(VALU_DEP_3)
	v_add_lshl_u32 v2, v2, v5, 2
	s_wait_dscnt 0x0
	v_add_f32_e32 v4, v3, v4
	v_cndmask_b32_e64 v3, 0, 4, s0
	v_cmp_gt_u32_e64 s0, 30, v5
	ds_bpermute_b32 v7, v2, v4
	v_add_lshl_u32 v3, v3, v5, 2
	s_wait_dscnt 0x0
	v_add_f32_e32 v7, v4, v7
	v_cndmask_b32_e64 v4, 0, 2, s0
	v_cmp_ne_u32_e64 s0, 31, v5
	ds_bpermute_b32 v8, v3, v7
	v_add_lshl_u32 v4, v4, v5, 2
	v_add_co_ci_u32_e64 v5, null, 0, v5, s0
	s_wait_dscnt 0x0
	s_delay_alu instid0(VALU_DEP_1)
	v_dual_lshlrev_b32 v5, 2, v5 :: v_dual_add_f32 v7, v7, v8
	ds_bpermute_b32 v8, v4, v7
	s_wait_dscnt 0x0
	v_add_f32_e32 v7, v7, v8
	ds_bpermute_b32 v8, v5, v7
	v_cmpx_eq_u32_e32 0, v6
	s_cbranch_execz .LBB146_10
; %bb.9:
	v_lshrrev_b32_e32 v6, 3, v0
	s_wait_dscnt 0x0
	s_delay_alu instid0(VALU_DEP_1)
	v_dual_add_f32 v7, v7, v8 :: v_dual_bitop2_b32 v6, 60, v6 bitop3:0x40
	ds_store_b32 v6, v7
.LBB146_10:
	s_or_b32 exec_lo, exec_lo, s1
	v_mov_b32_e32 v6, 0
	s_mov_b32 s1, exec_lo
	s_wait_dscnt 0x0
	s_barrier_signal -1
	s_barrier_wait -1
	v_cmpx_gt_u32_e32 16, v0
; %bb.11:
	ds_load_b32 v6, v1
; %bb.12:
	s_or_b32 exec_lo, exec_lo, s1
	s_and_saveexec_b32 s0, vcc_lo
	s_cbranch_execz .LBB146_14
; %bb.13:
	s_wait_dscnt 0x0
	ds_bpermute_b32 v1, v2, v6
	s_wait_dscnt 0x0
	v_add_f32_e32 v1, v6, v1
	ds_bpermute_b32 v2, v3, v1
	s_wait_dscnt 0x0
	v_add_f32_e32 v1, v1, v2
	;; [unrolled: 3-line block ×4, first 2 shown]
.LBB146_14:
	s_or_b32 exec_lo, exec_lo, s0
	s_delay_alu instid0(SALU_CYCLE_1)
	s_mov_b32 s0, exec_lo
	v_cmpx_eq_u32_e32 0, v0
	s_cbranch_execz .LBB146_16
; %bb.15:
	v_mov_b32_e32 v0, 0
	s_wait_dscnt 0x0
	v_cvt_f16_f32_e32 v1, v6
	s_lshl_b64 s[0:1], s[2:3], 1
	s_wait_kmcnt 0x0
	s_add_nc_u64 s[0:1], s[4:5], s[0:1]
	global_store_b16 v0, v1, s[0:1]
.LBB146_16:
	s_endpgm
	.section	.rodata,"a",@progbits
	.p2align	6, 0x0
	.amdhsa_kernel _ZL30rocblas_reduction_kernel_part2ILi512ELi8E25rocblas_finalize_identityfDF16_EviPT2_PT3_
		.amdhsa_group_segment_fixed_size 128
		.amdhsa_private_segment_fixed_size 0
		.amdhsa_kernarg_size 24
		.amdhsa_user_sgpr_count 2
		.amdhsa_user_sgpr_dispatch_ptr 0
		.amdhsa_user_sgpr_queue_ptr 0
		.amdhsa_user_sgpr_kernarg_segment_ptr 1
		.amdhsa_user_sgpr_dispatch_id 0
		.amdhsa_user_sgpr_kernarg_preload_length 0
		.amdhsa_user_sgpr_kernarg_preload_offset 0
		.amdhsa_user_sgpr_private_segment_size 0
		.amdhsa_wavefront_size32 1
		.amdhsa_uses_dynamic_stack 0
		.amdhsa_enable_private_segment 0
		.amdhsa_system_sgpr_workgroup_id_x 1
		.amdhsa_system_sgpr_workgroup_id_y 0
		.amdhsa_system_sgpr_workgroup_id_z 0
		.amdhsa_system_sgpr_workgroup_info 0
		.amdhsa_system_vgpr_workitem_id 0
		.amdhsa_next_free_vgpr 14
		.amdhsa_next_free_sgpr 16
		.amdhsa_named_barrier_count 0
		.amdhsa_reserve_vcc 1
		.amdhsa_float_round_mode_32 0
		.amdhsa_float_round_mode_16_64 0
		.amdhsa_float_denorm_mode_32 3
		.amdhsa_float_denorm_mode_16_64 3
		.amdhsa_fp16_overflow 0
		.amdhsa_memory_ordered 1
		.amdhsa_forward_progress 1
		.amdhsa_inst_pref_size 7
		.amdhsa_round_robin_scheduling 0
		.amdhsa_exception_fp_ieee_invalid_op 0
		.amdhsa_exception_fp_denorm_src 0
		.amdhsa_exception_fp_ieee_div_zero 0
		.amdhsa_exception_fp_ieee_overflow 0
		.amdhsa_exception_fp_ieee_underflow 0
		.amdhsa_exception_fp_ieee_inexact 0
		.amdhsa_exception_int_div_zero 0
	.end_amdhsa_kernel
	.section	.text._ZL30rocblas_reduction_kernel_part2ILi512ELi8E25rocblas_finalize_identityfDF16_EviPT2_PT3_,"axG",@progbits,_ZL30rocblas_reduction_kernel_part2ILi512ELi8E25rocblas_finalize_identityfDF16_EviPT2_PT3_,comdat
.Lfunc_end146:
	.size	_ZL30rocblas_reduction_kernel_part2ILi512ELi8E25rocblas_finalize_identityfDF16_EviPT2_PT3_, .Lfunc_end146-_ZL30rocblas_reduction_kernel_part2ILi512ELi8E25rocblas_finalize_identityfDF16_EviPT2_PT3_
                                        ; -- End function
	.set _ZL30rocblas_reduction_kernel_part2ILi512ELi8E25rocblas_finalize_identityfDF16_EviPT2_PT3_.num_vgpr, 14
	.set _ZL30rocblas_reduction_kernel_part2ILi512ELi8E25rocblas_finalize_identityfDF16_EviPT2_PT3_.num_agpr, 0
	.set _ZL30rocblas_reduction_kernel_part2ILi512ELi8E25rocblas_finalize_identityfDF16_EviPT2_PT3_.numbered_sgpr, 16
	.set _ZL30rocblas_reduction_kernel_part2ILi512ELi8E25rocblas_finalize_identityfDF16_EviPT2_PT3_.num_named_barrier, 0
	.set _ZL30rocblas_reduction_kernel_part2ILi512ELi8E25rocblas_finalize_identityfDF16_EviPT2_PT3_.private_seg_size, 0
	.set _ZL30rocblas_reduction_kernel_part2ILi512ELi8E25rocblas_finalize_identityfDF16_EviPT2_PT3_.uses_vcc, 1
	.set _ZL30rocblas_reduction_kernel_part2ILi512ELi8E25rocblas_finalize_identityfDF16_EviPT2_PT3_.uses_flat_scratch, 0
	.set _ZL30rocblas_reduction_kernel_part2ILi512ELi8E25rocblas_finalize_identityfDF16_EviPT2_PT3_.has_dyn_sized_stack, 0
	.set _ZL30rocblas_reduction_kernel_part2ILi512ELi8E25rocblas_finalize_identityfDF16_EviPT2_PT3_.has_recursion, 0
	.set _ZL30rocblas_reduction_kernel_part2ILi512ELi8E25rocblas_finalize_identityfDF16_EviPT2_PT3_.has_indirect_call, 0
	.section	.AMDGPU.csdata,"",@progbits
; Kernel info:
; codeLenInByte = 820
; TotalNumSgprs: 18
; NumVgprs: 14
; ScratchSize: 0
; MemoryBound: 0
; FloatMode: 240
; IeeeMode: 1
; LDSByteSize: 128 bytes/workgroup (compile time only)
; SGPRBlocks: 0
; VGPRBlocks: 0
; NumSGPRsForWavesPerEU: 18
; NumVGPRsForWavesPerEU: 14
; NamedBarCnt: 0
; Occupancy: 16
; WaveLimiterHint : 0
; COMPUTE_PGM_RSRC2:SCRATCH_EN: 0
; COMPUTE_PGM_RSRC2:USER_SGPR: 2
; COMPUTE_PGM_RSRC2:TRAP_HANDLER: 0
; COMPUTE_PGM_RSRC2:TGID_X_EN: 1
; COMPUTE_PGM_RSRC2:TGID_Y_EN: 0
; COMPUTE_PGM_RSRC2:TGID_Z_EN: 0
; COMPUTE_PGM_RSRC2:TIDIG_COMP_CNT: 0
	.section	.text._ZL28rocblas_dot_batched_4_kernelIiLi32ELi4ELb0EfDF16_PKPKDF16_EviT5_lT_lS4_lS5_liPT4_,"axG",@progbits,_ZL28rocblas_dot_batched_4_kernelIiLi32ELi4ELb0EfDF16_PKPKDF16_EviT5_lT_lS4_lS5_liPT4_,comdat
	.globl	_ZL28rocblas_dot_batched_4_kernelIiLi32ELi4ELb0EfDF16_PKPKDF16_EviT5_lT_lS4_lS5_liPT4_ ; -- Begin function _ZL28rocblas_dot_batched_4_kernelIiLi32ELi4ELb0EfDF16_PKPKDF16_EviT5_lT_lS4_lS5_liPT4_
	.p2align	8
	.type	_ZL28rocblas_dot_batched_4_kernelIiLi32ELi4ELb0EfDF16_PKPKDF16_EviT5_lT_lS4_lS5_liPT4_,@function
_ZL28rocblas_dot_batched_4_kernelIiLi32ELi4ELb0EfDF16_PKPKDF16_EviT5_lT_lS4_lS5_liPT4_: ; @_ZL28rocblas_dot_batched_4_kernelIiLi32ELi4ELb0EfDF16_PKPKDF16_EviT5_lT_lS4_lS5_liPT4_
; %bb.0:
	s_load_b32 s2, s[0:1], 0x48
	s_bfe_u32 s3, ttmp6, 0x4000c
	s_and_b32 s4, ttmp6, 15
	s_add_co_i32 s3, s3, 1
	v_bfe_u32 v1, v0, 10, 10
	s_mul_i32 s3, ttmp9, s3
	s_delay_alu instid0(SALU_CYCLE_1) | instskip(SKIP_1) | instid1(SALU_CYCLE_1)
	s_add_co_i32 s4, s4, s3
	s_getreg_b32 s3, hwreg(HW_REG_IB_STS2, 6, 4)
	s_cmp_eq_u32 s3, 0
	s_cselect_b32 s3, ttmp9, s4
	s_delay_alu instid0(SALU_CYCLE_1) | instskip(SKIP_1) | instid1(VALU_DEP_1)
	v_lshl_add_u32 v2, s3, 2, v1
	s_wait_kmcnt 0x0
	v_cmp_gt_u32_e32 vcc_lo, s2, v2
	s_and_saveexec_b32 s2, vcc_lo
	s_cbranch_execz .LBB147_7
; %bb.1:
	s_load_b32 s6, s[0:1], 0x0
	v_mov_b32_e32 v3, 0
	v_and_b32_e32 v0, 0x3ff, v0
	s_mov_b32 s7, exec_lo
	s_delay_alu instid0(VALU_DEP_2) | instskip(SKIP_1) | instid1(VALU_DEP_2)
	v_mov_b32_e32 v1, v3
	s_wait_kmcnt 0x0
	v_cmpx_gt_i32_e64 s6, v0
	s_cbranch_execz .LBB147_5
; %bb.2:
	s_clause 0x1
	s_load_b128 s[8:11], s[0:1], 0x8
	s_load_b128 s[12:15], s[0:1], 0x28
	v_lshlrev_b64_e32 v[4:5], 3, v[2:3]
	s_clause 0x1
	s_load_b32 s2, s[0:1], 0x18
	s_load_b32 s4, s[0:1], 0x38
	v_mov_b32_e32 v1, 0
	s_wait_kmcnt 0x0
	s_delay_alu instid0(VALU_DEP_2)
	v_add_nc_u64_e32 v[6:7], s[8:9], v[4:5]
	v_add_nc_u64_e32 v[4:5], s[12:13], v[4:5]
	s_ashr_i32 s3, s2, 31
	s_lshl_b64 s[8:9], s[10:11], 1
	s_ashr_i32 s5, s4, 31
	s_lshl_b64 s[10:11], s[14:15], 1
	global_load_b64 v[8:9], v[6:7], off
	global_load_b64 v[10:11], v[4:5], off
	s_wait_xcnt 0x0
	v_mul_u64_e32 v[4:5], s[2:3], v[0:1]
	s_lshl_b64 s[2:3], s[2:3], 6
	s_delay_alu instid0(VALU_DEP_1) | instskip(SKIP_2) | instid1(VALU_DEP_1)
	v_lshl_add_u64 v[4:5], v[4:5], 1, s[8:9]
	s_mov_b32 s8, 0
	s_wait_loadcnt 0x1
	v_add_nc_u64_e32 v[4:5], v[8:9], v[4:5]
	v_mov_b32_e32 v8, v0
	v_mul_u64_e32 v[6:7], s[4:5], v[0:1]
	s_lshl_b64 s[4:5], s[4:5], 6
	s_delay_alu instid0(VALU_DEP_1) | instskip(SKIP_1) | instid1(VALU_DEP_1)
	v_lshl_add_u64 v[6:7], v[6:7], 1, s[10:11]
	s_wait_loadcnt 0x0
	v_add_nc_u64_e32 v[6:7], v[10:11], v[6:7]
.LBB147_3:                              ; =>This Inner Loop Header: Depth=1
	flat_load_u16 v9, v[4:5]
	flat_load_u16 v10, v[6:7]
	v_add_nc_u32_e32 v8, 32, v8
	s_wait_xcnt 0x1
	v_add_nc_u64_e32 v[4:5], s[2:3], v[4:5]
	s_wait_xcnt 0x0
	v_add_nc_u64_e32 v[6:7], s[4:5], v[6:7]
	v_cmp_le_i32_e32 vcc_lo, s6, v8
	s_or_b32 s8, vcc_lo, s8
	s_wait_loadcnt_dscnt 0x0
	v_fma_mix_f32 v1, v9, v10, v1 op_sel_hi:[1,1,0]
	s_and_not1_b32 exec_lo, exec_lo, s8
	s_cbranch_execnz .LBB147_3
; %bb.4:
	s_or_b32 exec_lo, exec_lo, s8
.LBB147_5:
	s_delay_alu instid0(SALU_CYCLE_1) | instskip(SKIP_4) | instid1(VALU_DEP_1)
	s_or_b32 exec_lo, exec_lo, s7
	v_mbcnt_lo_u32_b32 v4, -1, 0
	s_load_b64 s[0:1], s[0:1], 0x50
	s_barrier_signal -1
	s_barrier_wait -1
	v_lshl_or_b32 v5, v4, 2, 64
	v_cmp_gt_u32_e32 vcc_lo, 24, v4
	ds_bpermute_b32 v5, v5, v1
	v_cndmask_b32_e64 v6, 0, 8, vcc_lo
	v_cmp_gt_u32_e32 vcc_lo, 28, v4
	s_delay_alu instid0(VALU_DEP_2)
	v_add_lshl_u32 v6, v6, v4, 2
	s_wait_dscnt 0x0
	v_add_f32_e32 v1, v1, v5
	ds_bpermute_b32 v5, v6, v1
	v_cndmask_b32_e64 v6, 0, 4, vcc_lo
	v_cmp_gt_u32_e32 vcc_lo, 30, v4
	s_delay_alu instid0(VALU_DEP_2)
	v_add_lshl_u32 v6, v6, v4, 2
	s_wait_dscnt 0x0
	v_add_f32_e32 v1, v1, v5
	ds_bpermute_b32 v5, v6, v1
	v_cndmask_b32_e64 v6, 0, 2, vcc_lo
	v_cmp_ne_u32_e32 vcc_lo, 31, v4
	s_delay_alu instid0(VALU_DEP_2) | instskip(SKIP_3) | instid1(VALU_DEP_2)
	v_add_lshl_u32 v6, v6, v4, 2
	v_add_co_ci_u32_e64 v4, null, 0, v4, vcc_lo
	v_cmp_eq_u32_e32 vcc_lo, 0, v0
	s_wait_dscnt 0x0
	v_dual_add_f32 v1, v1, v5 :: v_dual_lshlrev_b32 v4, 2, v4
	ds_bpermute_b32 v5, v6, v1
	s_wait_dscnt 0x0
	v_add_f32_e32 v1, v1, v5
	ds_bpermute_b32 v4, v4, v1
	s_and_b32 exec_lo, exec_lo, vcc_lo
	s_cbranch_execz .LBB147_7
; %bb.6:
	s_wait_dscnt 0x0
	v_add_f32_e32 v4, v1, v4
	s_wait_kmcnt 0x0
	v_lshl_add_u64 v[0:1], v[2:3], 1, s[0:1]
	s_delay_alu instid0(VALU_DEP_2)
	v_cvt_f16_f32_e32 v2, v4
	global_store_b16 v[0:1], v2, off
.LBB147_7:
	s_endpgm
	.section	.rodata,"a",@progbits
	.p2align	6, 0x0
	.amdhsa_kernel _ZL28rocblas_dot_batched_4_kernelIiLi32ELi4ELb0EfDF16_PKPKDF16_EviT5_lT_lS4_lS5_liPT4_
		.amdhsa_group_segment_fixed_size 0
		.amdhsa_private_segment_fixed_size 0
		.amdhsa_kernarg_size 88
		.amdhsa_user_sgpr_count 2
		.amdhsa_user_sgpr_dispatch_ptr 0
		.amdhsa_user_sgpr_queue_ptr 0
		.amdhsa_user_sgpr_kernarg_segment_ptr 1
		.amdhsa_user_sgpr_dispatch_id 0
		.amdhsa_user_sgpr_kernarg_preload_length 0
		.amdhsa_user_sgpr_kernarg_preload_offset 0
		.amdhsa_user_sgpr_private_segment_size 0
		.amdhsa_wavefront_size32 1
		.amdhsa_uses_dynamic_stack 0
		.amdhsa_enable_private_segment 0
		.amdhsa_system_sgpr_workgroup_id_x 1
		.amdhsa_system_sgpr_workgroup_id_y 0
		.amdhsa_system_sgpr_workgroup_id_z 0
		.amdhsa_system_sgpr_workgroup_info 0
		.amdhsa_system_vgpr_workitem_id 1
		.amdhsa_next_free_vgpr 12
		.amdhsa_next_free_sgpr 16
		.amdhsa_named_barrier_count 0
		.amdhsa_reserve_vcc 1
		.amdhsa_float_round_mode_32 0
		.amdhsa_float_round_mode_16_64 0
		.amdhsa_float_denorm_mode_32 3
		.amdhsa_float_denorm_mode_16_64 3
		.amdhsa_fp16_overflow 0
		.amdhsa_memory_ordered 1
		.amdhsa_forward_progress 1
		.amdhsa_inst_pref_size 5
		.amdhsa_round_robin_scheduling 0
		.amdhsa_exception_fp_ieee_invalid_op 0
		.amdhsa_exception_fp_denorm_src 0
		.amdhsa_exception_fp_ieee_div_zero 0
		.amdhsa_exception_fp_ieee_overflow 0
		.amdhsa_exception_fp_ieee_underflow 0
		.amdhsa_exception_fp_ieee_inexact 0
		.amdhsa_exception_int_div_zero 0
	.end_amdhsa_kernel
	.section	.text._ZL28rocblas_dot_batched_4_kernelIiLi32ELi4ELb0EfDF16_PKPKDF16_EviT5_lT_lS4_lS5_liPT4_,"axG",@progbits,_ZL28rocblas_dot_batched_4_kernelIiLi32ELi4ELb0EfDF16_PKPKDF16_EviT5_lT_lS4_lS5_liPT4_,comdat
.Lfunc_end147:
	.size	_ZL28rocblas_dot_batched_4_kernelIiLi32ELi4ELb0EfDF16_PKPKDF16_EviT5_lT_lS4_lS5_liPT4_, .Lfunc_end147-_ZL28rocblas_dot_batched_4_kernelIiLi32ELi4ELb0EfDF16_PKPKDF16_EviT5_lT_lS4_lS5_liPT4_
                                        ; -- End function
	.set _ZL28rocblas_dot_batched_4_kernelIiLi32ELi4ELb0EfDF16_PKPKDF16_EviT5_lT_lS4_lS5_liPT4_.num_vgpr, 12
	.set _ZL28rocblas_dot_batched_4_kernelIiLi32ELi4ELb0EfDF16_PKPKDF16_EviT5_lT_lS4_lS5_liPT4_.num_agpr, 0
	.set _ZL28rocblas_dot_batched_4_kernelIiLi32ELi4ELb0EfDF16_PKPKDF16_EviT5_lT_lS4_lS5_liPT4_.numbered_sgpr, 16
	.set _ZL28rocblas_dot_batched_4_kernelIiLi32ELi4ELb0EfDF16_PKPKDF16_EviT5_lT_lS4_lS5_liPT4_.num_named_barrier, 0
	.set _ZL28rocblas_dot_batched_4_kernelIiLi32ELi4ELb0EfDF16_PKPKDF16_EviT5_lT_lS4_lS5_liPT4_.private_seg_size, 0
	.set _ZL28rocblas_dot_batched_4_kernelIiLi32ELi4ELb0EfDF16_PKPKDF16_EviT5_lT_lS4_lS5_liPT4_.uses_vcc, 1
	.set _ZL28rocblas_dot_batched_4_kernelIiLi32ELi4ELb0EfDF16_PKPKDF16_EviT5_lT_lS4_lS5_liPT4_.uses_flat_scratch, 0
	.set _ZL28rocblas_dot_batched_4_kernelIiLi32ELi4ELb0EfDF16_PKPKDF16_EviT5_lT_lS4_lS5_liPT4_.has_dyn_sized_stack, 0
	.set _ZL28rocblas_dot_batched_4_kernelIiLi32ELi4ELb0EfDF16_PKPKDF16_EviT5_lT_lS4_lS5_liPT4_.has_recursion, 0
	.set _ZL28rocblas_dot_batched_4_kernelIiLi32ELi4ELb0EfDF16_PKPKDF16_EviT5_lT_lS4_lS5_liPT4_.has_indirect_call, 0
	.section	.AMDGPU.csdata,"",@progbits
; Kernel info:
; codeLenInByte = 636
; TotalNumSgprs: 18
; NumVgprs: 12
; ScratchSize: 0
; MemoryBound: 0
; FloatMode: 240
; IeeeMode: 1
; LDSByteSize: 0 bytes/workgroup (compile time only)
; SGPRBlocks: 0
; VGPRBlocks: 0
; NumSGPRsForWavesPerEU: 18
; NumVGPRsForWavesPerEU: 12
; NamedBarCnt: 0
; Occupancy: 16
; WaveLimiterHint : 0
; COMPUTE_PGM_RSRC2:SCRATCH_EN: 0
; COMPUTE_PGM_RSRC2:USER_SGPR: 2
; COMPUTE_PGM_RSRC2:TRAP_HANDLER: 0
; COMPUTE_PGM_RSRC2:TGID_X_EN: 1
; COMPUTE_PGM_RSRC2:TGID_Y_EN: 0
; COMPUTE_PGM_RSRC2:TGID_Z_EN: 0
; COMPUTE_PGM_RSRC2:TIDIG_COMP_CNT: 1
	.section	.text._ZL28rocblas_dot_batched_4_kernelIiLi64ELi4ELb0EfDF16_PKPKDF16_EviT5_lT_lS4_lS5_liPT4_,"axG",@progbits,_ZL28rocblas_dot_batched_4_kernelIiLi64ELi4ELb0EfDF16_PKPKDF16_EviT5_lT_lS4_lS5_liPT4_,comdat
	.globl	_ZL28rocblas_dot_batched_4_kernelIiLi64ELi4ELb0EfDF16_PKPKDF16_EviT5_lT_lS4_lS5_liPT4_ ; -- Begin function _ZL28rocblas_dot_batched_4_kernelIiLi64ELi4ELb0EfDF16_PKPKDF16_EviT5_lT_lS4_lS5_liPT4_
	.p2align	8
	.type	_ZL28rocblas_dot_batched_4_kernelIiLi64ELi4ELb0EfDF16_PKPKDF16_EviT5_lT_lS4_lS5_liPT4_,@function
_ZL28rocblas_dot_batched_4_kernelIiLi64ELi4ELb0EfDF16_PKPKDF16_EviT5_lT_lS4_lS5_liPT4_: ; @_ZL28rocblas_dot_batched_4_kernelIiLi64ELi4ELb0EfDF16_PKPKDF16_EviT5_lT_lS4_lS5_liPT4_
; %bb.0:
	s_load_b32 s2, s[0:1], 0x48
	s_bfe_u32 s3, ttmp6, 0x4000c
	s_and_b32 s4, ttmp6, 15
	s_add_co_i32 s3, s3, 1
	v_bfe_u32 v1, v0, 10, 10
	s_mul_i32 s3, ttmp9, s3
	s_delay_alu instid0(SALU_CYCLE_1) | instskip(SKIP_1) | instid1(SALU_CYCLE_1)
	s_add_co_i32 s4, s4, s3
	s_getreg_b32 s3, hwreg(HW_REG_IB_STS2, 6, 4)
	s_cmp_eq_u32 s3, 0
	s_cselect_b32 s3, ttmp9, s4
	s_delay_alu instid0(SALU_CYCLE_1) | instskip(SKIP_1) | instid1(VALU_DEP_1)
	v_lshl_add_u32 v2, s3, 2, v1
	s_wait_kmcnt 0x0
	v_cmp_gt_u32_e32 vcc_lo, s2, v2
	s_and_saveexec_b32 s2, vcc_lo
	s_cbranch_execz .LBB148_7
; %bb.1:
	s_load_b32 s6, s[0:1], 0x0
	v_mov_b32_e32 v3, 0
	v_and_b32_e32 v0, 0x3ff, v0
	s_mov_b32 s7, exec_lo
	s_delay_alu instid0(VALU_DEP_2) | instskip(SKIP_1) | instid1(VALU_DEP_2)
	v_mov_b32_e32 v1, v3
	s_wait_kmcnt 0x0
	v_cmpx_gt_i32_e64 s6, v0
	s_cbranch_execz .LBB148_5
; %bb.2:
	s_clause 0x1
	s_load_b128 s[8:11], s[0:1], 0x8
	s_load_b128 s[12:15], s[0:1], 0x28
	v_lshlrev_b64_e32 v[4:5], 3, v[2:3]
	s_clause 0x1
	s_load_b32 s2, s[0:1], 0x18
	s_load_b32 s4, s[0:1], 0x38
	v_mov_b32_e32 v1, 0
	s_wait_kmcnt 0x0
	s_delay_alu instid0(VALU_DEP_2)
	v_add_nc_u64_e32 v[6:7], s[8:9], v[4:5]
	v_add_nc_u64_e32 v[4:5], s[12:13], v[4:5]
	s_ashr_i32 s3, s2, 31
	s_lshl_b64 s[8:9], s[10:11], 1
	s_ashr_i32 s5, s4, 31
	s_lshl_b64 s[10:11], s[14:15], 1
	global_load_b64 v[8:9], v[6:7], off
	global_load_b64 v[10:11], v[4:5], off
	s_wait_xcnt 0x0
	v_mul_u64_e32 v[4:5], s[2:3], v[0:1]
	s_lshl_b64 s[2:3], s[2:3], 7
	s_delay_alu instid0(VALU_DEP_1) | instskip(SKIP_2) | instid1(VALU_DEP_1)
	v_lshl_add_u64 v[4:5], v[4:5], 1, s[8:9]
	s_mov_b32 s8, 0
	s_wait_loadcnt 0x1
	v_add_nc_u64_e32 v[4:5], v[8:9], v[4:5]
	v_mov_b32_e32 v8, v0
	v_mul_u64_e32 v[6:7], s[4:5], v[0:1]
	s_lshl_b64 s[4:5], s[4:5], 7
	s_delay_alu instid0(VALU_DEP_1) | instskip(SKIP_1) | instid1(VALU_DEP_1)
	v_lshl_add_u64 v[6:7], v[6:7], 1, s[10:11]
	s_wait_loadcnt 0x0
	v_add_nc_u64_e32 v[6:7], v[10:11], v[6:7]
.LBB148_3:                              ; =>This Inner Loop Header: Depth=1
	flat_load_u16 v9, v[4:5]
	flat_load_u16 v10, v[6:7]
	v_add_nc_u32_e32 v8, 64, v8
	s_wait_xcnt 0x1
	v_add_nc_u64_e32 v[4:5], s[2:3], v[4:5]
	s_wait_xcnt 0x0
	v_add_nc_u64_e32 v[6:7], s[4:5], v[6:7]
	v_cmp_le_i32_e32 vcc_lo, s6, v8
	s_or_b32 s8, vcc_lo, s8
	s_wait_loadcnt_dscnt 0x0
	v_fma_mix_f32 v1, v9, v10, v1 op_sel_hi:[1,1,0]
	s_and_not1_b32 exec_lo, exec_lo, s8
	s_cbranch_execnz .LBB148_3
; %bb.4:
	s_or_b32 exec_lo, exec_lo, s8
.LBB148_5:
	s_delay_alu instid0(SALU_CYCLE_1) | instskip(SKIP_4) | instid1(VALU_DEP_1)
	s_or_b32 exec_lo, exec_lo, s7
	v_mbcnt_lo_u32_b32 v4, -1, 0
	s_load_b64 s[0:1], s[0:1], 0x50
	s_barrier_signal -1
	s_barrier_wait -1
	v_lshlrev_b32_e32 v5, 2, v4
	v_cmp_gt_u32_e32 vcc_lo, 24, v4
	ds_bpermute_b32 v6, v5, v1
	s_wait_dscnt 0x0
	v_dual_add_f32 v1, v1, v6 :: v_dual_bitop2_b32 v5, 64, v5 bitop3:0x54
	v_cndmask_b32_e64 v6, 0, 8, vcc_lo
	v_cmp_gt_u32_e32 vcc_lo, 28, v4
	ds_bpermute_b32 v5, v5, v1
	v_add_lshl_u32 v6, v6, v4, 2
	s_wait_dscnt 0x0
	v_add_f32_e32 v1, v1, v5
	ds_bpermute_b32 v5, v6, v1
	v_cndmask_b32_e64 v6, 0, 4, vcc_lo
	v_cmp_gt_u32_e32 vcc_lo, 30, v4
	s_delay_alu instid0(VALU_DEP_2)
	v_add_lshl_u32 v6, v6, v4, 2
	s_wait_dscnt 0x0
	v_add_f32_e32 v1, v1, v5
	ds_bpermute_b32 v5, v6, v1
	v_cndmask_b32_e64 v6, 0, 2, vcc_lo
	v_cmp_ne_u32_e32 vcc_lo, 31, v4
	s_delay_alu instid0(VALU_DEP_2) | instskip(SKIP_3) | instid1(VALU_DEP_2)
	v_add_lshl_u32 v6, v6, v4, 2
	v_add_co_ci_u32_e64 v4, null, 0, v4, vcc_lo
	v_cmp_eq_u32_e32 vcc_lo, 0, v0
	s_wait_dscnt 0x0
	v_dual_add_f32 v1, v1, v5 :: v_dual_lshlrev_b32 v4, 2, v4
	ds_bpermute_b32 v5, v6, v1
	s_wait_dscnt 0x0
	v_add_f32_e32 v1, v1, v5
	ds_bpermute_b32 v4, v4, v1
	s_and_b32 exec_lo, exec_lo, vcc_lo
	s_cbranch_execz .LBB148_7
; %bb.6:
	s_wait_dscnt 0x0
	v_add_f32_e32 v4, v1, v4
	s_wait_kmcnt 0x0
	v_lshl_add_u64 v[0:1], v[2:3], 1, s[0:1]
	s_delay_alu instid0(VALU_DEP_2)
	v_cvt_f16_f32_e32 v2, v4
	global_store_b16 v[0:1], v2, off
.LBB148_7:
	s_endpgm
	.section	.rodata,"a",@progbits
	.p2align	6, 0x0
	.amdhsa_kernel _ZL28rocblas_dot_batched_4_kernelIiLi64ELi4ELb0EfDF16_PKPKDF16_EviT5_lT_lS4_lS5_liPT4_
		.amdhsa_group_segment_fixed_size 0
		.amdhsa_private_segment_fixed_size 0
		.amdhsa_kernarg_size 88
		.amdhsa_user_sgpr_count 2
		.amdhsa_user_sgpr_dispatch_ptr 0
		.amdhsa_user_sgpr_queue_ptr 0
		.amdhsa_user_sgpr_kernarg_segment_ptr 1
		.amdhsa_user_sgpr_dispatch_id 0
		.amdhsa_user_sgpr_kernarg_preload_length 0
		.amdhsa_user_sgpr_kernarg_preload_offset 0
		.amdhsa_user_sgpr_private_segment_size 0
		.amdhsa_wavefront_size32 1
		.amdhsa_uses_dynamic_stack 0
		.amdhsa_enable_private_segment 0
		.amdhsa_system_sgpr_workgroup_id_x 1
		.amdhsa_system_sgpr_workgroup_id_y 0
		.amdhsa_system_sgpr_workgroup_id_z 0
		.amdhsa_system_sgpr_workgroup_info 0
		.amdhsa_system_vgpr_workitem_id 1
		.amdhsa_next_free_vgpr 12
		.amdhsa_next_free_sgpr 16
		.amdhsa_named_barrier_count 0
		.amdhsa_reserve_vcc 1
		.amdhsa_float_round_mode_32 0
		.amdhsa_float_round_mode_16_64 0
		.amdhsa_float_denorm_mode_32 3
		.amdhsa_float_denorm_mode_16_64 3
		.amdhsa_fp16_overflow 0
		.amdhsa_memory_ordered 1
		.amdhsa_forward_progress 1
		.amdhsa_inst_pref_size 6
		.amdhsa_round_robin_scheduling 0
		.amdhsa_exception_fp_ieee_invalid_op 0
		.amdhsa_exception_fp_denorm_src 0
		.amdhsa_exception_fp_ieee_div_zero 0
		.amdhsa_exception_fp_ieee_overflow 0
		.amdhsa_exception_fp_ieee_underflow 0
		.amdhsa_exception_fp_ieee_inexact 0
		.amdhsa_exception_int_div_zero 0
	.end_amdhsa_kernel
	.section	.text._ZL28rocblas_dot_batched_4_kernelIiLi64ELi4ELb0EfDF16_PKPKDF16_EviT5_lT_lS4_lS5_liPT4_,"axG",@progbits,_ZL28rocblas_dot_batched_4_kernelIiLi64ELi4ELb0EfDF16_PKPKDF16_EviT5_lT_lS4_lS5_liPT4_,comdat
.Lfunc_end148:
	.size	_ZL28rocblas_dot_batched_4_kernelIiLi64ELi4ELb0EfDF16_PKPKDF16_EviT5_lT_lS4_lS5_liPT4_, .Lfunc_end148-_ZL28rocblas_dot_batched_4_kernelIiLi64ELi4ELb0EfDF16_PKPKDF16_EviT5_lT_lS4_lS5_liPT4_
                                        ; -- End function
	.set _ZL28rocblas_dot_batched_4_kernelIiLi64ELi4ELb0EfDF16_PKPKDF16_EviT5_lT_lS4_lS5_liPT4_.num_vgpr, 12
	.set _ZL28rocblas_dot_batched_4_kernelIiLi64ELi4ELb0EfDF16_PKPKDF16_EviT5_lT_lS4_lS5_liPT4_.num_agpr, 0
	.set _ZL28rocblas_dot_batched_4_kernelIiLi64ELi4ELb0EfDF16_PKPKDF16_EviT5_lT_lS4_lS5_liPT4_.numbered_sgpr, 16
	.set _ZL28rocblas_dot_batched_4_kernelIiLi64ELi4ELb0EfDF16_PKPKDF16_EviT5_lT_lS4_lS5_liPT4_.num_named_barrier, 0
	.set _ZL28rocblas_dot_batched_4_kernelIiLi64ELi4ELb0EfDF16_PKPKDF16_EviT5_lT_lS4_lS5_liPT4_.private_seg_size, 0
	.set _ZL28rocblas_dot_batched_4_kernelIiLi64ELi4ELb0EfDF16_PKPKDF16_EviT5_lT_lS4_lS5_liPT4_.uses_vcc, 1
	.set _ZL28rocblas_dot_batched_4_kernelIiLi64ELi4ELb0EfDF16_PKPKDF16_EviT5_lT_lS4_lS5_liPT4_.uses_flat_scratch, 0
	.set _ZL28rocblas_dot_batched_4_kernelIiLi64ELi4ELb0EfDF16_PKPKDF16_EviT5_lT_lS4_lS5_liPT4_.has_dyn_sized_stack, 0
	.set _ZL28rocblas_dot_batched_4_kernelIiLi64ELi4ELb0EfDF16_PKPKDF16_EviT5_lT_lS4_lS5_liPT4_.has_recursion, 0
	.set _ZL28rocblas_dot_batched_4_kernelIiLi64ELi4ELb0EfDF16_PKPKDF16_EviT5_lT_lS4_lS5_liPT4_.has_indirect_call, 0
	.section	.AMDGPU.csdata,"",@progbits
; Kernel info:
; codeLenInByte = 652
; TotalNumSgprs: 18
; NumVgprs: 12
; ScratchSize: 0
; MemoryBound: 0
; FloatMode: 240
; IeeeMode: 1
; LDSByteSize: 0 bytes/workgroup (compile time only)
; SGPRBlocks: 0
; VGPRBlocks: 0
; NumSGPRsForWavesPerEU: 18
; NumVGPRsForWavesPerEU: 12
; NamedBarCnt: 0
; Occupancy: 16
; WaveLimiterHint : 0
; COMPUTE_PGM_RSRC2:SCRATCH_EN: 0
; COMPUTE_PGM_RSRC2:USER_SGPR: 2
; COMPUTE_PGM_RSRC2:TRAP_HANDLER: 0
; COMPUTE_PGM_RSRC2:TGID_X_EN: 1
; COMPUTE_PGM_RSRC2:TGID_Y_EN: 0
; COMPUTE_PGM_RSRC2:TGID_Z_EN: 0
; COMPUTE_PGM_RSRC2:TIDIG_COMP_CNT: 1
	.section	.text._ZL26rocblas_dot_kernel_inc1by2ILb1ELi1024ELi32ELb0EDF16_PKPKDF16_fEviT4_llS4_lliPT5_PT3_,"axG",@progbits,_ZL26rocblas_dot_kernel_inc1by2ILb1ELi1024ELi32ELb0EDF16_PKPKDF16_fEviT4_llS4_lliPT5_PT3_,comdat
	.globl	_ZL26rocblas_dot_kernel_inc1by2ILb1ELi1024ELi32ELb0EDF16_PKPKDF16_fEviT4_llS4_lliPT5_PT3_ ; -- Begin function _ZL26rocblas_dot_kernel_inc1by2ILb1ELi1024ELi32ELb0EDF16_PKPKDF16_fEviT4_llS4_lliPT5_PT3_
	.p2align	8
	.type	_ZL26rocblas_dot_kernel_inc1by2ILb1ELi1024ELi32ELb0EDF16_PKPKDF16_fEviT4_llS4_lliPT5_PT3_,@function
_ZL26rocblas_dot_kernel_inc1by2ILb1ELi1024ELi32ELb0EDF16_PKPKDF16_fEviT4_llS4_lliPT5_PT3_: ; @_ZL26rocblas_dot_kernel_inc1by2ILb1ELi1024ELi32ELb0EDF16_PKPKDF16_fEviT4_llS4_lliPT5_PT3_
; %bb.0:
	s_load_b32 s3, s[0:1], 0x38
	s_bfe_u32 s2, ttmp6, 0x40014
	s_lshr_b32 s4, ttmp7, 16
	s_add_co_i32 s2, s2, 1
	s_bfe_u32 s5, ttmp6, 0x40008
	s_mul_i32 s2, s4, s2
	s_getreg_b32 s6, hwreg(HW_REG_IB_STS2, 6, 4)
	s_add_co_i32 s5, s5, s2
	s_cmp_eq_u32 s6, 0
	s_mov_b32 s13, 0
	s_cselect_b32 s12, s4, s5
	s_wait_kmcnt 0x0
	s_cmp_ge_u32 s12, s3
	s_cbranch_scc1 .LBB149_19
; %bb.1:
	v_mbcnt_lo_u32_b32 v2, -1, 0
	s_clause 0x3
	s_load_b32 s16, s[0:1], 0x0
	s_load_b128 s[4:7], s[0:1], 0x8
	s_load_b64 s[14:15], s[0:1], 0x48
	s_load_b128 s[8:11], s[0:1], 0x20
	v_dual_lshrrev_b32 v3, 3, v0 :: v_dual_bitop2_b32 v1, 31, v0 bitop3:0x40
	s_wait_xcnt 0x0
	v_cmp_gt_u32_e64 s0, 24, v2
	v_lshl_or_b32 v7, v2, 2, 64
	v_cmp_eq_u32_e64 s1, 0, v0
	v_mov_b32_e32 v13, 0
	v_and_b32_e32 v12, 0x7c, v3
	v_cndmask_b32_e64 v4, 0, 8, s0
	v_cmp_gt_u32_e64 s0, 28, v2
	v_cmp_gt_u32_e32 vcc_lo, 32, v0
	s_delay_alu instid0(VALU_DEP_3) | instskip(NEXT) | instid1(VALU_DEP_3)
	v_add_lshl_u32 v8, v4, v2, 2
	v_cndmask_b32_e64 v5, 0, 4, s0
	v_cmp_gt_u32_e64 s0, 30, v2
	s_wait_kmcnt 0x0
	s_ashr_i32 s17, s16, 31
	s_add_co_i32 s22, s16, -1
	v_cndmask_b32_e64 v10, 0, 2, s0
	v_cmp_ne_u32_e64 s0, 31, v2
	v_add_lshl_u32 v9, v5, v2, 2
	s_bitcmp1_b32 s16, 0
	v_add_lshl_u32 v10, v10, v2, 2
	v_add_co_ci_u32_e64 v11, null, 0, v2, s0
	v_lshlrev_b32_e32 v6, 2, v1
	v_cmp_eq_u32_e64 s0, 0, v1
	s_cselect_b32 s23, -1, 0
	v_lshlrev_b32_e32 v11, 2, v11
	s_lshl_b64 s[6:7], s[6:7], 1
	s_lshl_b64 s[10:11], s[10:11], 1
	;; [unrolled: 1-line block ×3, first 2 shown]
	s_branch .LBB149_3
.LBB149_2:                              ;   in Loop: Header=BB149_3 Depth=1
	s_wait_xcnt 0x0
	s_or_b32 exec_lo, exec_lo, s2
	s_add_co_i32 s12, s12, 0x10000
	s_delay_alu instid0(SALU_CYCLE_1)
	s_cmp_lt_u32 s12, s3
	s_cbranch_scc0 .LBB149_19
.LBB149_3:                              ; =>This Loop Header: Depth=1
                                        ;     Child Loop BB149_5 Depth 2
	s_load_b64 s[18:19], s[4:5], s12 offset:0x0 scale_offset
	s_load_b64 s[20:21], s[8:9], s12 offset:0x0 scale_offset
	s_wait_dscnt 0x0
	v_dual_mov_b32 v1, 0 :: v_dual_lshlrev_b32 v0, 1, v0
	s_mov_b32 s24, exec_lo
	s_wait_kmcnt 0x0
	s_add_nc_u64 s[18:19], s[18:19], s[6:7]
	s_add_nc_u64 s[20:21], s[20:21], s[10:11]
	v_cmpx_gt_i32_e64 s22, v0
	s_cbranch_execz .LBB149_7
; %bb.4:                                ;   in Loop: Header=BB149_3 Depth=1
	v_ashrrev_i32_e32 v1, 31, v0
	s_mov_b32 s25, 0
	s_mov_b32 s2, 0
	s_delay_alu instid0(VALU_DEP_1) | instskip(SKIP_1) | instid1(VALU_DEP_2)
	v_lshlrev_b64_e32 v[4:5], 1, v[0:1]
	v_mov_b32_e32 v1, 0
	v_add_nc_u64_e32 v[2:3], s[18:19], v[4:5]
	v_add_nc_u64_e32 v[4:5], s[20:21], v[4:5]
.LBB149_5:                              ;   Parent Loop BB149_3 Depth=1
                                        ; =>  This Inner Loop Header: Depth=2
	flat_load_b32 v14, v[4:5]
	flat_load_b32 v15, v[2:3]
	s_add_co_i32 s26, s2, 1
	s_cmp_gt_u32 s2, 30
	s_wait_xcnt 0x0
	v_add_nc_u64_e32 v[2:3], 0x1000, v[2:3]
	s_cselect_b32 s27, -1, 0
	v_add_nc_u64_e32 v[4:5], 0x1000, v[4:5]
	s_wait_loadcnt_dscnt 0x0
	v_dual_lshrrev_b32 v17, 16, v14 :: v_dual_lshrrev_b32 v18, 16, v15
	v_cvt_f32_f16_e32 v14, v14
	v_cvt_f32_f16_e32 v16, v15
	s_delay_alu instid0(VALU_DEP_3) | instskip(NEXT) | instid1(VALU_DEP_4)
	v_cvt_f32_f16_e32 v15, v17
	v_cvt_f32_f16_e32 v17, v18
	s_delay_alu instid0(VALU_DEP_1) | instskip(NEXT) | instid1(VALU_DEP_1)
	v_pk_mul_f32 v[14:15], v[14:15], v[16:17]
	v_dual_add_f32 v1, v1, v14 :: v_dual_add_nc_u32 v0, 0x800, v0
	s_delay_alu instid0(VALU_DEP_1) | instskip(NEXT) | instid1(VALU_DEP_2)
	v_cmp_le_i32_e64 s2, s22, v0
	v_add_f32_e32 v1, v1, v15
	s_or_b32 s2, s27, s2
	s_delay_alu instid0(SALU_CYCLE_1) | instskip(NEXT) | instid1(SALU_CYCLE_1)
	s_and_b32 s2, exec_lo, s2
	s_or_b32 s25, s2, s25
	s_mov_b32 s2, s26
	s_and_not1_b32 exec_lo, exec_lo, s25
	s_cbranch_execnz .LBB149_5
; %bb.6:                                ;   in Loop: Header=BB149_3 Depth=1
	s_or_b32 exec_lo, exec_lo, s25
.LBB149_7:                              ;   in Loop: Header=BB149_3 Depth=1
	s_delay_alu instid0(SALU_CYCLE_1) | instskip(SKIP_2) | instid1(SALU_CYCLE_1)
	s_or_b32 exec_lo, exec_lo, s24
	v_cmp_eq_u32_e64 s2, s22, v0
	s_and_b32 s24, s23, s2
	s_and_saveexec_b32 s2, s24
	s_cbranch_execz .LBB149_9
; %bb.8:                                ;   in Loop: Header=BB149_3 Depth=1
	s_add_nc_u64 s[20:21], s[20:21], s[16:17]
	s_add_nc_u64 s[18:19], s[18:19], s[16:17]
	s_clause 0x1
	flat_load_u16 v2, v13, s[20:21] offset:-2
	flat_load_u16 v3, v13, s[18:19] offset:-2
	s_wait_loadcnt_dscnt 0x0
	v_fma_mix_f32 v1, v2, v3, v1 op_sel_hi:[1,1,0]
.LBB149_9:                              ;   in Loop: Header=BB149_3 Depth=1
	s_wait_xcnt 0x0
	s_or_b32 exec_lo, exec_lo, s2
	s_and_saveexec_b32 s2, vcc_lo
; %bb.10:                               ;   in Loop: Header=BB149_3 Depth=1
	ds_store_b32 v6, v13
; %bb.11:                               ;   in Loop: Header=BB149_3 Depth=1
	s_or_b32 exec_lo, exec_lo, s2
	ds_bpermute_b32 v2, v7, v1
	s_wait_dscnt 0x0
	s_barrier_signal -1
	s_barrier_wait -1
	v_add_f32_e32 v1, v1, v2
	ds_bpermute_b32 v2, v8, v1
	s_wait_dscnt 0x0
	v_add_f32_e32 v1, v1, v2
	ds_bpermute_b32 v2, v9, v1
	s_wait_dscnt 0x0
	;; [unrolled: 3-line block ×3, first 2 shown]
	v_add_f32_e32 v1, v1, v2
	ds_bpermute_b32 v2, v11, v1
	s_and_saveexec_b32 s2, s0
	s_cbranch_execz .LBB149_13
; %bb.12:                               ;   in Loop: Header=BB149_3 Depth=1
	s_wait_dscnt 0x0
	v_add_f32_e32 v1, v1, v2
	ds_store_b32 v12, v1
.LBB149_13:                             ;   in Loop: Header=BB149_3 Depth=1
	s_or_b32 exec_lo, exec_lo, s2
	v_mov_b32_e32 v1, 0
	s_wait_dscnt 0x0
	s_barrier_signal -1
	s_barrier_wait -1
	s_and_saveexec_b32 s2, vcc_lo
	s_cbranch_execnz .LBB149_16
; %bb.14:                               ;   in Loop: Header=BB149_3 Depth=1
	s_or_b32 exec_lo, exec_lo, s2
	s_and_saveexec_b32 s2, vcc_lo
	s_cbranch_execnz .LBB149_17
.LBB149_15:                             ;   in Loop: Header=BB149_3 Depth=1
	s_or_b32 exec_lo, exec_lo, s2
	s_and_saveexec_b32 s2, s1
	s_cbranch_execz .LBB149_2
	s_branch .LBB149_18
.LBB149_16:                             ;   in Loop: Header=BB149_3 Depth=1
	ds_load_b32 v1, v6
	s_or_b32 exec_lo, exec_lo, s2
	s_and_saveexec_b32 s2, vcc_lo
	s_cbranch_execz .LBB149_15
.LBB149_17:                             ;   in Loop: Header=BB149_3 Depth=1
	s_wait_dscnt 0x0
	ds_bpermute_b32 v2, v7, v1
	s_wait_dscnt 0x0
	v_add_f32_e32 v1, v1, v2
	ds_bpermute_b32 v2, v8, v1
	s_wait_dscnt 0x0
	v_add_f32_e32 v1, v1, v2
	;; [unrolled: 3-line block ×5, first 2 shown]
	s_or_b32 exec_lo, exec_lo, s2
	s_and_saveexec_b32 s2, s1
	s_cbranch_execz .LBB149_2
.LBB149_18:                             ;   in Loop: Header=BB149_3 Depth=1
	s_wait_dscnt 0x0
	v_cvt_f16_f32_e32 v1, v1
	s_lshl_b64 s[18:19], s[12:13], 1
	s_delay_alu instid0(SALU_CYCLE_1)
	s_add_nc_u64 s[18:19], s[14:15], s[18:19]
	global_store_b16 v13, v1, s[18:19]
	s_branch .LBB149_2
.LBB149_19:
	s_endpgm
	.section	.rodata,"a",@progbits
	.p2align	6, 0x0
	.amdhsa_kernel _ZL26rocblas_dot_kernel_inc1by2ILb1ELi1024ELi32ELb0EDF16_PKPKDF16_fEviT4_llS4_lliPT5_PT3_
		.amdhsa_group_segment_fixed_size 128
		.amdhsa_private_segment_fixed_size 0
		.amdhsa_kernarg_size 80
		.amdhsa_user_sgpr_count 2
		.amdhsa_user_sgpr_dispatch_ptr 0
		.amdhsa_user_sgpr_queue_ptr 0
		.amdhsa_user_sgpr_kernarg_segment_ptr 1
		.amdhsa_user_sgpr_dispatch_id 0
		.amdhsa_user_sgpr_kernarg_preload_length 0
		.amdhsa_user_sgpr_kernarg_preload_offset 0
		.amdhsa_user_sgpr_private_segment_size 0
		.amdhsa_wavefront_size32 1
		.amdhsa_uses_dynamic_stack 0
		.amdhsa_enable_private_segment 0
		.amdhsa_system_sgpr_workgroup_id_x 1
		.amdhsa_system_sgpr_workgroup_id_y 0
		.amdhsa_system_sgpr_workgroup_id_z 1
		.amdhsa_system_sgpr_workgroup_info 0
		.amdhsa_system_vgpr_workitem_id 0
		.amdhsa_next_free_vgpr 19
		.amdhsa_next_free_sgpr 28
		.amdhsa_named_barrier_count 0
		.amdhsa_reserve_vcc 1
		.amdhsa_float_round_mode_32 0
		.amdhsa_float_round_mode_16_64 0
		.amdhsa_float_denorm_mode_32 3
		.amdhsa_float_denorm_mode_16_64 3
		.amdhsa_fp16_overflow 0
		.amdhsa_memory_ordered 1
		.amdhsa_forward_progress 1
		.amdhsa_inst_pref_size 8
		.amdhsa_round_robin_scheduling 0
		.amdhsa_exception_fp_ieee_invalid_op 0
		.amdhsa_exception_fp_denorm_src 0
		.amdhsa_exception_fp_ieee_div_zero 0
		.amdhsa_exception_fp_ieee_overflow 0
		.amdhsa_exception_fp_ieee_underflow 0
		.amdhsa_exception_fp_ieee_inexact 0
		.amdhsa_exception_int_div_zero 0
	.end_amdhsa_kernel
	.section	.text._ZL26rocblas_dot_kernel_inc1by2ILb1ELi1024ELi32ELb0EDF16_PKPKDF16_fEviT4_llS4_lliPT5_PT3_,"axG",@progbits,_ZL26rocblas_dot_kernel_inc1by2ILb1ELi1024ELi32ELb0EDF16_PKPKDF16_fEviT4_llS4_lliPT5_PT3_,comdat
.Lfunc_end149:
	.size	_ZL26rocblas_dot_kernel_inc1by2ILb1ELi1024ELi32ELb0EDF16_PKPKDF16_fEviT4_llS4_lliPT5_PT3_, .Lfunc_end149-_ZL26rocblas_dot_kernel_inc1by2ILb1ELi1024ELi32ELb0EDF16_PKPKDF16_fEviT4_llS4_lliPT5_PT3_
                                        ; -- End function
	.set _ZL26rocblas_dot_kernel_inc1by2ILb1ELi1024ELi32ELb0EDF16_PKPKDF16_fEviT4_llS4_lliPT5_PT3_.num_vgpr, 19
	.set _ZL26rocblas_dot_kernel_inc1by2ILb1ELi1024ELi32ELb0EDF16_PKPKDF16_fEviT4_llS4_lliPT5_PT3_.num_agpr, 0
	.set _ZL26rocblas_dot_kernel_inc1by2ILb1ELi1024ELi32ELb0EDF16_PKPKDF16_fEviT4_llS4_lliPT5_PT3_.numbered_sgpr, 28
	.set _ZL26rocblas_dot_kernel_inc1by2ILb1ELi1024ELi32ELb0EDF16_PKPKDF16_fEviT4_llS4_lliPT5_PT3_.num_named_barrier, 0
	.set _ZL26rocblas_dot_kernel_inc1by2ILb1ELi1024ELi32ELb0EDF16_PKPKDF16_fEviT4_llS4_lliPT5_PT3_.private_seg_size, 0
	.set _ZL26rocblas_dot_kernel_inc1by2ILb1ELi1024ELi32ELb0EDF16_PKPKDF16_fEviT4_llS4_lliPT5_PT3_.uses_vcc, 1
	.set _ZL26rocblas_dot_kernel_inc1by2ILb1ELi1024ELi32ELb0EDF16_PKPKDF16_fEviT4_llS4_lliPT5_PT3_.uses_flat_scratch, 1
	.set _ZL26rocblas_dot_kernel_inc1by2ILb1ELi1024ELi32ELb0EDF16_PKPKDF16_fEviT4_llS4_lliPT5_PT3_.has_dyn_sized_stack, 0
	.set _ZL26rocblas_dot_kernel_inc1by2ILb1ELi1024ELi32ELb0EDF16_PKPKDF16_fEviT4_llS4_lliPT5_PT3_.has_recursion, 0
	.set _ZL26rocblas_dot_kernel_inc1by2ILb1ELi1024ELi32ELb0EDF16_PKPKDF16_fEviT4_llS4_lliPT5_PT3_.has_indirect_call, 0
	.section	.AMDGPU.csdata,"",@progbits
; Kernel info:
; codeLenInByte = 1000
; TotalNumSgprs: 30
; NumVgprs: 19
; ScratchSize: 0
; MemoryBound: 0
; FloatMode: 240
; IeeeMode: 1
; LDSByteSize: 128 bytes/workgroup (compile time only)
; SGPRBlocks: 0
; VGPRBlocks: 1
; NumSGPRsForWavesPerEU: 30
; NumVGPRsForWavesPerEU: 19
; NamedBarCnt: 0
; Occupancy: 16
; WaveLimiterHint : 1
; COMPUTE_PGM_RSRC2:SCRATCH_EN: 0
; COMPUTE_PGM_RSRC2:USER_SGPR: 2
; COMPUTE_PGM_RSRC2:TRAP_HANDLER: 0
; COMPUTE_PGM_RSRC2:TGID_X_EN: 1
; COMPUTE_PGM_RSRC2:TGID_Y_EN: 0
; COMPUTE_PGM_RSRC2:TGID_Z_EN: 1
; COMPUTE_PGM_RSRC2:TIDIG_COMP_CNT: 0
	.section	.text._ZL18rocblas_dot_kernelIiLb1ELi1024ELi32ELb0EDF16_PKPKDF16_fEviT5_lT_lS4_lS5_liPT6_PT4_,"axG",@progbits,_ZL18rocblas_dot_kernelIiLb1ELi1024ELi32ELb0EDF16_PKPKDF16_fEviT5_lT_lS4_lS5_liPT6_PT4_,comdat
	.globl	_ZL18rocblas_dot_kernelIiLb1ELi1024ELi32ELb0EDF16_PKPKDF16_fEviT5_lT_lS4_lS5_liPT6_PT4_ ; -- Begin function _ZL18rocblas_dot_kernelIiLb1ELi1024ELi32ELb0EDF16_PKPKDF16_fEviT5_lT_lS4_lS5_liPT6_PT4_
	.p2align	8
	.type	_ZL18rocblas_dot_kernelIiLb1ELi1024ELi32ELb0EDF16_PKPKDF16_fEviT5_lT_lS4_lS5_liPT6_PT4_,@function
_ZL18rocblas_dot_kernelIiLb1ELi1024ELi32ELb0EDF16_PKPKDF16_fEviT5_lT_lS4_lS5_liPT6_PT4_: ; @_ZL18rocblas_dot_kernelIiLb1ELi1024ELi32ELb0EDF16_PKPKDF16_fEviT5_lT_lS4_lS5_liPT6_PT4_
; %bb.0:
	s_load_b32 s3, s[0:1], 0x48
	s_bfe_u32 s2, ttmp6, 0x40014
	s_lshr_b32 s4, ttmp7, 16
	s_add_co_i32 s2, s2, 1
	s_bfe_u32 s5, ttmp6, 0x40008
	s_mul_i32 s2, s4, s2
	s_getreg_b32 s6, hwreg(HW_REG_IB_STS2, 6, 4)
	s_add_co_i32 s5, s5, s2
	s_cmp_eq_u32 s6, 0
	s_mov_b32 s17, 0
	s_cselect_b32 s16, s4, s5
	s_wait_kmcnt 0x0
	s_cmp_ge_u32 s16, s3
	s_cbranch_scc1 .LBB150_17
; %bb.1:
	v_mbcnt_lo_u32_b32 v3, -1, 0
	s_clause 0x5
	s_load_b32 s18, s[0:1], 0x18
	s_load_b32 s22, s[0:1], 0x38
	s_load_b96 s[12:14], s[0:1], 0x58
	s_load_b128 s[4:7], s[0:1], 0x28
	s_load_b128 s[8:11], s[0:1], 0x8
	s_load_b32 s26, s[0:1], 0x0
	v_and_b32_e32 v2, 31, v0
	s_wait_xcnt 0x0
	v_cmp_eq_u32_e64 s1, 0, v0
	v_cmp_gt_u32_e64 s0, 24, v3
	v_lshl_or_b32 v6, v3, 2, 64
	v_cmp_gt_u32_e32 vcc_lo, 32, v0
	v_mov_b32_e32 v12, 0
	s_delay_alu instid0(VALU_DEP_4) | instskip(SKIP_1) | instid1(VALU_DEP_2)
	v_cndmask_b32_e64 v4, 0, 8, s0
	v_cmp_gt_u32_e64 s0, 28, v3
	v_add_lshl_u32 v7, v4, v3, 2
	s_delay_alu instid0(VALU_DEP_2)
	v_cndmask_b32_e64 v5, 0, 4, s0
	v_cmp_gt_u32_e64 s0, 30, v3
	v_lshrrev_b32_e32 v4, 3, v0
	s_wait_kmcnt 0x0
	s_ashr_i32 s19, s18, 31
	s_lshl_b32 s14, s14, 10
	s_ashr_i32 s23, s22, 31
	v_cndmask_b32_e64 v9, 0, 2, s0
	v_cmp_ne_u32_e64 s0, 31, v3
	s_ashr_i32 s15, s14, 31
	v_lshlrev_b32_e32 v1, 2, v2
	v_add_lshl_u32 v8, v5, v3, 2
	v_add_lshl_u32 v9, v9, v3, 2
	v_add_co_ci_u32_e64 v10, null, 0, v3, s0
	v_cmp_eq_u32_e64 s0, 0, v2
	v_and_b32_e32 v11, 0x7c, v4
	s_mul_u64 s[20:21], s[18:19], s[14:15]
	v_lshlrev_b32_e32 v10, 2, v10
	s_mul_u64 s[24:25], s[22:23], s[14:15]
	s_lshl_b64 s[10:11], s[10:11], 1
	s_lshl_b64 s[18:19], s[18:19], 1
	;; [unrolled: 1-line block ×6, first 2 shown]
	s_branch .LBB150_3
.LBB150_2:                              ;   in Loop: Header=BB150_3 Depth=1
	s_wait_xcnt 0x0
	s_or_b32 exec_lo, exec_lo, s2
	s_add_co_i32 s16, s16, 0x10000
	s_delay_alu instid0(SALU_CYCLE_1)
	s_cmp_lt_u32 s16, s3
	s_cbranch_scc0 .LBB150_17
.LBB150_3:                              ; =>This Loop Header: Depth=1
                                        ;     Child Loop BB150_5 Depth 2
	v_mov_b32_e32 v13, 0
	s_mov_b32 s15, exec_lo
	v_cmpx_gt_i32_e64 s26, v0
	s_cbranch_execz .LBB150_7
; %bb.4:                                ;   in Loop: Header=BB150_3 Depth=1
	s_lshl_b64 s[28:29], s[16:17], 3
	v_ashrrev_i32_e32 v13, 31, v0
	s_add_nc_u64 s[30:31], s[8:9], s[28:29]
	s_add_nc_u64 s[28:29], s[4:5], s[28:29]
	s_load_b64 s[34:35], s[30:31], 0x0
	s_load_b64 s[36:37], s[28:29], 0x0
	s_mov_b32 s27, 0
	s_wait_kmcnt 0x0
	s_wait_xcnt 0x0
	s_add_nc_u64 s[28:29], s[34:35], s[10:11]
	s_add_nc_u64 s[30:31], s[36:37], s[6:7]
	s_wait_dscnt 0x0
	v_mad_nc_u64_u32 v[2:3], s18, v0, s[28:29]
	v_mad_nc_u64_u32 v[4:5], s22, v0, s[30:31]
	s_mov_b32 s28, 0
	s_delay_alu instid0(VALU_DEP_2) | instskip(NEXT) | instid1(VALU_DEP_2)
	v_mad_u32 v3, s19, v0, v3
	v_mad_u32 v5, s23, v0, v5
	s_delay_alu instid0(VALU_DEP_2) | instskip(NEXT) | instid1(VALU_DEP_2)
	v_mad_u32 v3, s18, v13, v3
	v_mad_u32 v5, s22, v13, v5
	v_mov_b32_e32 v13, 0
.LBB150_5:                              ;   Parent Loop BB150_3 Depth=1
                                        ; =>  This Inner Loop Header: Depth=2
	flat_load_u16 v14, v[4:5]
	flat_load_u16 v15, v[2:3]
	v_add_nc_u32_e32 v0, s14, v0
	s_add_co_i32 s29, s28, 1
	s_cmp_gt_u32 s28, 30
	s_wait_xcnt 0x0
	v_add_nc_u64_e32 v[2:3], s[20:21], v[2:3]
	s_cselect_b32 s28, -1, 0
	v_cmp_le_i32_e64 s2, s26, v0
	v_add_nc_u64_e32 v[4:5], s[24:25], v[4:5]
	s_or_b32 s2, s28, s2
	s_mov_b32 s28, s29
	s_and_b32 s2, exec_lo, s2
	s_delay_alu instid0(SALU_CYCLE_1)
	s_or_b32 s27, s2, s27
	s_wait_loadcnt_dscnt 0x0
	v_fma_mix_f32 v13, v14, v15, v13 op_sel_hi:[1,1,0]
	s_and_not1_b32 exec_lo, exec_lo, s27
	s_cbranch_execnz .LBB150_5
; %bb.6:                                ;   in Loop: Header=BB150_3 Depth=1
	s_or_b32 exec_lo, exec_lo, s27
.LBB150_7:                              ;   in Loop: Header=BB150_3 Depth=1
	s_delay_alu instid0(SALU_CYCLE_1)
	s_or_b32 exec_lo, exec_lo, s15
	s_and_saveexec_b32 s2, vcc_lo
; %bb.8:                                ;   in Loop: Header=BB150_3 Depth=1
	ds_store_b32 v1, v12
; %bb.9:                                ;   in Loop: Header=BB150_3 Depth=1
	s_or_b32 exec_lo, exec_lo, s2
	s_wait_dscnt 0x0
	ds_bpermute_b32 v2, v6, v13
	s_wait_dscnt 0x0
	s_barrier_signal -1
	s_barrier_wait -1
	v_add_f32_e32 v2, v13, v2
	ds_bpermute_b32 v3, v7, v2
	s_wait_dscnt 0x0
	v_add_f32_e32 v2, v2, v3
	ds_bpermute_b32 v3, v8, v2
	s_wait_dscnt 0x0
	;; [unrolled: 3-line block ×3, first 2 shown]
	v_add_f32_e32 v2, v2, v3
	ds_bpermute_b32 v3, v10, v2
	s_and_saveexec_b32 s2, s0
	s_cbranch_execz .LBB150_11
; %bb.10:                               ;   in Loop: Header=BB150_3 Depth=1
	s_wait_dscnt 0x0
	v_add_f32_e32 v2, v2, v3
	ds_store_b32 v11, v2
.LBB150_11:                             ;   in Loop: Header=BB150_3 Depth=1
	s_or_b32 exec_lo, exec_lo, s2
	v_mov_b32_e32 v2, 0
	s_wait_dscnt 0x0
	s_barrier_signal -1
	s_barrier_wait -1
	s_and_saveexec_b32 s2, vcc_lo
	s_cbranch_execnz .LBB150_14
; %bb.12:                               ;   in Loop: Header=BB150_3 Depth=1
	s_or_b32 exec_lo, exec_lo, s2
	s_and_saveexec_b32 s2, vcc_lo
	s_cbranch_execnz .LBB150_15
.LBB150_13:                             ;   in Loop: Header=BB150_3 Depth=1
	s_or_b32 exec_lo, exec_lo, s2
	s_and_saveexec_b32 s2, s1
	s_cbranch_execz .LBB150_2
	s_branch .LBB150_16
.LBB150_14:                             ;   in Loop: Header=BB150_3 Depth=1
	ds_load_b32 v2, v1
	s_or_b32 exec_lo, exec_lo, s2
	s_and_saveexec_b32 s2, vcc_lo
	s_cbranch_execz .LBB150_13
.LBB150_15:                             ;   in Loop: Header=BB150_3 Depth=1
	s_wait_dscnt 0x0
	ds_bpermute_b32 v3, v6, v2
	s_wait_dscnt 0x0
	v_add_f32_e32 v2, v2, v3
	ds_bpermute_b32 v3, v7, v2
	s_wait_dscnt 0x0
	v_add_f32_e32 v2, v2, v3
	;; [unrolled: 3-line block ×5, first 2 shown]
	s_or_b32 exec_lo, exec_lo, s2
	s_and_saveexec_b32 s2, s1
	s_cbranch_execz .LBB150_2
.LBB150_16:                             ;   in Loop: Header=BB150_3 Depth=1
	s_wait_dscnt 0x0
	v_cvt_f16_f32_e32 v2, v2
	s_lshl_b64 s[28:29], s[16:17], 1
	s_delay_alu instid0(SALU_CYCLE_1)
	s_add_nc_u64 s[28:29], s[12:13], s[28:29]
	global_store_b16 v12, v2, s[28:29]
	s_branch .LBB150_2
.LBB150_17:
	s_endpgm
	.section	.rodata,"a",@progbits
	.p2align	6, 0x0
	.amdhsa_kernel _ZL18rocblas_dot_kernelIiLb1ELi1024ELi32ELb0EDF16_PKPKDF16_fEviT5_lT_lS4_lS5_liPT6_PT4_
		.amdhsa_group_segment_fixed_size 128
		.amdhsa_private_segment_fixed_size 0
		.amdhsa_kernarg_size 352
		.amdhsa_user_sgpr_count 2
		.amdhsa_user_sgpr_dispatch_ptr 0
		.amdhsa_user_sgpr_queue_ptr 0
		.amdhsa_user_sgpr_kernarg_segment_ptr 1
		.amdhsa_user_sgpr_dispatch_id 0
		.amdhsa_user_sgpr_kernarg_preload_length 0
		.amdhsa_user_sgpr_kernarg_preload_offset 0
		.amdhsa_user_sgpr_private_segment_size 0
		.amdhsa_wavefront_size32 1
		.amdhsa_uses_dynamic_stack 0
		.amdhsa_enable_private_segment 0
		.amdhsa_system_sgpr_workgroup_id_x 1
		.amdhsa_system_sgpr_workgroup_id_y 0
		.amdhsa_system_sgpr_workgroup_id_z 1
		.amdhsa_system_sgpr_workgroup_info 0
		.amdhsa_system_vgpr_workitem_id 0
		.amdhsa_next_free_vgpr 16
		.amdhsa_next_free_sgpr 38
		.amdhsa_named_barrier_count 0
		.amdhsa_reserve_vcc 1
		.amdhsa_float_round_mode_32 0
		.amdhsa_float_round_mode_16_64 0
		.amdhsa_float_denorm_mode_32 3
		.amdhsa_float_denorm_mode_16_64 3
		.amdhsa_fp16_overflow 0
		.amdhsa_memory_ordered 1
		.amdhsa_forward_progress 1
		.amdhsa_inst_pref_size 8
		.amdhsa_round_robin_scheduling 0
		.amdhsa_exception_fp_ieee_invalid_op 0
		.amdhsa_exception_fp_denorm_src 0
		.amdhsa_exception_fp_ieee_div_zero 0
		.amdhsa_exception_fp_ieee_overflow 0
		.amdhsa_exception_fp_ieee_underflow 0
		.amdhsa_exception_fp_ieee_inexact 0
		.amdhsa_exception_int_div_zero 0
	.end_amdhsa_kernel
	.section	.text._ZL18rocblas_dot_kernelIiLb1ELi1024ELi32ELb0EDF16_PKPKDF16_fEviT5_lT_lS4_lS5_liPT6_PT4_,"axG",@progbits,_ZL18rocblas_dot_kernelIiLb1ELi1024ELi32ELb0EDF16_PKPKDF16_fEviT5_lT_lS4_lS5_liPT6_PT4_,comdat
.Lfunc_end150:
	.size	_ZL18rocblas_dot_kernelIiLb1ELi1024ELi32ELb0EDF16_PKPKDF16_fEviT5_lT_lS4_lS5_liPT6_PT4_, .Lfunc_end150-_ZL18rocblas_dot_kernelIiLb1ELi1024ELi32ELb0EDF16_PKPKDF16_fEviT5_lT_lS4_lS5_liPT6_PT4_
                                        ; -- End function
	.set _ZL18rocblas_dot_kernelIiLb1ELi1024ELi32ELb0EDF16_PKPKDF16_fEviT5_lT_lS4_lS5_liPT6_PT4_.num_vgpr, 16
	.set _ZL18rocblas_dot_kernelIiLb1ELi1024ELi32ELb0EDF16_PKPKDF16_fEviT5_lT_lS4_lS5_liPT6_PT4_.num_agpr, 0
	.set _ZL18rocblas_dot_kernelIiLb1ELi1024ELi32ELb0EDF16_PKPKDF16_fEviT5_lT_lS4_lS5_liPT6_PT4_.numbered_sgpr, 38
	.set _ZL18rocblas_dot_kernelIiLb1ELi1024ELi32ELb0EDF16_PKPKDF16_fEviT5_lT_lS4_lS5_liPT6_PT4_.num_named_barrier, 0
	.set _ZL18rocblas_dot_kernelIiLb1ELi1024ELi32ELb0EDF16_PKPKDF16_fEviT5_lT_lS4_lS5_liPT6_PT4_.private_seg_size, 0
	.set _ZL18rocblas_dot_kernelIiLb1ELi1024ELi32ELb0EDF16_PKPKDF16_fEviT5_lT_lS4_lS5_liPT6_PT4_.uses_vcc, 1
	.set _ZL18rocblas_dot_kernelIiLb1ELi1024ELi32ELb0EDF16_PKPKDF16_fEviT5_lT_lS4_lS5_liPT6_PT4_.uses_flat_scratch, 0
	.set _ZL18rocblas_dot_kernelIiLb1ELi1024ELi32ELb0EDF16_PKPKDF16_fEviT5_lT_lS4_lS5_liPT6_PT4_.has_dyn_sized_stack, 0
	.set _ZL18rocblas_dot_kernelIiLb1ELi1024ELi32ELb0EDF16_PKPKDF16_fEviT5_lT_lS4_lS5_liPT6_PT4_.has_recursion, 0
	.set _ZL18rocblas_dot_kernelIiLb1ELi1024ELi32ELb0EDF16_PKPKDF16_fEviT5_lT_lS4_lS5_liPT6_PT4_.has_indirect_call, 0
	.section	.AMDGPU.csdata,"",@progbits
; Kernel info:
; codeLenInByte = 956
; TotalNumSgprs: 40
; NumVgprs: 16
; ScratchSize: 0
; MemoryBound: 0
; FloatMode: 240
; IeeeMode: 1
; LDSByteSize: 128 bytes/workgroup (compile time only)
; SGPRBlocks: 0
; VGPRBlocks: 0
; NumSGPRsForWavesPerEU: 40
; NumVGPRsForWavesPerEU: 16
; NamedBarCnt: 0
; Occupancy: 16
; WaveLimiterHint : 0
; COMPUTE_PGM_RSRC2:SCRATCH_EN: 0
; COMPUTE_PGM_RSRC2:USER_SGPR: 2
; COMPUTE_PGM_RSRC2:TRAP_HANDLER: 0
; COMPUTE_PGM_RSRC2:TGID_X_EN: 1
; COMPUTE_PGM_RSRC2:TGID_Y_EN: 0
; COMPUTE_PGM_RSRC2:TGID_Z_EN: 1
; COMPUTE_PGM_RSRC2:TIDIG_COMP_CNT: 0
	.section	.text._ZL24rocblas_dot_kernel_magsqIiLb1ELi1024ELi32ELb0EDF16_PKPKDF16_fEviT5_lT_liPT6_PT4_,"axG",@progbits,_ZL24rocblas_dot_kernel_magsqIiLb1ELi1024ELi32ELb0EDF16_PKPKDF16_fEviT5_lT_liPT6_PT4_,comdat
	.globl	_ZL24rocblas_dot_kernel_magsqIiLb1ELi1024ELi32ELb0EDF16_PKPKDF16_fEviT5_lT_liPT6_PT4_ ; -- Begin function _ZL24rocblas_dot_kernel_magsqIiLb1ELi1024ELi32ELb0EDF16_PKPKDF16_fEviT5_lT_liPT6_PT4_
	.p2align	8
	.type	_ZL24rocblas_dot_kernel_magsqIiLb1ELi1024ELi32ELb0EDF16_PKPKDF16_fEviT5_lT_liPT6_PT4_,@function
_ZL24rocblas_dot_kernel_magsqIiLb1ELi1024ELi32ELb0EDF16_PKPKDF16_fEviT5_lT_liPT6_PT4_: ; @_ZL24rocblas_dot_kernel_magsqIiLb1ELi1024ELi32ELb0EDF16_PKPKDF16_fEviT5_lT_liPT6_PT4_
; %bb.0:
	s_load_b32 s3, s[0:1], 0x28
	s_bfe_u32 s2, ttmp6, 0x40014
	s_lshr_b32 s4, ttmp7, 16
	s_add_co_i32 s2, s2, 1
	s_bfe_u32 s5, ttmp6, 0x40008
	s_mul_i32 s2, s4, s2
	s_getreg_b32 s6, hwreg(HW_REG_IB_STS2, 6, 4)
	s_add_co_i32 s5, s5, s2
	s_cmp_eq_u32 s6, 0
	s_mov_b32 s13, 0
	s_cselect_b32 s12, s4, s5
	s_wait_kmcnt 0x0
	s_cmp_ge_u32 s12, s3
	s_cbranch_scc1 .LBB151_17
; %bb.1:
	v_mbcnt_lo_u32_b32 v3, -1, 0
	s_clause 0x3
	s_load_b32 s14, s[0:1], 0x18
	s_load_b96 s[8:10], s[0:1], 0x38
	s_load_b128 s[4:7], s[0:1], 0x8
	s_load_b32 s18, s[0:1], 0x0
	v_dual_lshrrev_b32 v9, 3, v0 :: v_dual_bitop2_b32 v2, 31, v0 bitop3:0x40
	s_wait_xcnt 0x0
	v_cmp_gt_u32_e64 s0, 24, v3
	v_lshl_or_b32 v4, v3, 2, 64
	v_cmp_eq_u32_e64 s1, 0, v0
	v_mov_b32_e32 v10, 0
	v_and_b32_e32 v9, 0x7c, v9
	v_cndmask_b32_e64 v5, 0, 8, s0
	v_cmp_gt_u32_e64 s0, 28, v3
	v_cmp_gt_u32_e32 vcc_lo, 32, v0
	s_delay_alu instid0(VALU_DEP_3) | instskip(NEXT) | instid1(VALU_DEP_3)
	v_add_lshl_u32 v5, v5, v3, 2
	v_cndmask_b32_e64 v6, 0, 4, s0
	v_cmp_gt_u32_e64 s0, 30, v3
	s_wait_kmcnt 0x0
	s_ashr_i32 s15, s14, 31
	s_lshl_b32 s10, s10, 10
	v_cndmask_b32_e64 v7, 0, 2, s0
	v_cmp_ne_u32_e64 s0, 31, v3
	s_ashr_i32 s11, s10, 31
	v_add_lshl_u32 v6, v6, v3, 2
	s_mul_u64 s[16:17], s[14:15], s[10:11]
	v_add_lshl_u32 v7, v7, v3, 2
	v_add_co_ci_u32_e64 v8, null, 0, v3, s0
	v_lshlrev_b32_e32 v1, 2, v2
	v_cmp_eq_u32_e64 s0, 0, v2
	s_lshl_b64 s[6:7], s[6:7], 1
	v_lshlrev_b32_e32 v8, 2, v8
	s_lshl_b64 s[14:15], s[14:15], 1
	s_lshl_b64 s[16:17], s[16:17], 1
	s_branch .LBB151_3
.LBB151_2:                              ;   in Loop: Header=BB151_3 Depth=1
	s_wait_xcnt 0x0
	s_or_b32 exec_lo, exec_lo, s2
	s_add_co_i32 s12, s12, 0x10000
	s_delay_alu instid0(SALU_CYCLE_1)
	s_cmp_lt_u32 s12, s3
	s_cbranch_scc0 .LBB151_17
.LBB151_3:                              ; =>This Loop Header: Depth=1
                                        ;     Child Loop BB151_5 Depth 2
	v_mov_b32_e32 v11, 0
	s_mov_b32 s11, exec_lo
	v_cmpx_gt_i32_e64 s18, v0
	s_cbranch_execz .LBB151_7
; %bb.4:                                ;   in Loop: Header=BB151_3 Depth=1
	s_lshl_b64 s[20:21], s[12:13], 3
	v_ashrrev_i32_e32 v11, 31, v0
	s_add_nc_u64 s[20:21], s[4:5], s[20:21]
	s_mov_b32 s19, 0
	s_load_b64 s[20:21], s[20:21], 0x0
	s_wait_kmcnt 0x0
	s_wait_xcnt 0x0
	s_add_nc_u64 s[20:21], s[20:21], s[6:7]
	s_wait_dscnt 0x0
	v_mad_nc_u64_u32 v[2:3], s14, v0, s[20:21]
	s_mov_b32 s20, 0
	s_delay_alu instid0(VALU_DEP_1) | instskip(NEXT) | instid1(VALU_DEP_1)
	v_mad_u32 v3, s15, v0, v3
	v_mad_u32 v3, s14, v11, v3
	v_mov_b32_e32 v11, 0
.LBB151_5:                              ;   Parent Loop BB151_3 Depth=1
                                        ; =>  This Inner Loop Header: Depth=2
	flat_load_u16 v12, v[2:3]
	v_add_nc_u32_e32 v0, s10, v0
	s_add_co_i32 s21, s20, 1
	s_cmp_gt_u32 s20, 30
	s_wait_xcnt 0x0
	v_add_nc_u64_e32 v[2:3], s[16:17], v[2:3]
	s_cselect_b32 s20, -1, 0
	v_cmp_le_i32_e64 s2, s18, v0
	s_or_b32 s2, s20, s2
	s_mov_b32 s20, s21
	s_and_b32 s2, exec_lo, s2
	s_delay_alu instid0(SALU_CYCLE_1)
	s_or_b32 s19, s2, s19
	s_wait_loadcnt_dscnt 0x0
	v_fma_mix_f32 v11, v12, v12, v11 op_sel_hi:[1,1,0]
	s_and_not1_b32 exec_lo, exec_lo, s19
	s_cbranch_execnz .LBB151_5
; %bb.6:                                ;   in Loop: Header=BB151_3 Depth=1
	s_or_b32 exec_lo, exec_lo, s19
.LBB151_7:                              ;   in Loop: Header=BB151_3 Depth=1
	s_delay_alu instid0(SALU_CYCLE_1)
	s_or_b32 exec_lo, exec_lo, s11
	s_and_saveexec_b32 s2, vcc_lo
; %bb.8:                                ;   in Loop: Header=BB151_3 Depth=1
	ds_store_b32 v1, v10
; %bb.9:                                ;   in Loop: Header=BB151_3 Depth=1
	s_or_b32 exec_lo, exec_lo, s2
	s_wait_dscnt 0x0
	ds_bpermute_b32 v2, v4, v11
	s_wait_dscnt 0x0
	s_barrier_signal -1
	s_barrier_wait -1
	v_add_f32_e32 v2, v11, v2
	ds_bpermute_b32 v3, v5, v2
	s_wait_dscnt 0x0
	v_add_f32_e32 v2, v2, v3
	ds_bpermute_b32 v3, v6, v2
	s_wait_dscnt 0x0
	;; [unrolled: 3-line block ×3, first 2 shown]
	v_add_f32_e32 v2, v2, v3
	ds_bpermute_b32 v3, v8, v2
	s_and_saveexec_b32 s2, s0
	s_cbranch_execz .LBB151_11
; %bb.10:                               ;   in Loop: Header=BB151_3 Depth=1
	s_wait_dscnt 0x0
	v_add_f32_e32 v2, v2, v3
	ds_store_b32 v9, v2
.LBB151_11:                             ;   in Loop: Header=BB151_3 Depth=1
	s_or_b32 exec_lo, exec_lo, s2
	v_mov_b32_e32 v2, 0
	s_wait_dscnt 0x0
	s_barrier_signal -1
	s_barrier_wait -1
	s_and_saveexec_b32 s2, vcc_lo
	s_cbranch_execnz .LBB151_14
; %bb.12:                               ;   in Loop: Header=BB151_3 Depth=1
	s_or_b32 exec_lo, exec_lo, s2
	s_and_saveexec_b32 s2, vcc_lo
	s_cbranch_execnz .LBB151_15
.LBB151_13:                             ;   in Loop: Header=BB151_3 Depth=1
	s_or_b32 exec_lo, exec_lo, s2
	s_and_saveexec_b32 s2, s1
	s_cbranch_execz .LBB151_2
	s_branch .LBB151_16
.LBB151_14:                             ;   in Loop: Header=BB151_3 Depth=1
	ds_load_b32 v2, v1
	s_or_b32 exec_lo, exec_lo, s2
	s_and_saveexec_b32 s2, vcc_lo
	s_cbranch_execz .LBB151_13
.LBB151_15:                             ;   in Loop: Header=BB151_3 Depth=1
	s_wait_dscnt 0x0
	ds_bpermute_b32 v3, v4, v2
	s_wait_dscnt 0x0
	v_add_f32_e32 v2, v2, v3
	ds_bpermute_b32 v3, v5, v2
	s_wait_dscnt 0x0
	v_add_f32_e32 v2, v2, v3
	;; [unrolled: 3-line block ×5, first 2 shown]
	s_or_b32 exec_lo, exec_lo, s2
	s_and_saveexec_b32 s2, s1
	s_cbranch_execz .LBB151_2
.LBB151_16:                             ;   in Loop: Header=BB151_3 Depth=1
	s_wait_dscnt 0x0
	v_cvt_f16_f32_e32 v2, v2
	s_lshl_b64 s[20:21], s[12:13], 1
	s_delay_alu instid0(SALU_CYCLE_1)
	s_add_nc_u64 s[20:21], s[8:9], s[20:21]
	global_store_b16 v10, v2, s[20:21]
	s_branch .LBB151_2
.LBB151_17:
	s_endpgm
	.section	.rodata,"a",@progbits
	.p2align	6, 0x0
	.amdhsa_kernel _ZL24rocblas_dot_kernel_magsqIiLb1ELi1024ELi32ELb0EDF16_PKPKDF16_fEviT5_lT_liPT6_PT4_
		.amdhsa_group_segment_fixed_size 128
		.amdhsa_private_segment_fixed_size 0
		.amdhsa_kernarg_size 320
		.amdhsa_user_sgpr_count 2
		.amdhsa_user_sgpr_dispatch_ptr 0
		.amdhsa_user_sgpr_queue_ptr 0
		.amdhsa_user_sgpr_kernarg_segment_ptr 1
		.amdhsa_user_sgpr_dispatch_id 0
		.amdhsa_user_sgpr_kernarg_preload_length 0
		.amdhsa_user_sgpr_kernarg_preload_offset 0
		.amdhsa_user_sgpr_private_segment_size 0
		.amdhsa_wavefront_size32 1
		.amdhsa_uses_dynamic_stack 0
		.amdhsa_enable_private_segment 0
		.amdhsa_system_sgpr_workgroup_id_x 1
		.amdhsa_system_sgpr_workgroup_id_y 0
		.amdhsa_system_sgpr_workgroup_id_z 1
		.amdhsa_system_sgpr_workgroup_info 0
		.amdhsa_system_vgpr_workitem_id 0
		.amdhsa_next_free_vgpr 13
		.amdhsa_next_free_sgpr 22
		.amdhsa_named_barrier_count 0
		.amdhsa_reserve_vcc 1
		.amdhsa_float_round_mode_32 0
		.amdhsa_float_round_mode_16_64 0
		.amdhsa_float_denorm_mode_32 3
		.amdhsa_float_denorm_mode_16_64 3
		.amdhsa_fp16_overflow 0
		.amdhsa_memory_ordered 1
		.amdhsa_forward_progress 1
		.amdhsa_inst_pref_size 7
		.amdhsa_round_robin_scheduling 0
		.amdhsa_exception_fp_ieee_invalid_op 0
		.amdhsa_exception_fp_denorm_src 0
		.amdhsa_exception_fp_ieee_div_zero 0
		.amdhsa_exception_fp_ieee_overflow 0
		.amdhsa_exception_fp_ieee_underflow 0
		.amdhsa_exception_fp_ieee_inexact 0
		.amdhsa_exception_int_div_zero 0
	.end_amdhsa_kernel
	.section	.text._ZL24rocblas_dot_kernel_magsqIiLb1ELi1024ELi32ELb0EDF16_PKPKDF16_fEviT5_lT_liPT6_PT4_,"axG",@progbits,_ZL24rocblas_dot_kernel_magsqIiLb1ELi1024ELi32ELb0EDF16_PKPKDF16_fEviT5_lT_liPT6_PT4_,comdat
.Lfunc_end151:
	.size	_ZL24rocblas_dot_kernel_magsqIiLb1ELi1024ELi32ELb0EDF16_PKPKDF16_fEviT5_lT_liPT6_PT4_, .Lfunc_end151-_ZL24rocblas_dot_kernel_magsqIiLb1ELi1024ELi32ELb0EDF16_PKPKDF16_fEviT5_lT_liPT6_PT4_
                                        ; -- End function
	.set _ZL24rocblas_dot_kernel_magsqIiLb1ELi1024ELi32ELb0EDF16_PKPKDF16_fEviT5_lT_liPT6_PT4_.num_vgpr, 13
	.set _ZL24rocblas_dot_kernel_magsqIiLb1ELi1024ELi32ELb0EDF16_PKPKDF16_fEviT5_lT_liPT6_PT4_.num_agpr, 0
	.set _ZL24rocblas_dot_kernel_magsqIiLb1ELi1024ELi32ELb0EDF16_PKPKDF16_fEviT5_lT_liPT6_PT4_.numbered_sgpr, 22
	.set _ZL24rocblas_dot_kernel_magsqIiLb1ELi1024ELi32ELb0EDF16_PKPKDF16_fEviT5_lT_liPT6_PT4_.num_named_barrier, 0
	.set _ZL24rocblas_dot_kernel_magsqIiLb1ELi1024ELi32ELb0EDF16_PKPKDF16_fEviT5_lT_liPT6_PT4_.private_seg_size, 0
	.set _ZL24rocblas_dot_kernel_magsqIiLb1ELi1024ELi32ELb0EDF16_PKPKDF16_fEviT5_lT_liPT6_PT4_.uses_vcc, 1
	.set _ZL24rocblas_dot_kernel_magsqIiLb1ELi1024ELi32ELb0EDF16_PKPKDF16_fEviT5_lT_liPT6_PT4_.uses_flat_scratch, 0
	.set _ZL24rocblas_dot_kernel_magsqIiLb1ELi1024ELi32ELb0EDF16_PKPKDF16_fEviT5_lT_liPT6_PT4_.has_dyn_sized_stack, 0
	.set _ZL24rocblas_dot_kernel_magsqIiLb1ELi1024ELi32ELb0EDF16_PKPKDF16_fEviT5_lT_liPT6_PT4_.has_recursion, 0
	.set _ZL24rocblas_dot_kernel_magsqIiLb1ELi1024ELi32ELb0EDF16_PKPKDF16_fEviT5_lT_liPT6_PT4_.has_indirect_call, 0
	.section	.AMDGPU.csdata,"",@progbits
; Kernel info:
; codeLenInByte = 860
; TotalNumSgprs: 24
; NumVgprs: 13
; ScratchSize: 0
; MemoryBound: 0
; FloatMode: 240
; IeeeMode: 1
; LDSByteSize: 128 bytes/workgroup (compile time only)
; SGPRBlocks: 0
; VGPRBlocks: 0
; NumSGPRsForWavesPerEU: 24
; NumVGPRsForWavesPerEU: 13
; NamedBarCnt: 0
; Occupancy: 16
; WaveLimiterHint : 0
; COMPUTE_PGM_RSRC2:SCRATCH_EN: 0
; COMPUTE_PGM_RSRC2:USER_SGPR: 2
; COMPUTE_PGM_RSRC2:TRAP_HANDLER: 0
; COMPUTE_PGM_RSRC2:TGID_X_EN: 1
; COMPUTE_PGM_RSRC2:TGID_Y_EN: 0
; COMPUTE_PGM_RSRC2:TGID_Z_EN: 1
; COMPUTE_PGM_RSRC2:TIDIG_COMP_CNT: 0
	.section	.text._ZL38rocblas_dot_kernel_gfx942_float_doubleIiLi1024EDF16_PKPKDF16_fEviT2_lT_lS4_lS5_lPT3_PT1_,"axG",@progbits,_ZL38rocblas_dot_kernel_gfx942_float_doubleIiLi1024EDF16_PKPKDF16_fEviT2_lT_lS4_lS5_lPT3_PT1_,comdat
	.globl	_ZL38rocblas_dot_kernel_gfx942_float_doubleIiLi1024EDF16_PKPKDF16_fEviT2_lT_lS4_lS5_lPT3_PT1_ ; -- Begin function _ZL38rocblas_dot_kernel_gfx942_float_doubleIiLi1024EDF16_PKPKDF16_fEviT2_lT_lS4_lS5_lPT3_PT1_
	.p2align	8
	.type	_ZL38rocblas_dot_kernel_gfx942_float_doubleIiLi1024EDF16_PKPKDF16_fEviT2_lT_lS4_lS5_lPT3_PT1_,@function
_ZL38rocblas_dot_kernel_gfx942_float_doubleIiLi1024EDF16_PKPKDF16_fEviT2_lT_lS4_lS5_lPT3_PT1_: ; @_ZL38rocblas_dot_kernel_gfx942_float_doubleIiLi1024EDF16_PKPKDF16_fEviT2_lT_lS4_lS5_lPT3_PT1_
; %bb.0:
	s_endpgm
	.section	.rodata,"a",@progbits
	.p2align	6, 0x0
	.amdhsa_kernel _ZL38rocblas_dot_kernel_gfx942_float_doubleIiLi1024EDF16_PKPKDF16_fEviT2_lT_lS4_lS5_lPT3_PT1_
		.amdhsa_group_segment_fixed_size 0
		.amdhsa_private_segment_fixed_size 0
		.amdhsa_kernarg_size 88
		.amdhsa_user_sgpr_count 2
		.amdhsa_user_sgpr_dispatch_ptr 0
		.amdhsa_user_sgpr_queue_ptr 0
		.amdhsa_user_sgpr_kernarg_segment_ptr 1
		.amdhsa_user_sgpr_dispatch_id 0
		.amdhsa_user_sgpr_kernarg_preload_length 0
		.amdhsa_user_sgpr_kernarg_preload_offset 0
		.amdhsa_user_sgpr_private_segment_size 0
		.amdhsa_wavefront_size32 1
		.amdhsa_uses_dynamic_stack 0
		.amdhsa_enable_private_segment 0
		.amdhsa_system_sgpr_workgroup_id_x 1
		.amdhsa_system_sgpr_workgroup_id_y 0
		.amdhsa_system_sgpr_workgroup_id_z 0
		.amdhsa_system_sgpr_workgroup_info 0
		.amdhsa_system_vgpr_workitem_id 0
		.amdhsa_next_free_vgpr 1
		.amdhsa_next_free_sgpr 1
		.amdhsa_named_barrier_count 0
		.amdhsa_reserve_vcc 0
		.amdhsa_float_round_mode_32 0
		.amdhsa_float_round_mode_16_64 0
		.amdhsa_float_denorm_mode_32 3
		.amdhsa_float_denorm_mode_16_64 3
		.amdhsa_fp16_overflow 0
		.amdhsa_memory_ordered 1
		.amdhsa_forward_progress 1
		.amdhsa_inst_pref_size 1
		.amdhsa_round_robin_scheduling 0
		.amdhsa_exception_fp_ieee_invalid_op 0
		.amdhsa_exception_fp_denorm_src 0
		.amdhsa_exception_fp_ieee_div_zero 0
		.amdhsa_exception_fp_ieee_overflow 0
		.amdhsa_exception_fp_ieee_underflow 0
		.amdhsa_exception_fp_ieee_inexact 0
		.amdhsa_exception_int_div_zero 0
	.end_amdhsa_kernel
	.section	.text._ZL38rocblas_dot_kernel_gfx942_float_doubleIiLi1024EDF16_PKPKDF16_fEviT2_lT_lS4_lS5_lPT3_PT1_,"axG",@progbits,_ZL38rocblas_dot_kernel_gfx942_float_doubleIiLi1024EDF16_PKPKDF16_fEviT2_lT_lS4_lS5_lPT3_PT1_,comdat
.Lfunc_end152:
	.size	_ZL38rocblas_dot_kernel_gfx942_float_doubleIiLi1024EDF16_PKPKDF16_fEviT2_lT_lS4_lS5_lPT3_PT1_, .Lfunc_end152-_ZL38rocblas_dot_kernel_gfx942_float_doubleIiLi1024EDF16_PKPKDF16_fEviT2_lT_lS4_lS5_lPT3_PT1_
                                        ; -- End function
	.set _ZL38rocblas_dot_kernel_gfx942_float_doubleIiLi1024EDF16_PKPKDF16_fEviT2_lT_lS4_lS5_lPT3_PT1_.num_vgpr, 0
	.set _ZL38rocblas_dot_kernel_gfx942_float_doubleIiLi1024EDF16_PKPKDF16_fEviT2_lT_lS4_lS5_lPT3_PT1_.num_agpr, 0
	.set _ZL38rocblas_dot_kernel_gfx942_float_doubleIiLi1024EDF16_PKPKDF16_fEviT2_lT_lS4_lS5_lPT3_PT1_.numbered_sgpr, 0
	.set _ZL38rocblas_dot_kernel_gfx942_float_doubleIiLi1024EDF16_PKPKDF16_fEviT2_lT_lS4_lS5_lPT3_PT1_.num_named_barrier, 0
	.set _ZL38rocblas_dot_kernel_gfx942_float_doubleIiLi1024EDF16_PKPKDF16_fEviT2_lT_lS4_lS5_lPT3_PT1_.private_seg_size, 0
	.set _ZL38rocblas_dot_kernel_gfx942_float_doubleIiLi1024EDF16_PKPKDF16_fEviT2_lT_lS4_lS5_lPT3_PT1_.uses_vcc, 0
	.set _ZL38rocblas_dot_kernel_gfx942_float_doubleIiLi1024EDF16_PKPKDF16_fEviT2_lT_lS4_lS5_lPT3_PT1_.uses_flat_scratch, 0
	.set _ZL38rocblas_dot_kernel_gfx942_float_doubleIiLi1024EDF16_PKPKDF16_fEviT2_lT_lS4_lS5_lPT3_PT1_.has_dyn_sized_stack, 0
	.set _ZL38rocblas_dot_kernel_gfx942_float_doubleIiLi1024EDF16_PKPKDF16_fEviT2_lT_lS4_lS5_lPT3_PT1_.has_recursion, 0
	.set _ZL38rocblas_dot_kernel_gfx942_float_doubleIiLi1024EDF16_PKPKDF16_fEviT2_lT_lS4_lS5_lPT3_PT1_.has_indirect_call, 0
	.section	.AMDGPU.csdata,"",@progbits
; Kernel info:
; codeLenInByte = 4
; TotalNumSgprs: 0
; NumVgprs: 0
; ScratchSize: 0
; MemoryBound: 0
; FloatMode: 240
; IeeeMode: 1
; LDSByteSize: 0 bytes/workgroup (compile time only)
; SGPRBlocks: 0
; VGPRBlocks: 0
; NumSGPRsForWavesPerEU: 1
; NumVGPRsForWavesPerEU: 1
; NamedBarCnt: 0
; Occupancy: 16
; WaveLimiterHint : 0
; COMPUTE_PGM_RSRC2:SCRATCH_EN: 0
; COMPUTE_PGM_RSRC2:USER_SGPR: 2
; COMPUTE_PGM_RSRC2:TRAP_HANDLER: 0
; COMPUTE_PGM_RSRC2:TGID_X_EN: 1
; COMPUTE_PGM_RSRC2:TGID_Y_EN: 0
; COMPUTE_PGM_RSRC2:TGID_Z_EN: 0
; COMPUTE_PGM_RSRC2:TIDIG_COMP_CNT: 0
	.section	.text._ZL23rocblas_dot_kernel_inc1ILb0ELi512ELi8ELb0EDF16_PKPKDF16_fEviT4_llS4_lliPT5_PT3_,"axG",@progbits,_ZL23rocblas_dot_kernel_inc1ILb0ELi512ELi8ELb0EDF16_PKPKDF16_fEviT4_llS4_lliPT5_PT3_,comdat
	.globl	_ZL23rocblas_dot_kernel_inc1ILb0ELi512ELi8ELb0EDF16_PKPKDF16_fEviT4_llS4_lliPT5_PT3_ ; -- Begin function _ZL23rocblas_dot_kernel_inc1ILb0ELi512ELi8ELb0EDF16_PKPKDF16_fEviT4_llS4_lliPT5_PT3_
	.p2align	8
	.type	_ZL23rocblas_dot_kernel_inc1ILb0ELi512ELi8ELb0EDF16_PKPKDF16_fEviT4_llS4_lliPT5_PT3_,@function
_ZL23rocblas_dot_kernel_inc1ILb0ELi512ELi8ELb0EDF16_PKPKDF16_fEviT4_llS4_lliPT5_PT3_: ; @_ZL23rocblas_dot_kernel_inc1ILb0ELi512ELi8ELb0EDF16_PKPKDF16_fEviT4_llS4_lliPT5_PT3_
; %bb.0:
	s_load_b32 s28, s[0:1], 0x38
	s_bfe_u32 s2, ttmp6, 0x40014
	s_lshr_b32 s3, ttmp7, 16
	s_add_co_i32 s2, s2, 1
	s_bfe_u32 s5, ttmp6, 0x40008
	s_mul_i32 s4, s3, s2
	s_getreg_b32 s2, hwreg(HW_REG_IB_STS2, 6, 4)
	s_add_co_i32 s5, s5, s4
	s_cmp_eq_u32 s2, 0
	s_mov_b32 s17, 0
	s_cselect_b32 s16, s3, s5
	s_wait_kmcnt 0x0
	s_cmp_ge_u32 s16, s28
	s_cbranch_scc1 .LBB153_20
; %bb.1:
	v_mbcnt_lo_u32_b32 v3, -1, 0
	s_clause 0x4
	s_load_b32 s18, s[0:1], 0x50
	s_load_b128 s[4:7], s[0:1], 0x40
	s_load_b128 s[8:11], s[0:1], 0x20
	;; [unrolled: 1-line block ×3, first 2 shown]
	s_load_b32 s29, s[0:1], 0x0
	s_bfe_u32 s3, ttmp6, 0x4000c
	s_wait_xcnt 0x0
	s_and_b32 s1, ttmp6, 15
	s_add_co_i32 s3, s3, 1
	v_cmp_gt_u32_e32 vcc_lo, 24, v3
	s_mul_i32 s3, ttmp9, s3
	v_dual_lshrrev_b32 v10, 3, v0 :: v_dual_bitop2_b32 v1, 31, v0 bitop3:0x40
	s_add_co_i32 s1, s1, s3
	v_cndmask_b32_e64 v6, 0, 8, vcc_lo
	v_cmp_gt_u32_e32 vcc_lo, 28, v3
	s_cmp_eq_u32 s2, 0
	s_mov_b32 s23, s17
	s_cselect_b32 s22, ttmp9, s1
	v_cmp_gt_u32_e64 s0, 32, v0
	v_cndmask_b32_e64 v7, 0, 4, vcc_lo
	v_cmp_gt_u32_e32 vcc_lo, 30, v3
	s_wait_kmcnt 0x0
	s_cmp_lg_u32 s18, 1
	v_dual_lshlrev_b32 v4, 2, v1 :: v_dual_bitop2_b32 v10, 60, v10 bitop3:0x40
	s_cselect_b32 s30, -1, 0
	v_cndmask_b32_e64 v8, 0, 2, vcc_lo
	v_cmp_ne_u32_e32 vcc_lo, 31, v3
	s_lshl_b32 s20, s18, 9
	v_lshl_or_b32 v5, v3, 2, 64
	v_lshl_or_b32 v2, s22, 9, v0
	v_add_lshl_u32 v6, v6, v3, 2
	v_add_co_ci_u32_e64 v9, null, 0, v3, vcc_lo
	v_add_lshl_u32 v7, v7, v3, 2
	v_add_lshl_u32 v8, v8, v3, 2
	v_cmp_eq_u32_e64 s1, 0, v1
	s_delay_alu instid0(VALU_DEP_4)
	v_dual_lshlrev_b32 v9, 2, v9 :: v_dual_mov_b32 v11, 0
	v_cmp_gt_u32_e64 s2, 16, v0
	v_cmp_eq_u32_e64 s3, 0, v0
	s_lshl_b64 s[22:23], s[22:23], 2
	s_ashr_i32 s21, s20, 31
	s_mov_b32 s19, s17
	s_add_nc_u64 s[4:5], s[4:5], s[22:23]
	s_lshl_b64 s[22:23], s[20:21], 1
	s_lshl_b64 s[14:15], s[14:15], 1
	;; [unrolled: 1-line block ×3, first 2 shown]
	s_branch .LBB153_3
.LBB153_2:                              ;   in Loop: Header=BB153_3 Depth=1
	s_wait_xcnt 0x0
	s_or_b32 exec_lo, exec_lo, s21
	s_add_co_i32 s16, s16, 0x10000
	s_delay_alu instid0(SALU_CYCLE_1)
	s_cmp_lt_u32 s16, s28
	s_cbranch_scc0 .LBB153_20
.LBB153_3:                              ; =>This Loop Header: Depth=1
                                        ;     Child Loop BB153_5 Depth 2
	v_mov_b32_e32 v3, 0
	s_mov_b32 s21, exec_lo
	v_cmpx_gt_i32_e64 s29, v2
	s_cbranch_execz .LBB153_7
; %bb.4:                                ;   in Loop: Header=BB153_3 Depth=1
	s_lshl_b64 s[24:25], s[16:17], 3
	v_ashrrev_i32_e32 v3, 31, v2
	s_add_nc_u64 s[26:27], s[12:13], s[24:25]
	s_add_nc_u64 s[24:25], s[8:9], s[24:25]
	s_load_b64 s[34:35], s[26:27], 0x0
	s_load_b64 s[36:37], s[24:25], 0x0
	s_mov_b32 s31, 0
	s_wait_dscnt 0x0
	v_lshlrev_b64_e32 v[0:1], 1, v[2:3]
	v_mov_b32_e32 v3, 0
	s_mov_b32 s33, 0
	s_wait_kmcnt 0x0
	s_wait_xcnt 0x0
	s_add_nc_u64 s[24:25], s[34:35], s[14:15]
	s_add_nc_u64 s[26:27], s[36:37], s[10:11]
.LBB153_5:                              ;   Parent Loop BB153_3 Depth=1
                                        ; =>  This Inner Loop Header: Depth=2
	s_delay_alu instid0(SALU_CYCLE_1)
	v_add_nc_u64_e32 v[12:13], s[26:27], v[0:1]
	v_add_nc_u64_e32 v[14:15], s[24:25], v[0:1]
	v_add_nc_u32_e32 v2, s20, v2
	s_add_co_i32 s34, s33, 1
	s_cmp_gt_u32 s33, 6
	v_add_nc_u64_e32 v[0:1], s[22:23], v[0:1]
	s_cselect_b32 s33, -1, 0
	flat_load_u16 v16, v[12:13]
	flat_load_u16 v17, v[14:15]
	v_cmp_le_i32_e32 vcc_lo, s29, v2
	s_or_b32 s33, s33, vcc_lo
	s_delay_alu instid0(SALU_CYCLE_1) | instskip(NEXT) | instid1(SALU_CYCLE_1)
	s_and_b32 s33, exec_lo, s33
	s_or_b32 s31, s33, s31
	s_mov_b32 s33, s34
	s_wait_loadcnt_dscnt 0x0
	v_fma_mix_f32 v3, v16, v17, v3 op_sel_hi:[1,1,0]
	s_wait_xcnt 0x0
	s_and_not1_b32 exec_lo, exec_lo, s31
	s_cbranch_execnz .LBB153_5
; %bb.6:                                ;   in Loop: Header=BB153_3 Depth=1
	s_or_b32 exec_lo, exec_lo, s31
.LBB153_7:                              ;   in Loop: Header=BB153_3 Depth=1
	s_delay_alu instid0(SALU_CYCLE_1)
	s_or_b32 exec_lo, exec_lo, s21
	s_and_saveexec_b32 s21, s0
; %bb.8:                                ;   in Loop: Header=BB153_3 Depth=1
	ds_store_b32 v4, v11
; %bb.9:                                ;   in Loop: Header=BB153_3 Depth=1
	s_or_b32 exec_lo, exec_lo, s21
	s_wait_dscnt 0x0
	ds_bpermute_b32 v0, v5, v3
	s_wait_dscnt 0x0
	s_barrier_signal -1
	s_barrier_wait -1
	v_add_f32_e32 v0, v3, v0
	ds_bpermute_b32 v1, v6, v0
	s_wait_dscnt 0x0
	v_add_f32_e32 v0, v0, v1
	ds_bpermute_b32 v1, v7, v0
	s_wait_dscnt 0x0
	;; [unrolled: 3-line block ×3, first 2 shown]
	v_add_f32_e32 v0, v0, v1
	ds_bpermute_b32 v1, v9, v0
	s_and_saveexec_b32 s21, s1
	s_cbranch_execz .LBB153_11
; %bb.10:                               ;   in Loop: Header=BB153_3 Depth=1
	s_wait_dscnt 0x0
	v_add_f32_e32 v0, v0, v1
	ds_store_b32 v10, v0
.LBB153_11:                             ;   in Loop: Header=BB153_3 Depth=1
	s_or_b32 exec_lo, exec_lo, s21
	v_mov_b32_e32 v0, 0
	s_wait_dscnt 0x0
	s_barrier_signal -1
	s_barrier_wait -1
	s_and_saveexec_b32 s21, s2
	s_cbranch_execnz .LBB153_14
; %bb.12:                               ;   in Loop: Header=BB153_3 Depth=1
	s_or_b32 exec_lo, exec_lo, s21
	s_and_saveexec_b32 s21, s0
	s_cbranch_execnz .LBB153_15
.LBB153_13:                             ;   in Loop: Header=BB153_3 Depth=1
	s_or_b32 exec_lo, exec_lo, s21
	s_and_saveexec_b32 s21, s3
	s_cbranch_execz .LBB153_2
	s_branch .LBB153_16
.LBB153_14:                             ;   in Loop: Header=BB153_3 Depth=1
	ds_load_b32 v0, v4
	s_or_b32 exec_lo, exec_lo, s21
	s_and_saveexec_b32 s21, s0
	s_cbranch_execz .LBB153_13
.LBB153_15:                             ;   in Loop: Header=BB153_3 Depth=1
	s_wait_dscnt 0x0
	ds_bpermute_b32 v1, v6, v0
	s_wait_dscnt 0x0
	v_add_f32_e32 v0, v0, v1
	ds_bpermute_b32 v1, v7, v0
	s_wait_dscnt 0x0
	v_add_f32_e32 v0, v0, v1
	;; [unrolled: 3-line block ×4, first 2 shown]
	s_or_b32 exec_lo, exec_lo, s21
	s_and_saveexec_b32 s21, s3
	s_cbranch_execz .LBB153_2
.LBB153_16:                             ;   in Loop: Header=BB153_3 Depth=1
	s_and_b32 vcc_lo, exec_lo, s30
	s_mov_b32 s24, -1
	s_cbranch_vccz .LBB153_18
; %bb.17:                               ;   in Loop: Header=BB153_3 Depth=1
	s_mul_u64 s[24:25], s[18:19], s[16:17]
	s_delay_alu instid0(SALU_CYCLE_1) | instskip(NEXT) | instid1(SALU_CYCLE_1)
	s_lshl_b64 s[24:25], s[24:25], 2
	s_add_nc_u64 s[26:27], s[4:5], s[24:25]
	s_mov_b32 s24, 0
	s_wait_dscnt 0x0
	global_store_b32 v11, v0, s[26:27]
.LBB153_18:                             ;   in Loop: Header=BB153_3 Depth=1
	s_and_not1_b32 vcc_lo, exec_lo, s24
	s_cbranch_vccnz .LBB153_2
; %bb.19:                               ;   in Loop: Header=BB153_3 Depth=1
	s_wait_dscnt 0x0
	s_wait_xcnt 0x0
	v_cvt_f16_f32_e32 v0, v0
	s_lshl_b64 s[24:25], s[16:17], 1
	s_delay_alu instid0(SALU_CYCLE_1)
	s_add_nc_u64 s[24:25], s[6:7], s[24:25]
	global_store_b16 v11, v0, s[24:25]
	s_branch .LBB153_2
.LBB153_20:
	s_endpgm
	.section	.rodata,"a",@progbits
	.p2align	6, 0x0
	.amdhsa_kernel _ZL23rocblas_dot_kernel_inc1ILb0ELi512ELi8ELb0EDF16_PKPKDF16_fEviT4_llS4_lliPT5_PT3_
		.amdhsa_group_segment_fixed_size 128
		.amdhsa_private_segment_fixed_size 0
		.amdhsa_kernarg_size 336
		.amdhsa_user_sgpr_count 2
		.amdhsa_user_sgpr_dispatch_ptr 0
		.amdhsa_user_sgpr_queue_ptr 0
		.amdhsa_user_sgpr_kernarg_segment_ptr 1
		.amdhsa_user_sgpr_dispatch_id 0
		.amdhsa_user_sgpr_kernarg_preload_length 0
		.amdhsa_user_sgpr_kernarg_preload_offset 0
		.amdhsa_user_sgpr_private_segment_size 0
		.amdhsa_wavefront_size32 1
		.amdhsa_uses_dynamic_stack 0
		.amdhsa_enable_private_segment 0
		.amdhsa_system_sgpr_workgroup_id_x 1
		.amdhsa_system_sgpr_workgroup_id_y 0
		.amdhsa_system_sgpr_workgroup_id_z 1
		.amdhsa_system_sgpr_workgroup_info 0
		.amdhsa_system_vgpr_workitem_id 0
		.amdhsa_next_free_vgpr 18
		.amdhsa_next_free_sgpr 38
		.amdhsa_named_barrier_count 0
		.amdhsa_reserve_vcc 1
		.amdhsa_float_round_mode_32 0
		.amdhsa_float_round_mode_16_64 0
		.amdhsa_float_denorm_mode_32 3
		.amdhsa_float_denorm_mode_16_64 3
		.amdhsa_fp16_overflow 0
		.amdhsa_memory_ordered 1
		.amdhsa_forward_progress 1
		.amdhsa_inst_pref_size 8
		.amdhsa_round_robin_scheduling 0
		.amdhsa_exception_fp_ieee_invalid_op 0
		.amdhsa_exception_fp_denorm_src 0
		.amdhsa_exception_fp_ieee_div_zero 0
		.amdhsa_exception_fp_ieee_overflow 0
		.amdhsa_exception_fp_ieee_underflow 0
		.amdhsa_exception_fp_ieee_inexact 0
		.amdhsa_exception_int_div_zero 0
	.end_amdhsa_kernel
	.section	.text._ZL23rocblas_dot_kernel_inc1ILb0ELi512ELi8ELb0EDF16_PKPKDF16_fEviT4_llS4_lliPT5_PT3_,"axG",@progbits,_ZL23rocblas_dot_kernel_inc1ILb0ELi512ELi8ELb0EDF16_PKPKDF16_fEviT4_llS4_lliPT5_PT3_,comdat
.Lfunc_end153:
	.size	_ZL23rocblas_dot_kernel_inc1ILb0ELi512ELi8ELb0EDF16_PKPKDF16_fEviT4_llS4_lliPT5_PT3_, .Lfunc_end153-_ZL23rocblas_dot_kernel_inc1ILb0ELi512ELi8ELb0EDF16_PKPKDF16_fEviT4_llS4_lliPT5_PT3_
                                        ; -- End function
	.set _ZL23rocblas_dot_kernel_inc1ILb0ELi512ELi8ELb0EDF16_PKPKDF16_fEviT4_llS4_lliPT5_PT3_.num_vgpr, 18
	.set _ZL23rocblas_dot_kernel_inc1ILb0ELi512ELi8ELb0EDF16_PKPKDF16_fEviT4_llS4_lliPT5_PT3_.num_agpr, 0
	.set _ZL23rocblas_dot_kernel_inc1ILb0ELi512ELi8ELb0EDF16_PKPKDF16_fEviT4_llS4_lliPT5_PT3_.numbered_sgpr, 38
	.set _ZL23rocblas_dot_kernel_inc1ILb0ELi512ELi8ELb0EDF16_PKPKDF16_fEviT4_llS4_lliPT5_PT3_.num_named_barrier, 0
	.set _ZL23rocblas_dot_kernel_inc1ILb0ELi512ELi8ELb0EDF16_PKPKDF16_fEviT4_llS4_lliPT5_PT3_.private_seg_size, 0
	.set _ZL23rocblas_dot_kernel_inc1ILb0ELi512ELi8ELb0EDF16_PKPKDF16_fEviT4_llS4_lliPT5_PT3_.uses_vcc, 1
	.set _ZL23rocblas_dot_kernel_inc1ILb0ELi512ELi8ELb0EDF16_PKPKDF16_fEviT4_llS4_lliPT5_PT3_.uses_flat_scratch, 0
	.set _ZL23rocblas_dot_kernel_inc1ILb0ELi512ELi8ELb0EDF16_PKPKDF16_fEviT4_llS4_lliPT5_PT3_.has_dyn_sized_stack, 0
	.set _ZL23rocblas_dot_kernel_inc1ILb0ELi512ELi8ELb0EDF16_PKPKDF16_fEviT4_llS4_lliPT5_PT3_.has_recursion, 0
	.set _ZL23rocblas_dot_kernel_inc1ILb0ELi512ELi8ELb0EDF16_PKPKDF16_fEviT4_llS4_lliPT5_PT3_.has_indirect_call, 0
	.section	.AMDGPU.csdata,"",@progbits
; Kernel info:
; codeLenInByte = 980
; TotalNumSgprs: 40
; NumVgprs: 18
; ScratchSize: 0
; MemoryBound: 0
; FloatMode: 240
; IeeeMode: 1
; LDSByteSize: 128 bytes/workgroup (compile time only)
; SGPRBlocks: 0
; VGPRBlocks: 1
; NumSGPRsForWavesPerEU: 40
; NumVGPRsForWavesPerEU: 18
; NamedBarCnt: 0
; Occupancy: 16
; WaveLimiterHint : 1
; COMPUTE_PGM_RSRC2:SCRATCH_EN: 0
; COMPUTE_PGM_RSRC2:USER_SGPR: 2
; COMPUTE_PGM_RSRC2:TRAP_HANDLER: 0
; COMPUTE_PGM_RSRC2:TGID_X_EN: 1
; COMPUTE_PGM_RSRC2:TGID_Y_EN: 0
; COMPUTE_PGM_RSRC2:TGID_Z_EN: 1
; COMPUTE_PGM_RSRC2:TIDIG_COMP_CNT: 0
	.section	.text._ZL18rocblas_dot_kernelIiLb0ELi512ELi8ELb0EDF16_PKPKDF16_fEviT5_lT_lS4_lS5_liPT6_PT4_,"axG",@progbits,_ZL18rocblas_dot_kernelIiLb0ELi512ELi8ELb0EDF16_PKPKDF16_fEviT5_lT_lS4_lS5_liPT6_PT4_,comdat
	.globl	_ZL18rocblas_dot_kernelIiLb0ELi512ELi8ELb0EDF16_PKPKDF16_fEviT5_lT_lS4_lS5_liPT6_PT4_ ; -- Begin function _ZL18rocblas_dot_kernelIiLb0ELi512ELi8ELb0EDF16_PKPKDF16_fEviT5_lT_lS4_lS5_liPT6_PT4_
	.p2align	8
	.type	_ZL18rocblas_dot_kernelIiLb0ELi512ELi8ELb0EDF16_PKPKDF16_fEviT5_lT_lS4_lS5_liPT6_PT4_,@function
_ZL18rocblas_dot_kernelIiLb0ELi512ELi8ELb0EDF16_PKPKDF16_fEviT5_lT_lS4_lS5_liPT6_PT4_: ; @_ZL18rocblas_dot_kernelIiLb0ELi512ELi8ELb0EDF16_PKPKDF16_fEviT5_lT_lS4_lS5_liPT6_PT4_
; %bb.0:
	s_load_b32 s30, s[0:1], 0x48
	s_bfe_u32 s2, ttmp6, 0x40014
	s_lshr_b32 s3, ttmp7, 16
	s_add_co_i32 s2, s2, 1
	s_bfe_u32 s5, ttmp6, 0x40008
	s_mul_i32 s4, s3, s2
	s_getreg_b32 s2, hwreg(HW_REG_IB_STS2, 6, 4)
	s_add_co_i32 s5, s5, s4
	s_cmp_eq_u32 s2, 0
	s_mov_b32 s17, 0
	s_cselect_b32 s16, s3, s5
	s_wait_kmcnt 0x0
	s_cmp_ge_u32 s16, s30
	s_cbranch_scc1 .LBB154_20
; %bb.1:
	v_mbcnt_lo_u32_b32 v2, -1, 0
	s_clause 0x6
	s_load_b32 s22, s[0:1], 0x18
	s_load_b32 s26, s[0:1], 0x38
	;; [unrolled: 1-line block ×3, first 2 shown]
	s_load_b128 s[4:7], s[0:1], 0x50
	s_load_b128 s[8:11], s[0:1], 0x28
	;; [unrolled: 1-line block ×3, first 2 shown]
	s_load_b32 s31, s[0:1], 0x0
	s_bfe_u32 s3, ttmp6, 0x4000c
	s_wait_xcnt 0x0
	s_and_b32 s1, ttmp6, 15
	s_add_co_i32 s3, s3, 1
	v_cmp_gt_u32_e32 vcc_lo, 24, v2
	s_mul_i32 s3, ttmp9, s3
	v_and_b32_e32 v1, 31, v0
	s_add_co_i32 s1, s1, s3
	s_mov_b32 s25, s17
	v_cndmask_b32_e64 v3, 0, 8, vcc_lo
	v_cmp_gt_u32_e32 vcc_lo, 28, v2
	v_cmp_gt_u32_e64 s0, 32, v0
	v_lshl_or_b32 v5, v2, 2, 64
	v_cmp_eq_u32_e64 s3, 0, v0
	s_wait_kmcnt 0x0
	s_ashr_i32 s23, s22, 31
	v_cndmask_b32_e64 v8, 0, 4, vcc_lo
	v_cmp_gt_u32_e32 vcc_lo, 30, v2
	s_ashr_i32 s27, s26, 31
	s_cmp_eq_u32 s2, 0
	v_add_lshl_u32 v7, v3, v2, 2
	s_cselect_b32 s24, ttmp9, s1
	v_cndmask_b32_e64 v9, 0, 2, vcc_lo
	v_cmp_ne_u32_e32 vcc_lo, 31, v2
	s_cmp_lg_u32 s18, 1
	v_lshrrev_b32_e32 v3, 3, v0
	s_cselect_b32 s33, -1, 0
	s_lshl_b32 s20, s18, 9
	v_add_co_ci_u32_e64 v10, null, 0, v2, vcc_lo
	v_lshl_or_b32 v6, s24, 9, v0
	s_lshl_b64 s[24:25], s[24:25], 2
	s_ashr_i32 s21, s20, 31
	s_delay_alu instid0(VALU_DEP_2)
	v_dual_lshlrev_b32 v4, 2, v1 :: v_dual_lshlrev_b32 v10, 2, v10
	v_add_lshl_u32 v8, v8, v2, 2
	v_add_lshl_u32 v9, v9, v2, 2
	v_cmp_eq_u32_e64 s1, 0, v1
	v_dual_mov_b32 v12, 0 :: v_dual_bitop2_b32 v11, 60, v3 bitop3:0x40
	v_cmp_gt_u32_e64 s2, 16, v0
	s_add_nc_u64 s[4:5], s[4:5], s[24:25]
	s_mul_u64 s[24:25], s[22:23], s[20:21]
	s_mul_u64 s[28:29], s[26:27], s[20:21]
	s_mov_b32 s19, s17
	s_lshl_b64 s[14:15], s[14:15], 1
	s_lshl_b64 s[22:23], s[22:23], 1
	;; [unrolled: 1-line block ×6, first 2 shown]
	s_branch .LBB154_3
.LBB154_2:                              ;   in Loop: Header=BB154_3 Depth=1
	s_wait_xcnt 0x0
	s_or_b32 exec_lo, exec_lo, s21
	s_add_co_i32 s16, s16, 0x10000
	s_delay_alu instid0(SALU_CYCLE_1)
	s_cmp_lt_u32 s16, s30
	s_cbranch_scc0 .LBB154_20
.LBB154_3:                              ; =>This Loop Header: Depth=1
                                        ;     Child Loop BB154_5 Depth 2
	v_mov_b32_e32 v13, 0
	s_mov_b32 s21, exec_lo
	v_cmpx_gt_i32_e64 s31, v6
	s_cbranch_execz .LBB154_7
; %bb.4:                                ;   in Loop: Header=BB154_3 Depth=1
	s_lshl_b64 s[34:35], s[16:17], 3
	v_ashrrev_i32_e32 v13, 31, v6
	s_add_nc_u64 s[36:37], s[12:13], s[34:35]
	s_add_nc_u64 s[34:35], s[8:9], s[34:35]
	s_load_b64 s[38:39], s[36:37], 0x0
	s_load_b64 s[40:41], s[34:35], 0x0
	s_wait_kmcnt 0x0
	s_wait_xcnt 0x0
	s_add_nc_u64 s[34:35], s[38:39], s[14:15]
	s_add_nc_u64 s[36:37], s[40:41], s[10:11]
	s_wait_dscnt 0x0
	v_mad_nc_u64_u32 v[0:1], s22, v6, s[34:35]
	v_mad_nc_u64_u32 v[2:3], s26, v6, s[36:37]
	s_mov_b32 s34, 0
	s_mov_b32 s35, 0
	s_delay_alu instid0(VALU_DEP_2) | instskip(NEXT) | instid1(VALU_DEP_2)
	v_mad_u32 v1, s23, v6, v1
	v_mad_u32 v3, s27, v6, v3
	s_delay_alu instid0(VALU_DEP_2) | instskip(NEXT) | instid1(VALU_DEP_2)
	v_mad_u32 v1, s22, v13, v1
	v_mad_u32 v3, s26, v13, v3
	v_mov_b32_e32 v13, 0
.LBB154_5:                              ;   Parent Loop BB154_3 Depth=1
                                        ; =>  This Inner Loop Header: Depth=2
	flat_load_u16 v14, v[2:3]
	flat_load_u16 v15, v[0:1]
	v_add_nc_u32_e32 v6, s20, v6
	s_add_co_i32 s36, s35, 1
	s_cmp_gt_u32 s35, 6
	s_wait_xcnt 0x0
	v_add_nc_u64_e32 v[0:1], s[24:25], v[0:1]
	s_cselect_b32 s35, -1, 0
	v_cmp_le_i32_e32 vcc_lo, s31, v6
	v_add_nc_u64_e32 v[2:3], s[28:29], v[2:3]
	s_or_b32 s35, s35, vcc_lo
	s_delay_alu instid0(SALU_CYCLE_1) | instskip(NEXT) | instid1(SALU_CYCLE_1)
	s_and_b32 s35, exec_lo, s35
	s_or_b32 s34, s35, s34
	s_mov_b32 s35, s36
	s_wait_loadcnt_dscnt 0x0
	v_fma_mix_f32 v13, v14, v15, v13 op_sel_hi:[1,1,0]
	s_and_not1_b32 exec_lo, exec_lo, s34
	s_cbranch_execnz .LBB154_5
; %bb.6:                                ;   in Loop: Header=BB154_3 Depth=1
	s_or_b32 exec_lo, exec_lo, s34
.LBB154_7:                              ;   in Loop: Header=BB154_3 Depth=1
	s_delay_alu instid0(SALU_CYCLE_1)
	s_or_b32 exec_lo, exec_lo, s21
	s_and_saveexec_b32 s21, s0
; %bb.8:                                ;   in Loop: Header=BB154_3 Depth=1
	ds_store_b32 v4, v12
; %bb.9:                                ;   in Loop: Header=BB154_3 Depth=1
	s_or_b32 exec_lo, exec_lo, s21
	s_wait_dscnt 0x0
	ds_bpermute_b32 v0, v5, v13
	s_wait_dscnt 0x0
	s_barrier_signal -1
	s_barrier_wait -1
	v_add_f32_e32 v0, v13, v0
	ds_bpermute_b32 v1, v7, v0
	s_wait_dscnt 0x0
	v_add_f32_e32 v0, v0, v1
	ds_bpermute_b32 v1, v8, v0
	s_wait_dscnt 0x0
	;; [unrolled: 3-line block ×3, first 2 shown]
	v_add_f32_e32 v0, v0, v1
	ds_bpermute_b32 v1, v10, v0
	s_and_saveexec_b32 s21, s1
	s_cbranch_execz .LBB154_11
; %bb.10:                               ;   in Loop: Header=BB154_3 Depth=1
	s_wait_dscnt 0x0
	v_add_f32_e32 v0, v0, v1
	ds_store_b32 v11, v0
.LBB154_11:                             ;   in Loop: Header=BB154_3 Depth=1
	s_or_b32 exec_lo, exec_lo, s21
	v_mov_b32_e32 v0, 0
	s_wait_dscnt 0x0
	s_barrier_signal -1
	s_barrier_wait -1
	s_and_saveexec_b32 s21, s2
	s_cbranch_execnz .LBB154_14
; %bb.12:                               ;   in Loop: Header=BB154_3 Depth=1
	s_or_b32 exec_lo, exec_lo, s21
	s_and_saveexec_b32 s21, s0
	s_cbranch_execnz .LBB154_15
.LBB154_13:                             ;   in Loop: Header=BB154_3 Depth=1
	s_or_b32 exec_lo, exec_lo, s21
	s_and_saveexec_b32 s21, s3
	s_cbranch_execz .LBB154_2
	s_branch .LBB154_16
.LBB154_14:                             ;   in Loop: Header=BB154_3 Depth=1
	ds_load_b32 v0, v4
	s_or_b32 exec_lo, exec_lo, s21
	s_and_saveexec_b32 s21, s0
	s_cbranch_execz .LBB154_13
.LBB154_15:                             ;   in Loop: Header=BB154_3 Depth=1
	s_wait_dscnt 0x0
	ds_bpermute_b32 v1, v7, v0
	s_wait_dscnt 0x0
	v_add_f32_e32 v0, v0, v1
	ds_bpermute_b32 v1, v8, v0
	s_wait_dscnt 0x0
	v_add_f32_e32 v0, v0, v1
	;; [unrolled: 3-line block ×4, first 2 shown]
	s_or_b32 exec_lo, exec_lo, s21
	s_and_saveexec_b32 s21, s3
	s_cbranch_execz .LBB154_2
.LBB154_16:                             ;   in Loop: Header=BB154_3 Depth=1
	s_and_b32 vcc_lo, exec_lo, s33
	s_mov_b32 s34, -1
	s_cbranch_vccz .LBB154_18
; %bb.17:                               ;   in Loop: Header=BB154_3 Depth=1
	s_mul_u64 s[34:35], s[18:19], s[16:17]
	s_delay_alu instid0(SALU_CYCLE_1) | instskip(NEXT) | instid1(SALU_CYCLE_1)
	s_lshl_b64 s[34:35], s[34:35], 2
	s_add_nc_u64 s[36:37], s[4:5], s[34:35]
	s_mov_b32 s34, 0
	s_wait_dscnt 0x0
	global_store_b32 v12, v0, s[36:37]
.LBB154_18:                             ;   in Loop: Header=BB154_3 Depth=1
	s_and_not1_b32 vcc_lo, exec_lo, s34
	s_cbranch_vccnz .LBB154_2
; %bb.19:                               ;   in Loop: Header=BB154_3 Depth=1
	s_wait_dscnt 0x0
	s_wait_xcnt 0x0
	v_cvt_f16_f32_e32 v0, v0
	s_lshl_b64 s[34:35], s[16:17], 1
	s_delay_alu instid0(SALU_CYCLE_1)
	s_add_nc_u64 s[34:35], s[6:7], s[34:35]
	global_store_b16 v12, v0, s[34:35]
	s_branch .LBB154_2
.LBB154_20:
	s_endpgm
	.section	.rodata,"a",@progbits
	.p2align	6, 0x0
	.amdhsa_kernel _ZL18rocblas_dot_kernelIiLb0ELi512ELi8ELb0EDF16_PKPKDF16_fEviT5_lT_lS4_lS5_liPT6_PT4_
		.amdhsa_group_segment_fixed_size 128
		.amdhsa_private_segment_fixed_size 0
		.amdhsa_kernarg_size 352
		.amdhsa_user_sgpr_count 2
		.amdhsa_user_sgpr_dispatch_ptr 0
		.amdhsa_user_sgpr_queue_ptr 0
		.amdhsa_user_sgpr_kernarg_segment_ptr 1
		.amdhsa_user_sgpr_dispatch_id 0
		.amdhsa_user_sgpr_kernarg_preload_length 0
		.amdhsa_user_sgpr_kernarg_preload_offset 0
		.amdhsa_user_sgpr_private_segment_size 0
		.amdhsa_wavefront_size32 1
		.amdhsa_uses_dynamic_stack 0
		.amdhsa_enable_private_segment 0
		.amdhsa_system_sgpr_workgroup_id_x 1
		.amdhsa_system_sgpr_workgroup_id_y 0
		.amdhsa_system_sgpr_workgroup_id_z 1
		.amdhsa_system_sgpr_workgroup_info 0
		.amdhsa_system_vgpr_workitem_id 0
		.amdhsa_next_free_vgpr 16
		.amdhsa_next_free_sgpr 42
		.amdhsa_named_barrier_count 0
		.amdhsa_reserve_vcc 1
		.amdhsa_float_round_mode_32 0
		.amdhsa_float_round_mode_16_64 0
		.amdhsa_float_denorm_mode_32 3
		.amdhsa_float_denorm_mode_16_64 3
		.amdhsa_fp16_overflow 0
		.amdhsa_memory_ordered 1
		.amdhsa_forward_progress 1
		.amdhsa_inst_pref_size 9
		.amdhsa_round_robin_scheduling 0
		.amdhsa_exception_fp_ieee_invalid_op 0
		.amdhsa_exception_fp_denorm_src 0
		.amdhsa_exception_fp_ieee_div_zero 0
		.amdhsa_exception_fp_ieee_overflow 0
		.amdhsa_exception_fp_ieee_underflow 0
		.amdhsa_exception_fp_ieee_inexact 0
		.amdhsa_exception_int_div_zero 0
	.end_amdhsa_kernel
	.section	.text._ZL18rocblas_dot_kernelIiLb0ELi512ELi8ELb0EDF16_PKPKDF16_fEviT5_lT_lS4_lS5_liPT6_PT4_,"axG",@progbits,_ZL18rocblas_dot_kernelIiLb0ELi512ELi8ELb0EDF16_PKPKDF16_fEviT5_lT_lS4_lS5_liPT6_PT4_,comdat
.Lfunc_end154:
	.size	_ZL18rocblas_dot_kernelIiLb0ELi512ELi8ELb0EDF16_PKPKDF16_fEviT5_lT_lS4_lS5_liPT6_PT4_, .Lfunc_end154-_ZL18rocblas_dot_kernelIiLb0ELi512ELi8ELb0EDF16_PKPKDF16_fEviT5_lT_lS4_lS5_liPT6_PT4_
                                        ; -- End function
	.set _ZL18rocblas_dot_kernelIiLb0ELi512ELi8ELb0EDF16_PKPKDF16_fEviT5_lT_lS4_lS5_liPT6_PT4_.num_vgpr, 16
	.set _ZL18rocblas_dot_kernelIiLb0ELi512ELi8ELb0EDF16_PKPKDF16_fEviT5_lT_lS4_lS5_liPT6_PT4_.num_agpr, 0
	.set _ZL18rocblas_dot_kernelIiLb0ELi512ELi8ELb0EDF16_PKPKDF16_fEviT5_lT_lS4_lS5_liPT6_PT4_.numbered_sgpr, 42
	.set _ZL18rocblas_dot_kernelIiLb0ELi512ELi8ELb0EDF16_PKPKDF16_fEviT5_lT_lS4_lS5_liPT6_PT4_.num_named_barrier, 0
	.set _ZL18rocblas_dot_kernelIiLb0ELi512ELi8ELb0EDF16_PKPKDF16_fEviT5_lT_lS4_lS5_liPT6_PT4_.private_seg_size, 0
	.set _ZL18rocblas_dot_kernelIiLb0ELi512ELi8ELb0EDF16_PKPKDF16_fEviT5_lT_lS4_lS5_liPT6_PT4_.uses_vcc, 1
	.set _ZL18rocblas_dot_kernelIiLb0ELi512ELi8ELb0EDF16_PKPKDF16_fEviT5_lT_lS4_lS5_liPT6_PT4_.uses_flat_scratch, 0
	.set _ZL18rocblas_dot_kernelIiLb0ELi512ELi8ELb0EDF16_PKPKDF16_fEviT5_lT_lS4_lS5_liPT6_PT4_.has_dyn_sized_stack, 0
	.set _ZL18rocblas_dot_kernelIiLb0ELi512ELi8ELb0EDF16_PKPKDF16_fEviT5_lT_lS4_lS5_liPT6_PT4_.has_recursion, 0
	.set _ZL18rocblas_dot_kernelIiLb0ELi512ELi8ELb0EDF16_PKPKDF16_fEviT5_lT_lS4_lS5_liPT6_PT4_.has_indirect_call, 0
	.section	.AMDGPU.csdata,"",@progbits
; Kernel info:
; codeLenInByte = 1064
; TotalNumSgprs: 44
; NumVgprs: 16
; ScratchSize: 0
; MemoryBound: 0
; FloatMode: 240
; IeeeMode: 1
; LDSByteSize: 128 bytes/workgroup (compile time only)
; SGPRBlocks: 0
; VGPRBlocks: 0
; NumSGPRsForWavesPerEU: 44
; NumVGPRsForWavesPerEU: 16
; NamedBarCnt: 0
; Occupancy: 16
; WaveLimiterHint : 0
; COMPUTE_PGM_RSRC2:SCRATCH_EN: 0
; COMPUTE_PGM_RSRC2:USER_SGPR: 2
; COMPUTE_PGM_RSRC2:TRAP_HANDLER: 0
; COMPUTE_PGM_RSRC2:TGID_X_EN: 1
; COMPUTE_PGM_RSRC2:TGID_Y_EN: 0
; COMPUTE_PGM_RSRC2:TGID_Z_EN: 1
; COMPUTE_PGM_RSRC2:TIDIG_COMP_CNT: 0
	.section	.text._ZL24rocblas_dot_kernel_magsqIiLb0ELi512ELi8ELb0EDF16_PKPKDF16_fEviT5_lT_liPT6_PT4_,"axG",@progbits,_ZL24rocblas_dot_kernel_magsqIiLb0ELi512ELi8ELb0EDF16_PKPKDF16_fEviT5_lT_liPT6_PT4_,comdat
	.globl	_ZL24rocblas_dot_kernel_magsqIiLb0ELi512ELi8ELb0EDF16_PKPKDF16_fEviT5_lT_liPT6_PT4_ ; -- Begin function _ZL24rocblas_dot_kernel_magsqIiLb0ELi512ELi8ELb0EDF16_PKPKDF16_fEviT5_lT_liPT6_PT4_
	.p2align	8
	.type	_ZL24rocblas_dot_kernel_magsqIiLb0ELi512ELi8ELb0EDF16_PKPKDF16_fEviT5_lT_liPT6_PT4_,@function
_ZL24rocblas_dot_kernel_magsqIiLb0ELi512ELi8ELb0EDF16_PKPKDF16_fEviT5_lT_liPT6_PT4_: ; @_ZL24rocblas_dot_kernel_magsqIiLb0ELi512ELi8ELb0EDF16_PKPKDF16_fEviT5_lT_liPT6_PT4_
; %bb.0:
	s_load_b32 s22, s[0:1], 0x28
	s_bfe_u32 s2, ttmp6, 0x40014
	s_lshr_b32 s3, ttmp7, 16
	s_add_co_i32 s2, s2, 1
	s_bfe_u32 s5, ttmp6, 0x40008
	s_mul_i32 s4, s3, s2
	s_getreg_b32 s2, hwreg(HW_REG_IB_STS2, 6, 4)
	s_add_co_i32 s5, s5, s4
	s_cmp_eq_u32 s2, 0
	s_mov_b32 s13, 0
	s_cselect_b32 s12, s3, s5
	s_wait_kmcnt 0x0
	s_cmp_ge_u32 s12, s22
	s_cbranch_scc1 .LBB155_20
; %bb.1:
	v_mbcnt_lo_u32_b32 v7, -1, 0
	s_clause 0x4
	s_load_b32 s18, s[0:1], 0x18
	s_load_b32 s14, s[0:1], 0x40
	s_load_b128 s[4:7], s[0:1], 0x30
	s_load_b128 s[8:11], s[0:1], 0x8
	s_load_b32 s23, s[0:1], 0x0
	s_wait_xcnt 0x0
	s_bfe_u32 s0, ttmp6, 0x4000c
	s_and_b32 s1, ttmp6, 15
	s_add_co_i32 s3, s0, 1
	v_cmp_gt_u32_e32 vcc_lo, 24, v7
	s_mul_i32 s3, ttmp9, s3
	v_dual_lshrrev_b32 v10, 3, v0 :: v_dual_bitop2_b32 v1, 31, v0 bitop3:0x40
	s_add_co_i32 s1, s1, s3
	v_cndmask_b32_e64 v5, 0, 8, vcc_lo
	v_cmp_gt_u32_e32 vcc_lo, 28, v7
	s_mov_b32 s21, s13
	v_cmp_gt_u32_e64 s0, 32, v0
	v_lshlrev_b32_e32 v2, 2, v1
	v_lshl_or_b32 v3, v7, 2, 64
	v_cndmask_b32_e64 v6, 0, 4, vcc_lo
	v_cmp_gt_u32_e32 vcc_lo, 30, v7
	s_wait_kmcnt 0x0
	s_ashr_i32 s19, s18, 31
	s_cmp_eq_u32 s2, 0
	v_add_lshl_u32 v5, v5, v7, 2
	s_cselect_b32 s20, ttmp9, s1
	v_cndmask_b32_e64 v8, 0, 2, vcc_lo
	v_cmp_ne_u32_e32 vcc_lo, 31, v7
	s_cmp_lg_u32 s14, 1
	v_lshl_or_b32 v4, s20, 9, v0
	s_cselect_b32 s24, -1, 0
	s_lshl_b32 s16, s14, 9
	v_add_co_ci_u32_e64 v9, null, 0, v7, vcc_lo
	s_lshl_b64 s[20:21], s[20:21], 2
	s_ashr_i32 s17, s16, 31
	v_add_lshl_u32 v6, v6, v7, 2
	v_add_lshl_u32 v7, v8, v7, 2
	v_lshlrev_b32_e32 v8, 2, v9
	v_cmp_eq_u32_e64 s1, 0, v1
	v_and_b32_e32 v9, 60, v10
	v_cmp_gt_u32_e64 s2, 16, v0
	v_cmp_eq_u32_e64 s3, 0, v0
	v_mov_b32_e32 v10, 0
	s_add_nc_u64 s[4:5], s[4:5], s[20:21]
	s_mul_u64 s[20:21], s[18:19], s[16:17]
	s_mov_b32 s15, s13
	s_lshl_b64 s[10:11], s[10:11], 1
	s_lshl_b64 s[18:19], s[18:19], 1
	;; [unrolled: 1-line block ×3, first 2 shown]
	s_branch .LBB155_3
.LBB155_2:                              ;   in Loop: Header=BB155_3 Depth=1
	s_wait_xcnt 0x0
	s_or_b32 exec_lo, exec_lo, s17
	s_add_co_i32 s12, s12, 0x10000
	s_delay_alu instid0(SALU_CYCLE_1)
	s_cmp_lt_u32 s12, s22
	s_cbranch_scc0 .LBB155_20
.LBB155_3:                              ; =>This Loop Header: Depth=1
                                        ;     Child Loop BB155_5 Depth 2
	v_mov_b32_e32 v11, 0
	s_mov_b32 s17, exec_lo
	v_cmpx_gt_i32_e64 s23, v4
	s_cbranch_execz .LBB155_7
; %bb.4:                                ;   in Loop: Header=BB155_3 Depth=1
	s_lshl_b64 s[26:27], s[12:13], 3
	v_ashrrev_i32_e32 v11, 31, v4
	s_add_nc_u64 s[26:27], s[8:9], s[26:27]
	s_mov_b32 s25, 0
	s_load_b64 s[26:27], s[26:27], 0x0
	s_wait_kmcnt 0x0
	s_wait_xcnt 0x0
	s_add_nc_u64 s[26:27], s[26:27], s[10:11]
	s_wait_dscnt 0x0
	v_mad_nc_u64_u32 v[0:1], s18, v4, s[26:27]
	s_mov_b32 s26, 0
	s_delay_alu instid0(VALU_DEP_1) | instskip(NEXT) | instid1(VALU_DEP_1)
	v_mad_u32 v1, s19, v4, v1
	v_mad_u32 v1, s18, v11, v1
	v_mov_b32_e32 v11, 0
.LBB155_5:                              ;   Parent Loop BB155_3 Depth=1
                                        ; =>  This Inner Loop Header: Depth=2
	flat_load_u16 v12, v[0:1]
	v_add_nc_u32_e32 v4, s16, v4
	s_add_co_i32 s27, s26, 1
	s_cmp_gt_u32 s26, 6
	s_wait_xcnt 0x0
	v_add_nc_u64_e32 v[0:1], s[20:21], v[0:1]
	s_cselect_b32 s26, -1, 0
	v_cmp_le_i32_e32 vcc_lo, s23, v4
	s_or_b32 s26, s26, vcc_lo
	s_delay_alu instid0(SALU_CYCLE_1) | instskip(NEXT) | instid1(SALU_CYCLE_1)
	s_and_b32 s26, exec_lo, s26
	s_or_b32 s25, s26, s25
	s_mov_b32 s26, s27
	s_wait_loadcnt_dscnt 0x0
	v_fma_mix_f32 v11, v12, v12, v11 op_sel_hi:[1,1,0]
	s_and_not1_b32 exec_lo, exec_lo, s25
	s_cbranch_execnz .LBB155_5
; %bb.6:                                ;   in Loop: Header=BB155_3 Depth=1
	s_or_b32 exec_lo, exec_lo, s25
.LBB155_7:                              ;   in Loop: Header=BB155_3 Depth=1
	s_delay_alu instid0(SALU_CYCLE_1)
	s_or_b32 exec_lo, exec_lo, s17
	s_and_saveexec_b32 s17, s0
; %bb.8:                                ;   in Loop: Header=BB155_3 Depth=1
	ds_store_b32 v2, v10
; %bb.9:                                ;   in Loop: Header=BB155_3 Depth=1
	s_or_b32 exec_lo, exec_lo, s17
	s_wait_dscnt 0x0
	ds_bpermute_b32 v0, v3, v11
	s_wait_dscnt 0x0
	s_barrier_signal -1
	s_barrier_wait -1
	v_add_f32_e32 v0, v11, v0
	ds_bpermute_b32 v1, v5, v0
	s_wait_dscnt 0x0
	v_add_f32_e32 v0, v0, v1
	ds_bpermute_b32 v1, v6, v0
	s_wait_dscnt 0x0
	;; [unrolled: 3-line block ×3, first 2 shown]
	v_add_f32_e32 v0, v0, v1
	ds_bpermute_b32 v1, v8, v0
	s_and_saveexec_b32 s17, s1
	s_cbranch_execz .LBB155_11
; %bb.10:                               ;   in Loop: Header=BB155_3 Depth=1
	s_wait_dscnt 0x0
	v_add_f32_e32 v0, v0, v1
	ds_store_b32 v9, v0
.LBB155_11:                             ;   in Loop: Header=BB155_3 Depth=1
	s_or_b32 exec_lo, exec_lo, s17
	v_mov_b32_e32 v0, 0
	s_wait_dscnt 0x0
	s_barrier_signal -1
	s_barrier_wait -1
	s_and_saveexec_b32 s17, s2
	s_cbranch_execnz .LBB155_14
; %bb.12:                               ;   in Loop: Header=BB155_3 Depth=1
	s_or_b32 exec_lo, exec_lo, s17
	s_and_saveexec_b32 s17, s0
	s_cbranch_execnz .LBB155_15
.LBB155_13:                             ;   in Loop: Header=BB155_3 Depth=1
	s_or_b32 exec_lo, exec_lo, s17
	s_and_saveexec_b32 s17, s3
	s_cbranch_execz .LBB155_2
	s_branch .LBB155_16
.LBB155_14:                             ;   in Loop: Header=BB155_3 Depth=1
	ds_load_b32 v0, v2
	s_or_b32 exec_lo, exec_lo, s17
	s_and_saveexec_b32 s17, s0
	s_cbranch_execz .LBB155_13
.LBB155_15:                             ;   in Loop: Header=BB155_3 Depth=1
	s_wait_dscnt 0x0
	ds_bpermute_b32 v1, v5, v0
	s_wait_dscnt 0x0
	v_add_f32_e32 v0, v0, v1
	ds_bpermute_b32 v1, v6, v0
	s_wait_dscnt 0x0
	v_add_f32_e32 v0, v0, v1
	;; [unrolled: 3-line block ×4, first 2 shown]
	s_or_b32 exec_lo, exec_lo, s17
	s_and_saveexec_b32 s17, s3
	s_cbranch_execz .LBB155_2
.LBB155_16:                             ;   in Loop: Header=BB155_3 Depth=1
	s_and_b32 vcc_lo, exec_lo, s24
	s_mov_b32 s25, -1
	s_cbranch_vccz .LBB155_18
; %bb.17:                               ;   in Loop: Header=BB155_3 Depth=1
	s_mul_u64 s[26:27], s[14:15], s[12:13]
	s_mov_b32 s25, 0
	s_lshl_b64 s[26:27], s[26:27], 2
	s_delay_alu instid0(SALU_CYCLE_1)
	s_add_nc_u64 s[26:27], s[4:5], s[26:27]
	s_wait_dscnt 0x0
	global_store_b32 v10, v0, s[26:27]
.LBB155_18:                             ;   in Loop: Header=BB155_3 Depth=1
	s_and_not1_b32 vcc_lo, exec_lo, s25
	s_cbranch_vccnz .LBB155_2
; %bb.19:                               ;   in Loop: Header=BB155_3 Depth=1
	s_wait_dscnt 0x0
	s_wait_xcnt 0x0
	v_cvt_f16_f32_e32 v0, v0
	s_lshl_b64 s[26:27], s[12:13], 1
	s_delay_alu instid0(SALU_CYCLE_1)
	s_add_nc_u64 s[26:27], s[6:7], s[26:27]
	global_store_b16 v10, v0, s[26:27]
	s_branch .LBB155_2
.LBB155_20:
	s_endpgm
	.section	.rodata,"a",@progbits
	.p2align	6, 0x0
	.amdhsa_kernel _ZL24rocblas_dot_kernel_magsqIiLb0ELi512ELi8ELb0EDF16_PKPKDF16_fEviT5_lT_liPT6_PT4_
		.amdhsa_group_segment_fixed_size 128
		.amdhsa_private_segment_fixed_size 0
		.amdhsa_kernarg_size 320
		.amdhsa_user_sgpr_count 2
		.amdhsa_user_sgpr_dispatch_ptr 0
		.amdhsa_user_sgpr_queue_ptr 0
		.amdhsa_user_sgpr_kernarg_segment_ptr 1
		.amdhsa_user_sgpr_dispatch_id 0
		.amdhsa_user_sgpr_kernarg_preload_length 0
		.amdhsa_user_sgpr_kernarg_preload_offset 0
		.amdhsa_user_sgpr_private_segment_size 0
		.amdhsa_wavefront_size32 1
		.amdhsa_uses_dynamic_stack 0
		.amdhsa_enable_private_segment 0
		.amdhsa_system_sgpr_workgroup_id_x 1
		.amdhsa_system_sgpr_workgroup_id_y 0
		.amdhsa_system_sgpr_workgroup_id_z 1
		.amdhsa_system_sgpr_workgroup_info 0
		.amdhsa_system_vgpr_workitem_id 0
		.amdhsa_next_free_vgpr 13
		.amdhsa_next_free_sgpr 28
		.amdhsa_named_barrier_count 0
		.amdhsa_reserve_vcc 1
		.amdhsa_float_round_mode_32 0
		.amdhsa_float_round_mode_16_64 0
		.amdhsa_float_denorm_mode_32 3
		.amdhsa_float_denorm_mode_16_64 3
		.amdhsa_fp16_overflow 0
		.amdhsa_memory_ordered 1
		.amdhsa_forward_progress 1
		.amdhsa_inst_pref_size 8
		.amdhsa_round_robin_scheduling 0
		.amdhsa_exception_fp_ieee_invalid_op 0
		.amdhsa_exception_fp_denorm_src 0
		.amdhsa_exception_fp_ieee_div_zero 0
		.amdhsa_exception_fp_ieee_overflow 0
		.amdhsa_exception_fp_ieee_underflow 0
		.amdhsa_exception_fp_ieee_inexact 0
		.amdhsa_exception_int_div_zero 0
	.end_amdhsa_kernel
	.section	.text._ZL24rocblas_dot_kernel_magsqIiLb0ELi512ELi8ELb0EDF16_PKPKDF16_fEviT5_lT_liPT6_PT4_,"axG",@progbits,_ZL24rocblas_dot_kernel_magsqIiLb0ELi512ELi8ELb0EDF16_PKPKDF16_fEviT5_lT_liPT6_PT4_,comdat
.Lfunc_end155:
	.size	_ZL24rocblas_dot_kernel_magsqIiLb0ELi512ELi8ELb0EDF16_PKPKDF16_fEviT5_lT_liPT6_PT4_, .Lfunc_end155-_ZL24rocblas_dot_kernel_magsqIiLb0ELi512ELi8ELb0EDF16_PKPKDF16_fEviT5_lT_liPT6_PT4_
                                        ; -- End function
	.set _ZL24rocblas_dot_kernel_magsqIiLb0ELi512ELi8ELb0EDF16_PKPKDF16_fEviT5_lT_liPT6_PT4_.num_vgpr, 13
	.set _ZL24rocblas_dot_kernel_magsqIiLb0ELi512ELi8ELb0EDF16_PKPKDF16_fEviT5_lT_liPT6_PT4_.num_agpr, 0
	.set _ZL24rocblas_dot_kernel_magsqIiLb0ELi512ELi8ELb0EDF16_PKPKDF16_fEviT5_lT_liPT6_PT4_.numbered_sgpr, 28
	.set _ZL24rocblas_dot_kernel_magsqIiLb0ELi512ELi8ELb0EDF16_PKPKDF16_fEviT5_lT_liPT6_PT4_.num_named_barrier, 0
	.set _ZL24rocblas_dot_kernel_magsqIiLb0ELi512ELi8ELb0EDF16_PKPKDF16_fEviT5_lT_liPT6_PT4_.private_seg_size, 0
	.set _ZL24rocblas_dot_kernel_magsqIiLb0ELi512ELi8ELb0EDF16_PKPKDF16_fEviT5_lT_liPT6_PT4_.uses_vcc, 1
	.set _ZL24rocblas_dot_kernel_magsqIiLb0ELi512ELi8ELb0EDF16_PKPKDF16_fEviT5_lT_liPT6_PT4_.uses_flat_scratch, 0
	.set _ZL24rocblas_dot_kernel_magsqIiLb0ELi512ELi8ELb0EDF16_PKPKDF16_fEviT5_lT_liPT6_PT4_.has_dyn_sized_stack, 0
	.set _ZL24rocblas_dot_kernel_magsqIiLb0ELi512ELi8ELb0EDF16_PKPKDF16_fEviT5_lT_liPT6_PT4_.has_recursion, 0
	.set _ZL24rocblas_dot_kernel_magsqIiLb0ELi512ELi8ELb0EDF16_PKPKDF16_fEviT5_lT_liPT6_PT4_.has_indirect_call, 0
	.section	.AMDGPU.csdata,"",@progbits
; Kernel info:
; codeLenInByte = 960
; TotalNumSgprs: 30
; NumVgprs: 13
; ScratchSize: 0
; MemoryBound: 0
; FloatMode: 240
; IeeeMode: 1
; LDSByteSize: 128 bytes/workgroup (compile time only)
; SGPRBlocks: 0
; VGPRBlocks: 0
; NumSGPRsForWavesPerEU: 30
; NumVGPRsForWavesPerEU: 13
; NamedBarCnt: 0
; Occupancy: 16
; WaveLimiterHint : 0
; COMPUTE_PGM_RSRC2:SCRATCH_EN: 0
; COMPUTE_PGM_RSRC2:USER_SGPR: 2
; COMPUTE_PGM_RSRC2:TRAP_HANDLER: 0
; COMPUTE_PGM_RSRC2:TGID_X_EN: 1
; COMPUTE_PGM_RSRC2:TGID_Y_EN: 0
; COMPUTE_PGM_RSRC2:TGID_Z_EN: 1
; COMPUTE_PGM_RSRC2:TIDIG_COMP_CNT: 0
	.section	.text._ZL28rocblas_dot_batched_4_kernelIiLi32ELi4ELb1EfDF16_PKDF16_EviT5_lT_lS2_lS3_liPT4_,"axG",@progbits,_ZL28rocblas_dot_batched_4_kernelIiLi32ELi4ELb1EfDF16_PKDF16_EviT5_lT_lS2_lS3_liPT4_,comdat
	.globl	_ZL28rocblas_dot_batched_4_kernelIiLi32ELi4ELb1EfDF16_PKDF16_EviT5_lT_lS2_lS3_liPT4_ ; -- Begin function _ZL28rocblas_dot_batched_4_kernelIiLi32ELi4ELb1EfDF16_PKDF16_EviT5_lT_lS2_lS3_liPT4_
	.p2align	8
	.type	_ZL28rocblas_dot_batched_4_kernelIiLi32ELi4ELb1EfDF16_PKDF16_EviT5_lT_lS2_lS3_liPT4_,@function
_ZL28rocblas_dot_batched_4_kernelIiLi32ELi4ELb1EfDF16_PKDF16_EviT5_lT_lS2_lS3_liPT4_: ; @_ZL28rocblas_dot_batched_4_kernelIiLi32ELi4ELb1EfDF16_PKDF16_EviT5_lT_lS2_lS3_liPT4_
; %bb.0:
	s_load_b32 s2, s[0:1], 0x48
	s_bfe_u32 s3, ttmp6, 0x4000c
	s_and_b32 s4, ttmp6, 15
	s_add_co_i32 s3, s3, 1
	v_bfe_u32 v1, v0, 10, 10
	s_mul_i32 s3, ttmp9, s3
	s_delay_alu instid0(SALU_CYCLE_1) | instskip(SKIP_1) | instid1(SALU_CYCLE_1)
	s_add_co_i32 s4, s4, s3
	s_getreg_b32 s3, hwreg(HW_REG_IB_STS2, 6, 4)
	s_cmp_eq_u32 s3, 0
	s_cselect_b32 s3, ttmp9, s4
	s_delay_alu instid0(SALU_CYCLE_1) | instskip(SKIP_1) | instid1(VALU_DEP_1)
	v_lshl_add_u32 v2, s3, 2, v1
	s_wait_kmcnt 0x0
	v_cmp_gt_u32_e32 vcc_lo, s2, v2
	s_and_saveexec_b32 s2, vcc_lo
	s_cbranch_execz .LBB156_7
; %bb.1:
	s_load_b32 s6, s[0:1], 0x0
	v_mov_b32_e32 v3, 0
	v_and_b32_e32 v0, 0x3ff, v0
	s_mov_b32 s7, exec_lo
	s_delay_alu instid0(VALU_DEP_2) | instskip(SKIP_1) | instid1(VALU_DEP_2)
	v_mov_b32_e32 v1, v3
	s_wait_kmcnt 0x0
	v_cmpx_gt_i32_e64 s6, v0
	s_cbranch_execz .LBB156_5
; %bb.2:
	s_clause 0x3
	s_load_b128 s[8:11], s[0:1], 0x20
	s_load_b64 s[2:3], s[0:1], 0x40
	s_load_b32 s4, s[0:1], 0x18
	s_load_b96 s[16:18], s[0:1], 0x30
	v_mov_b32_e32 v1, 0
	s_load_b128 s[12:15], s[0:1], 0x8
	s_wait_kmcnt 0x0
	v_mul_u64_e32 v[4:5], s[8:9], v[2:3]
	v_mul_u64_e32 v[6:7], s[2:3], v[2:3]
	s_ashr_i32 s5, s4, 31
	s_ashr_i32 s9, s18, 31
	v_mul_u64_e32 v[8:9], s[4:5], v[0:1]
	s_mov_b32 s8, s18
	s_lshl_b64 s[2:3], s[14:15], 1
	s_lshl_b64 s[14:15], s[16:17], 1
	s_add_nc_u64 s[2:3], s[12:13], s[2:3]
	s_add_nc_u64 s[10:11], s[10:11], s[14:15]
	s_delay_alu instid0(VALU_DEP_3) | instskip(NEXT) | instid1(VALU_DEP_3)
	v_lshlrev_b64_e32 v[4:5], 1, v[4:5]
	v_lshlrev_b64_e32 v[6:7], 1, v[6:7]
	s_delay_alu instid0(VALU_DEP_2) | instskip(SKIP_2) | instid1(VALU_DEP_3)
	v_lshl_add_u64 v[4:5], v[8:9], 1, v[4:5]
	v_mov_b32_e32 v8, v0
	v_mul_u64_e32 v[10:11], s[8:9], v[0:1]
	v_add_nc_u64_e32 v[4:5], s[2:3], v[4:5]
	s_lshl_b64 s[2:3], s[4:5], 6
	s_lshl_b64 s[4:5], s[8:9], 6
	s_mov_b32 s8, 0
	s_delay_alu instid0(VALU_DEP_2) | instskip(NEXT) | instid1(VALU_DEP_1)
	v_lshl_add_u64 v[6:7], v[10:11], 1, v[6:7]
	v_add_nc_u64_e32 v[6:7], s[10:11], v[6:7]
.LBB156_3:                              ; =>This Inner Loop Header: Depth=1
	global_load_u16 v9, v[4:5], off
	global_load_u16 v10, v[6:7], off
	v_add_nc_u32_e32 v8, 32, v8
	s_wait_xcnt 0x1
	v_add_nc_u64_e32 v[4:5], s[2:3], v[4:5]
	s_wait_xcnt 0x0
	v_add_nc_u64_e32 v[6:7], s[4:5], v[6:7]
	v_cmp_le_i32_e32 vcc_lo, s6, v8
	s_or_b32 s8, vcc_lo, s8
	s_wait_loadcnt 0x0
	v_fma_mix_f32 v1, v9, v10, v1 op_sel_hi:[1,1,0]
	s_and_not1_b32 exec_lo, exec_lo, s8
	s_cbranch_execnz .LBB156_3
; %bb.4:
	s_or_b32 exec_lo, exec_lo, s8
.LBB156_5:
	s_delay_alu instid0(SALU_CYCLE_1) | instskip(SKIP_4) | instid1(VALU_DEP_1)
	s_or_b32 exec_lo, exec_lo, s7
	v_mbcnt_lo_u32_b32 v4, -1, 0
	s_load_b64 s[0:1], s[0:1], 0x50
	s_barrier_signal -1
	s_barrier_wait -1
	v_lshl_or_b32 v5, v4, 2, 64
	v_cmp_gt_u32_e32 vcc_lo, 24, v4
	ds_bpermute_b32 v5, v5, v1
	v_cndmask_b32_e64 v6, 0, 8, vcc_lo
	v_cmp_gt_u32_e32 vcc_lo, 28, v4
	s_delay_alu instid0(VALU_DEP_2)
	v_add_lshl_u32 v6, v6, v4, 2
	s_wait_dscnt 0x0
	v_add_f32_e32 v1, v1, v5
	ds_bpermute_b32 v5, v6, v1
	v_cndmask_b32_e64 v6, 0, 4, vcc_lo
	v_cmp_gt_u32_e32 vcc_lo, 30, v4
	s_delay_alu instid0(VALU_DEP_2)
	v_add_lshl_u32 v6, v6, v4, 2
	s_wait_dscnt 0x0
	v_add_f32_e32 v1, v1, v5
	ds_bpermute_b32 v5, v6, v1
	v_cndmask_b32_e64 v6, 0, 2, vcc_lo
	v_cmp_ne_u32_e32 vcc_lo, 31, v4
	s_delay_alu instid0(VALU_DEP_2) | instskip(SKIP_3) | instid1(VALU_DEP_2)
	v_add_lshl_u32 v6, v6, v4, 2
	v_add_co_ci_u32_e64 v4, null, 0, v4, vcc_lo
	v_cmp_eq_u32_e32 vcc_lo, 0, v0
	s_wait_dscnt 0x0
	v_dual_add_f32 v1, v1, v5 :: v_dual_lshlrev_b32 v4, 2, v4
	ds_bpermute_b32 v5, v6, v1
	s_wait_dscnt 0x0
	v_add_f32_e32 v1, v1, v5
	ds_bpermute_b32 v4, v4, v1
	s_and_b32 exec_lo, exec_lo, vcc_lo
	s_cbranch_execz .LBB156_7
; %bb.6:
	s_wait_dscnt 0x0
	v_add_f32_e32 v4, v1, v4
	s_wait_kmcnt 0x0
	v_lshl_add_u64 v[0:1], v[2:3], 1, s[0:1]
	s_delay_alu instid0(VALU_DEP_2)
	v_cvt_f16_f32_e32 v2, v4
	global_store_b16 v[0:1], v2, off
.LBB156_7:
	s_endpgm
	.section	.rodata,"a",@progbits
	.p2align	6, 0x0
	.amdhsa_kernel _ZL28rocblas_dot_batched_4_kernelIiLi32ELi4ELb1EfDF16_PKDF16_EviT5_lT_lS2_lS3_liPT4_
		.amdhsa_group_segment_fixed_size 0
		.amdhsa_private_segment_fixed_size 0
		.amdhsa_kernarg_size 88
		.amdhsa_user_sgpr_count 2
		.amdhsa_user_sgpr_dispatch_ptr 0
		.amdhsa_user_sgpr_queue_ptr 0
		.amdhsa_user_sgpr_kernarg_segment_ptr 1
		.amdhsa_user_sgpr_dispatch_id 0
		.amdhsa_user_sgpr_kernarg_preload_length 0
		.amdhsa_user_sgpr_kernarg_preload_offset 0
		.amdhsa_user_sgpr_private_segment_size 0
		.amdhsa_wavefront_size32 1
		.amdhsa_uses_dynamic_stack 0
		.amdhsa_enable_private_segment 0
		.amdhsa_system_sgpr_workgroup_id_x 1
		.amdhsa_system_sgpr_workgroup_id_y 0
		.amdhsa_system_sgpr_workgroup_id_z 0
		.amdhsa_system_sgpr_workgroup_info 0
		.amdhsa_system_vgpr_workitem_id 1
		.amdhsa_next_free_vgpr 12
		.amdhsa_next_free_sgpr 19
		.amdhsa_named_barrier_count 0
		.amdhsa_reserve_vcc 1
		.amdhsa_float_round_mode_32 0
		.amdhsa_float_round_mode_16_64 0
		.amdhsa_float_denorm_mode_32 3
		.amdhsa_float_denorm_mode_16_64 3
		.amdhsa_fp16_overflow 0
		.amdhsa_memory_ordered 1
		.amdhsa_forward_progress 1
		.amdhsa_inst_pref_size 5
		.amdhsa_round_robin_scheduling 0
		.amdhsa_exception_fp_ieee_invalid_op 0
		.amdhsa_exception_fp_denorm_src 0
		.amdhsa_exception_fp_ieee_div_zero 0
		.amdhsa_exception_fp_ieee_overflow 0
		.amdhsa_exception_fp_ieee_underflow 0
		.amdhsa_exception_fp_ieee_inexact 0
		.amdhsa_exception_int_div_zero 0
	.end_amdhsa_kernel
	.section	.text._ZL28rocblas_dot_batched_4_kernelIiLi32ELi4ELb1EfDF16_PKDF16_EviT5_lT_lS2_lS3_liPT4_,"axG",@progbits,_ZL28rocblas_dot_batched_4_kernelIiLi32ELi4ELb1EfDF16_PKDF16_EviT5_lT_lS2_lS3_liPT4_,comdat
.Lfunc_end156:
	.size	_ZL28rocblas_dot_batched_4_kernelIiLi32ELi4ELb1EfDF16_PKDF16_EviT5_lT_lS2_lS3_liPT4_, .Lfunc_end156-_ZL28rocblas_dot_batched_4_kernelIiLi32ELi4ELb1EfDF16_PKDF16_EviT5_lT_lS2_lS3_liPT4_
                                        ; -- End function
	.set _ZL28rocblas_dot_batched_4_kernelIiLi32ELi4ELb1EfDF16_PKDF16_EviT5_lT_lS2_lS3_liPT4_.num_vgpr, 12
	.set _ZL28rocblas_dot_batched_4_kernelIiLi32ELi4ELb1EfDF16_PKDF16_EviT5_lT_lS2_lS3_liPT4_.num_agpr, 0
	.set _ZL28rocblas_dot_batched_4_kernelIiLi32ELi4ELb1EfDF16_PKDF16_EviT5_lT_lS2_lS3_liPT4_.numbered_sgpr, 19
	.set _ZL28rocblas_dot_batched_4_kernelIiLi32ELi4ELb1EfDF16_PKDF16_EviT5_lT_lS2_lS3_liPT4_.num_named_barrier, 0
	.set _ZL28rocblas_dot_batched_4_kernelIiLi32ELi4ELb1EfDF16_PKDF16_EviT5_lT_lS2_lS3_liPT4_.private_seg_size, 0
	.set _ZL28rocblas_dot_batched_4_kernelIiLi32ELi4ELb1EfDF16_PKDF16_EviT5_lT_lS2_lS3_liPT4_.uses_vcc, 1
	.set _ZL28rocblas_dot_batched_4_kernelIiLi32ELi4ELb1EfDF16_PKDF16_EviT5_lT_lS2_lS3_liPT4_.uses_flat_scratch, 0
	.set _ZL28rocblas_dot_batched_4_kernelIiLi32ELi4ELb1EfDF16_PKDF16_EviT5_lT_lS2_lS3_liPT4_.has_dyn_sized_stack, 0
	.set _ZL28rocblas_dot_batched_4_kernelIiLi32ELi4ELb1EfDF16_PKDF16_EviT5_lT_lS2_lS3_liPT4_.has_recursion, 0
	.set _ZL28rocblas_dot_batched_4_kernelIiLi32ELi4ELb1EfDF16_PKDF16_EviT5_lT_lS2_lS3_liPT4_.has_indirect_call, 0
	.section	.AMDGPU.csdata,"",@progbits
; Kernel info:
; codeLenInByte = 620
; TotalNumSgprs: 21
; NumVgprs: 12
; ScratchSize: 0
; MemoryBound: 0
; FloatMode: 240
; IeeeMode: 1
; LDSByteSize: 0 bytes/workgroup (compile time only)
; SGPRBlocks: 0
; VGPRBlocks: 0
; NumSGPRsForWavesPerEU: 21
; NumVGPRsForWavesPerEU: 12
; NamedBarCnt: 0
; Occupancy: 16
; WaveLimiterHint : 0
; COMPUTE_PGM_RSRC2:SCRATCH_EN: 0
; COMPUTE_PGM_RSRC2:USER_SGPR: 2
; COMPUTE_PGM_RSRC2:TRAP_HANDLER: 0
; COMPUTE_PGM_RSRC2:TGID_X_EN: 1
; COMPUTE_PGM_RSRC2:TGID_Y_EN: 0
; COMPUTE_PGM_RSRC2:TGID_Z_EN: 0
; COMPUTE_PGM_RSRC2:TIDIG_COMP_CNT: 1
	.section	.text._ZL28rocblas_dot_batched_4_kernelIiLi64ELi4ELb1EfDF16_PKDF16_EviT5_lT_lS2_lS3_liPT4_,"axG",@progbits,_ZL28rocblas_dot_batched_4_kernelIiLi64ELi4ELb1EfDF16_PKDF16_EviT5_lT_lS2_lS3_liPT4_,comdat
	.globl	_ZL28rocblas_dot_batched_4_kernelIiLi64ELi4ELb1EfDF16_PKDF16_EviT5_lT_lS2_lS3_liPT4_ ; -- Begin function _ZL28rocblas_dot_batched_4_kernelIiLi64ELi4ELb1EfDF16_PKDF16_EviT5_lT_lS2_lS3_liPT4_
	.p2align	8
	.type	_ZL28rocblas_dot_batched_4_kernelIiLi64ELi4ELb1EfDF16_PKDF16_EviT5_lT_lS2_lS3_liPT4_,@function
_ZL28rocblas_dot_batched_4_kernelIiLi64ELi4ELb1EfDF16_PKDF16_EviT5_lT_lS2_lS3_liPT4_: ; @_ZL28rocblas_dot_batched_4_kernelIiLi64ELi4ELb1EfDF16_PKDF16_EviT5_lT_lS2_lS3_liPT4_
; %bb.0:
	s_load_b32 s2, s[0:1], 0x48
	s_bfe_u32 s3, ttmp6, 0x4000c
	s_and_b32 s4, ttmp6, 15
	s_add_co_i32 s3, s3, 1
	v_bfe_u32 v1, v0, 10, 10
	s_mul_i32 s3, ttmp9, s3
	s_delay_alu instid0(SALU_CYCLE_1) | instskip(SKIP_1) | instid1(SALU_CYCLE_1)
	s_add_co_i32 s4, s4, s3
	s_getreg_b32 s3, hwreg(HW_REG_IB_STS2, 6, 4)
	s_cmp_eq_u32 s3, 0
	s_cselect_b32 s3, ttmp9, s4
	s_delay_alu instid0(SALU_CYCLE_1) | instskip(SKIP_1) | instid1(VALU_DEP_1)
	v_lshl_add_u32 v2, s3, 2, v1
	s_wait_kmcnt 0x0
	v_cmp_gt_u32_e32 vcc_lo, s2, v2
	s_and_saveexec_b32 s2, vcc_lo
	s_cbranch_execz .LBB157_7
; %bb.1:
	s_load_b32 s6, s[0:1], 0x0
	v_mov_b32_e32 v3, 0
	v_and_b32_e32 v0, 0x3ff, v0
	s_mov_b32 s7, exec_lo
	s_delay_alu instid0(VALU_DEP_2) | instskip(SKIP_1) | instid1(VALU_DEP_2)
	v_mov_b32_e32 v1, v3
	s_wait_kmcnt 0x0
	v_cmpx_gt_i32_e64 s6, v0
	s_cbranch_execz .LBB157_5
; %bb.2:
	s_clause 0x3
	s_load_b128 s[8:11], s[0:1], 0x20
	s_load_b64 s[2:3], s[0:1], 0x40
	s_load_b32 s4, s[0:1], 0x18
	s_load_b96 s[16:18], s[0:1], 0x30
	v_mov_b32_e32 v1, 0
	s_load_b128 s[12:15], s[0:1], 0x8
	s_wait_kmcnt 0x0
	v_mul_u64_e32 v[4:5], s[8:9], v[2:3]
	v_mul_u64_e32 v[6:7], s[2:3], v[2:3]
	s_ashr_i32 s5, s4, 31
	s_ashr_i32 s9, s18, 31
	v_mul_u64_e32 v[8:9], s[4:5], v[0:1]
	s_mov_b32 s8, s18
	s_lshl_b64 s[2:3], s[14:15], 1
	s_lshl_b64 s[14:15], s[16:17], 1
	s_add_nc_u64 s[2:3], s[12:13], s[2:3]
	s_add_nc_u64 s[10:11], s[10:11], s[14:15]
	s_delay_alu instid0(VALU_DEP_3) | instskip(NEXT) | instid1(VALU_DEP_3)
	v_lshlrev_b64_e32 v[4:5], 1, v[4:5]
	v_lshlrev_b64_e32 v[6:7], 1, v[6:7]
	s_delay_alu instid0(VALU_DEP_2) | instskip(SKIP_2) | instid1(VALU_DEP_3)
	v_lshl_add_u64 v[4:5], v[8:9], 1, v[4:5]
	v_mov_b32_e32 v8, v0
	v_mul_u64_e32 v[10:11], s[8:9], v[0:1]
	v_add_nc_u64_e32 v[4:5], s[2:3], v[4:5]
	s_lshl_b64 s[2:3], s[4:5], 7
	s_lshl_b64 s[4:5], s[8:9], 7
	s_mov_b32 s8, 0
	s_delay_alu instid0(VALU_DEP_2) | instskip(NEXT) | instid1(VALU_DEP_1)
	v_lshl_add_u64 v[6:7], v[10:11], 1, v[6:7]
	v_add_nc_u64_e32 v[6:7], s[10:11], v[6:7]
.LBB157_3:                              ; =>This Inner Loop Header: Depth=1
	global_load_u16 v9, v[4:5], off
	global_load_u16 v10, v[6:7], off
	v_add_nc_u32_e32 v8, 64, v8
	s_wait_xcnt 0x1
	v_add_nc_u64_e32 v[4:5], s[2:3], v[4:5]
	s_wait_xcnt 0x0
	v_add_nc_u64_e32 v[6:7], s[4:5], v[6:7]
	v_cmp_le_i32_e32 vcc_lo, s6, v8
	s_or_b32 s8, vcc_lo, s8
	s_wait_loadcnt 0x0
	v_fma_mix_f32 v1, v9, v10, v1 op_sel_hi:[1,1,0]
	s_and_not1_b32 exec_lo, exec_lo, s8
	s_cbranch_execnz .LBB157_3
; %bb.4:
	s_or_b32 exec_lo, exec_lo, s8
.LBB157_5:
	s_delay_alu instid0(SALU_CYCLE_1) | instskip(SKIP_4) | instid1(VALU_DEP_1)
	s_or_b32 exec_lo, exec_lo, s7
	v_mbcnt_lo_u32_b32 v4, -1, 0
	s_load_b64 s[0:1], s[0:1], 0x50
	s_barrier_signal -1
	s_barrier_wait -1
	v_lshlrev_b32_e32 v5, 2, v4
	v_cmp_gt_u32_e32 vcc_lo, 24, v4
	ds_bpermute_b32 v6, v5, v1
	s_wait_dscnt 0x0
	v_dual_add_f32 v1, v1, v6 :: v_dual_bitop2_b32 v5, 64, v5 bitop3:0x54
	v_cndmask_b32_e64 v6, 0, 8, vcc_lo
	v_cmp_gt_u32_e32 vcc_lo, 28, v4
	ds_bpermute_b32 v5, v5, v1
	v_add_lshl_u32 v6, v6, v4, 2
	s_wait_dscnt 0x0
	v_add_f32_e32 v1, v1, v5
	ds_bpermute_b32 v5, v6, v1
	v_cndmask_b32_e64 v6, 0, 4, vcc_lo
	v_cmp_gt_u32_e32 vcc_lo, 30, v4
	s_delay_alu instid0(VALU_DEP_2)
	v_add_lshl_u32 v6, v6, v4, 2
	s_wait_dscnt 0x0
	v_add_f32_e32 v1, v1, v5
	ds_bpermute_b32 v5, v6, v1
	v_cndmask_b32_e64 v6, 0, 2, vcc_lo
	v_cmp_ne_u32_e32 vcc_lo, 31, v4
	s_delay_alu instid0(VALU_DEP_2) | instskip(SKIP_3) | instid1(VALU_DEP_2)
	v_add_lshl_u32 v6, v6, v4, 2
	v_add_co_ci_u32_e64 v4, null, 0, v4, vcc_lo
	v_cmp_eq_u32_e32 vcc_lo, 0, v0
	s_wait_dscnt 0x0
	v_dual_add_f32 v1, v1, v5 :: v_dual_lshlrev_b32 v4, 2, v4
	ds_bpermute_b32 v5, v6, v1
	s_wait_dscnt 0x0
	v_add_f32_e32 v1, v1, v5
	ds_bpermute_b32 v4, v4, v1
	s_and_b32 exec_lo, exec_lo, vcc_lo
	s_cbranch_execz .LBB157_7
; %bb.6:
	s_wait_dscnt 0x0
	v_add_f32_e32 v4, v1, v4
	s_wait_kmcnt 0x0
	v_lshl_add_u64 v[0:1], v[2:3], 1, s[0:1]
	s_delay_alu instid0(VALU_DEP_2)
	v_cvt_f16_f32_e32 v2, v4
	global_store_b16 v[0:1], v2, off
.LBB157_7:
	s_endpgm
	.section	.rodata,"a",@progbits
	.p2align	6, 0x0
	.amdhsa_kernel _ZL28rocblas_dot_batched_4_kernelIiLi64ELi4ELb1EfDF16_PKDF16_EviT5_lT_lS2_lS3_liPT4_
		.amdhsa_group_segment_fixed_size 0
		.amdhsa_private_segment_fixed_size 0
		.amdhsa_kernarg_size 88
		.amdhsa_user_sgpr_count 2
		.amdhsa_user_sgpr_dispatch_ptr 0
		.amdhsa_user_sgpr_queue_ptr 0
		.amdhsa_user_sgpr_kernarg_segment_ptr 1
		.amdhsa_user_sgpr_dispatch_id 0
		.amdhsa_user_sgpr_kernarg_preload_length 0
		.amdhsa_user_sgpr_kernarg_preload_offset 0
		.amdhsa_user_sgpr_private_segment_size 0
		.amdhsa_wavefront_size32 1
		.amdhsa_uses_dynamic_stack 0
		.amdhsa_enable_private_segment 0
		.amdhsa_system_sgpr_workgroup_id_x 1
		.amdhsa_system_sgpr_workgroup_id_y 0
		.amdhsa_system_sgpr_workgroup_id_z 0
		.amdhsa_system_sgpr_workgroup_info 0
		.amdhsa_system_vgpr_workitem_id 1
		.amdhsa_next_free_vgpr 12
		.amdhsa_next_free_sgpr 19
		.amdhsa_named_barrier_count 0
		.amdhsa_reserve_vcc 1
		.amdhsa_float_round_mode_32 0
		.amdhsa_float_round_mode_16_64 0
		.amdhsa_float_denorm_mode_32 3
		.amdhsa_float_denorm_mode_16_64 3
		.amdhsa_fp16_overflow 0
		.amdhsa_memory_ordered 1
		.amdhsa_forward_progress 1
		.amdhsa_inst_pref_size 5
		.amdhsa_round_robin_scheduling 0
		.amdhsa_exception_fp_ieee_invalid_op 0
		.amdhsa_exception_fp_denorm_src 0
		.amdhsa_exception_fp_ieee_div_zero 0
		.amdhsa_exception_fp_ieee_overflow 0
		.amdhsa_exception_fp_ieee_underflow 0
		.amdhsa_exception_fp_ieee_inexact 0
		.amdhsa_exception_int_div_zero 0
	.end_amdhsa_kernel
	.section	.text._ZL28rocblas_dot_batched_4_kernelIiLi64ELi4ELb1EfDF16_PKDF16_EviT5_lT_lS2_lS3_liPT4_,"axG",@progbits,_ZL28rocblas_dot_batched_4_kernelIiLi64ELi4ELb1EfDF16_PKDF16_EviT5_lT_lS2_lS3_liPT4_,comdat
.Lfunc_end157:
	.size	_ZL28rocblas_dot_batched_4_kernelIiLi64ELi4ELb1EfDF16_PKDF16_EviT5_lT_lS2_lS3_liPT4_, .Lfunc_end157-_ZL28rocblas_dot_batched_4_kernelIiLi64ELi4ELb1EfDF16_PKDF16_EviT5_lT_lS2_lS3_liPT4_
                                        ; -- End function
	.set _ZL28rocblas_dot_batched_4_kernelIiLi64ELi4ELb1EfDF16_PKDF16_EviT5_lT_lS2_lS3_liPT4_.num_vgpr, 12
	.set _ZL28rocblas_dot_batched_4_kernelIiLi64ELi4ELb1EfDF16_PKDF16_EviT5_lT_lS2_lS3_liPT4_.num_agpr, 0
	.set _ZL28rocblas_dot_batched_4_kernelIiLi64ELi4ELb1EfDF16_PKDF16_EviT5_lT_lS2_lS3_liPT4_.numbered_sgpr, 19
	.set _ZL28rocblas_dot_batched_4_kernelIiLi64ELi4ELb1EfDF16_PKDF16_EviT5_lT_lS2_lS3_liPT4_.num_named_barrier, 0
	.set _ZL28rocblas_dot_batched_4_kernelIiLi64ELi4ELb1EfDF16_PKDF16_EviT5_lT_lS2_lS3_liPT4_.private_seg_size, 0
	.set _ZL28rocblas_dot_batched_4_kernelIiLi64ELi4ELb1EfDF16_PKDF16_EviT5_lT_lS2_lS3_liPT4_.uses_vcc, 1
	.set _ZL28rocblas_dot_batched_4_kernelIiLi64ELi4ELb1EfDF16_PKDF16_EviT5_lT_lS2_lS3_liPT4_.uses_flat_scratch, 0
	.set _ZL28rocblas_dot_batched_4_kernelIiLi64ELi4ELb1EfDF16_PKDF16_EviT5_lT_lS2_lS3_liPT4_.has_dyn_sized_stack, 0
	.set _ZL28rocblas_dot_batched_4_kernelIiLi64ELi4ELb1EfDF16_PKDF16_EviT5_lT_lS2_lS3_liPT4_.has_recursion, 0
	.set _ZL28rocblas_dot_batched_4_kernelIiLi64ELi4ELb1EfDF16_PKDF16_EviT5_lT_lS2_lS3_liPT4_.has_indirect_call, 0
	.section	.AMDGPU.csdata,"",@progbits
; Kernel info:
; codeLenInByte = 636
; TotalNumSgprs: 21
; NumVgprs: 12
; ScratchSize: 0
; MemoryBound: 0
; FloatMode: 240
; IeeeMode: 1
; LDSByteSize: 0 bytes/workgroup (compile time only)
; SGPRBlocks: 0
; VGPRBlocks: 0
; NumSGPRsForWavesPerEU: 21
; NumVGPRsForWavesPerEU: 12
; NamedBarCnt: 0
; Occupancy: 16
; WaveLimiterHint : 0
; COMPUTE_PGM_RSRC2:SCRATCH_EN: 0
; COMPUTE_PGM_RSRC2:USER_SGPR: 2
; COMPUTE_PGM_RSRC2:TRAP_HANDLER: 0
; COMPUTE_PGM_RSRC2:TGID_X_EN: 1
; COMPUTE_PGM_RSRC2:TGID_Y_EN: 0
; COMPUTE_PGM_RSRC2:TGID_Z_EN: 0
; COMPUTE_PGM_RSRC2:TIDIG_COMP_CNT: 1
	.section	.text._ZL26rocblas_dot_kernel_inc1by2ILb1ELi1024ELi32ELb1EDF16_PKDF16_fEviT4_llS2_lliPT5_PT3_,"axG",@progbits,_ZL26rocblas_dot_kernel_inc1by2ILb1ELi1024ELi32ELb1EDF16_PKDF16_fEviT4_llS2_lliPT5_PT3_,comdat
	.globl	_ZL26rocblas_dot_kernel_inc1by2ILb1ELi1024ELi32ELb1EDF16_PKDF16_fEviT4_llS2_lliPT5_PT3_ ; -- Begin function _ZL26rocblas_dot_kernel_inc1by2ILb1ELi1024ELi32ELb1EDF16_PKDF16_fEviT4_llS2_lliPT5_PT3_
	.p2align	8
	.type	_ZL26rocblas_dot_kernel_inc1by2ILb1ELi1024ELi32ELb1EDF16_PKDF16_fEviT4_llS2_lliPT5_PT3_,@function
_ZL26rocblas_dot_kernel_inc1by2ILb1ELi1024ELi32ELb1EDF16_PKDF16_fEviT4_llS2_lliPT5_PT3_: ; @_ZL26rocblas_dot_kernel_inc1by2ILb1ELi1024ELi32ELb1EDF16_PKDF16_fEviT4_llS2_lliPT5_PT3_
; %bb.0:
	s_load_b32 s3, s[0:1], 0x38
	s_bfe_u32 s2, ttmp6, 0x40014
	s_lshr_b32 s4, ttmp7, 16
	s_add_co_i32 s2, s2, 1
	s_bfe_u32 s5, ttmp6, 0x40008
	s_mul_i32 s2, s4, s2
	s_getreg_b32 s6, hwreg(HW_REG_IB_STS2, 6, 4)
	s_add_co_i32 s5, s5, s2
	s_cmp_eq_u32 s6, 0
	s_mov_b32 s13, 0
	s_cselect_b32 s12, s4, s5
	s_wait_kmcnt 0x0
	s_cmp_ge_u32 s12, s3
	s_cbranch_scc1 .LBB158_19
; %bb.1:
	s_clause 0x4
	s_load_b32 s20, s[0:1], 0x0
	s_load_b128 s[4:7], s[0:1], 0x10
	s_load_b128 s[8:11], s[0:1], 0x28
	s_load_b64 s[16:17], s[0:1], 0x8
	s_load_b64 s[18:19], s[0:1], 0x20
	v_mbcnt_lo_u32_b32 v2, -1, 0
	s_load_b64 s[14:15], s[0:1], 0x48
	v_dual_mov_b32 v13, 0 :: v_dual_bitop2_b32 v1, 31, v0 bitop3:0x40
	v_cmp_gt_u32_e32 vcc_lo, 32, v0
	s_wait_xcnt 0x0
	v_cmp_gt_u32_e64 s0, 24, v2
	v_lshl_or_b32 v7, v2, 2, 64
	s_delay_alu instid0(VALU_DEP_2) | instskip(SKIP_1) | instid1(VALU_DEP_2)
	v_cndmask_b32_e64 v3, 0, 8, s0
	v_cmp_gt_u32_e64 s0, 28, v2
	v_add_lshl_u32 v8, v3, v2, 2
	s_delay_alu instid0(VALU_DEP_2)
	v_cndmask_b32_e64 v4, 0, 4, s0
	s_wait_kmcnt 0x0
	s_lshl_b64 s[0:1], s[4:5], 1
	v_lshrrev_b32_e32 v3, 3, v0
	s_add_nc_u64 s[4:5], s[16:17], s[0:1]
	v_cmp_gt_u32_e64 s0, 30, v2
	s_ashr_i32 s21, s20, 31
	s_lshl_b64 s[8:9], s[8:9], 1
	s_add_co_i32 s22, s20, -1
	v_add_lshl_u32 v9, v4, v2, 2
	v_cndmask_b32_e64 v5, 0, 2, s0
	v_cmp_ne_u32_e64 s0, 31, v2
	v_and_b32_e32 v12, 0x7c, v3
	v_cmp_eq_u32_e64 s1, 0, v0
	s_bitcmp1_b32 s20, 0
	v_add_lshl_u32 v10, v5, v2, 2
	v_add_co_ci_u32_e64 v11, null, 0, v2, s0
	v_lshlrev_b32_e32 v6, 2, v1
	v_cmp_eq_u32_e64 s0, 0, v1
	s_add_nc_u64 s[8:9], s[18:19], s[8:9]
	v_lshlrev_b32_e32 v11, 2, v11
	s_cselect_b32 s23, -1, 0
	s_lshl_b64 s[16:17], s[10:11], 1
	s_lshl_b64 s[18:19], s[6:7], 1
	;; [unrolled: 1-line block ×3, first 2 shown]
	s_branch .LBB158_3
.LBB158_2:                              ;   in Loop: Header=BB158_3 Depth=1
	s_wait_xcnt 0x0
	s_or_b32 exec_lo, exec_lo, s2
	s_add_co_i32 s12, s12, 0x10000
	s_delay_alu instid0(SALU_CYCLE_1)
	s_cmp_lt_u32 s12, s3
	s_cbranch_scc0 .LBB158_19
.LBB158_3:                              ; =>This Loop Header: Depth=1
                                        ;     Child Loop BB158_5 Depth 2
	s_wait_dscnt 0x0
	v_dual_mov_b32 v1, 0 :: v_dual_lshlrev_b32 v0, 1, v0
	s_mov_b32 s24, exec_lo
	s_delay_alu instid0(VALU_DEP_1)
	v_cmpx_gt_i32_e64 s22, v0
	s_cbranch_execz .LBB158_7
; %bb.4:                                ;   in Loop: Header=BB158_3 Depth=1
	v_ashrrev_i32_e32 v1, 31, v0
	s_mul_u64 s[26:27], s[16:17], s[12:13]
	s_mul_u64 s[28:29], s[18:19], s[12:13]
	s_add_nc_u64 s[26:27], s[8:9], s[26:27]
	s_add_nc_u64 s[28:29], s[4:5], s[28:29]
	v_lshlrev_b64_e32 v[4:5], 1, v[0:1]
	v_mov_b32_e32 v1, 0
	s_mov_b32 s25, 0
	s_mov_b32 s2, 0
	s_delay_alu instid0(VALU_DEP_2)
	v_add_nc_u64_e32 v[2:3], s[26:27], v[4:5]
	v_add_nc_u64_e32 v[4:5], s[28:29], v[4:5]
.LBB158_5:                              ;   Parent Loop BB158_3 Depth=1
                                        ; =>  This Inner Loop Header: Depth=2
	global_load_b32 v14, v[2:3], off
	global_load_b32 v15, v[4:5], off
	s_add_co_i32 s26, s2, 1
	s_cmp_gt_u32 s2, 30
	s_wait_xcnt 0x1
	v_add_nc_u64_e32 v[2:3], 0x1000, v[2:3]
	s_cselect_b32 s27, -1, 0
	s_wait_xcnt 0x0
	v_add_nc_u64_e32 v[4:5], 0x1000, v[4:5]
	s_wait_loadcnt 0x0
	v_dual_lshrrev_b32 v17, 16, v14 :: v_dual_lshrrev_b32 v18, 16, v15
	v_cvt_f32_f16_e32 v14, v14
	v_cvt_f32_f16_e32 v16, v15
	s_delay_alu instid0(VALU_DEP_3) | instskip(NEXT) | instid1(VALU_DEP_4)
	v_cvt_f32_f16_e32 v15, v17
	v_cvt_f32_f16_e32 v17, v18
	s_delay_alu instid0(VALU_DEP_1) | instskip(NEXT) | instid1(VALU_DEP_1)
	v_pk_mul_f32 v[14:15], v[14:15], v[16:17]
	v_dual_add_f32 v1, v1, v14 :: v_dual_add_nc_u32 v0, 0x800, v0
	s_delay_alu instid0(VALU_DEP_1) | instskip(NEXT) | instid1(VALU_DEP_2)
	v_cmp_le_i32_e64 s2, s22, v0
	v_add_f32_e32 v1, v1, v15
	s_or_b32 s2, s27, s2
	s_delay_alu instid0(SALU_CYCLE_1) | instskip(NEXT) | instid1(SALU_CYCLE_1)
	s_and_b32 s2, exec_lo, s2
	s_or_b32 s25, s2, s25
	s_mov_b32 s2, s26
	s_and_not1_b32 exec_lo, exec_lo, s25
	s_cbranch_execnz .LBB158_5
; %bb.6:                                ;   in Loop: Header=BB158_3 Depth=1
	s_or_b32 exec_lo, exec_lo, s25
.LBB158_7:                              ;   in Loop: Header=BB158_3 Depth=1
	s_delay_alu instid0(SALU_CYCLE_1) | instskip(SKIP_2) | instid1(SALU_CYCLE_1)
	s_or_b32 exec_lo, exec_lo, s24
	v_cmp_eq_u32_e64 s2, s22, v0
	s_and_b32 s24, s23, s2
	s_and_saveexec_b32 s2, s24
	s_cbranch_execz .LBB158_9
; %bb.8:                                ;   in Loop: Header=BB158_3 Depth=1
	s_mul_u64 s[24:25], s[10:11], s[12:13]
	s_mul_u64 s[26:27], s[6:7], s[12:13]
	s_lshl_b64 s[24:25], s[24:25], 1
	s_lshl_b64 s[26:27], s[26:27], 1
	s_add_nc_u64 s[24:25], s[8:9], s[24:25]
	s_add_nc_u64 s[26:27], s[4:5], s[26:27]
	;; [unrolled: 1-line block ×4, first 2 shown]
	s_clause 0x1
	global_load_u16 v2, v13, s[24:25] offset:-2
	global_load_u16 v3, v13, s[26:27] offset:-2
	s_wait_loadcnt 0x0
	v_fma_mix_f32 v1, v2, v3, v1 op_sel_hi:[1,1,0]
.LBB158_9:                              ;   in Loop: Header=BB158_3 Depth=1
	s_wait_xcnt 0x0
	s_or_b32 exec_lo, exec_lo, s2
	s_and_saveexec_b32 s2, vcc_lo
; %bb.10:                               ;   in Loop: Header=BB158_3 Depth=1
	ds_store_b32 v6, v13
; %bb.11:                               ;   in Loop: Header=BB158_3 Depth=1
	s_or_b32 exec_lo, exec_lo, s2
	ds_bpermute_b32 v2, v7, v1
	s_wait_dscnt 0x0
	s_barrier_signal -1
	s_barrier_wait -1
	v_add_f32_e32 v1, v1, v2
	ds_bpermute_b32 v2, v8, v1
	s_wait_dscnt 0x0
	v_add_f32_e32 v1, v1, v2
	ds_bpermute_b32 v2, v9, v1
	s_wait_dscnt 0x0
	;; [unrolled: 3-line block ×3, first 2 shown]
	v_add_f32_e32 v1, v1, v2
	ds_bpermute_b32 v2, v11, v1
	s_and_saveexec_b32 s2, s0
	s_cbranch_execz .LBB158_13
; %bb.12:                               ;   in Loop: Header=BB158_3 Depth=1
	s_wait_dscnt 0x0
	v_add_f32_e32 v1, v1, v2
	ds_store_b32 v12, v1
.LBB158_13:                             ;   in Loop: Header=BB158_3 Depth=1
	s_or_b32 exec_lo, exec_lo, s2
	v_mov_b32_e32 v1, 0
	s_wait_dscnt 0x0
	s_barrier_signal -1
	s_barrier_wait -1
	s_and_saveexec_b32 s2, vcc_lo
	s_cbranch_execnz .LBB158_16
; %bb.14:                               ;   in Loop: Header=BB158_3 Depth=1
	s_or_b32 exec_lo, exec_lo, s2
	s_and_saveexec_b32 s2, vcc_lo
	s_cbranch_execnz .LBB158_17
.LBB158_15:                             ;   in Loop: Header=BB158_3 Depth=1
	s_or_b32 exec_lo, exec_lo, s2
	s_and_saveexec_b32 s2, s1
	s_cbranch_execz .LBB158_2
	s_branch .LBB158_18
.LBB158_16:                             ;   in Loop: Header=BB158_3 Depth=1
	ds_load_b32 v1, v6
	s_or_b32 exec_lo, exec_lo, s2
	s_and_saveexec_b32 s2, vcc_lo
	s_cbranch_execz .LBB158_15
.LBB158_17:                             ;   in Loop: Header=BB158_3 Depth=1
	s_wait_dscnt 0x0
	ds_bpermute_b32 v2, v7, v1
	s_wait_dscnt 0x0
	v_add_f32_e32 v1, v1, v2
	ds_bpermute_b32 v2, v8, v1
	s_wait_dscnt 0x0
	v_add_f32_e32 v1, v1, v2
	;; [unrolled: 3-line block ×5, first 2 shown]
	s_or_b32 exec_lo, exec_lo, s2
	s_and_saveexec_b32 s2, s1
	s_cbranch_execz .LBB158_2
.LBB158_18:                             ;   in Loop: Header=BB158_3 Depth=1
	s_wait_dscnt 0x0
	v_cvt_f16_f32_e32 v1, v1
	s_lshl_b64 s[24:25], s[12:13], 1
	s_delay_alu instid0(SALU_CYCLE_1)
	s_add_nc_u64 s[24:25], s[14:15], s[24:25]
	global_store_b16 v13, v1, s[24:25]
	s_branch .LBB158_2
.LBB158_19:
	s_endpgm
	.section	.rodata,"a",@progbits
	.p2align	6, 0x0
	.amdhsa_kernel _ZL26rocblas_dot_kernel_inc1by2ILb1ELi1024ELi32ELb1EDF16_PKDF16_fEviT4_llS2_lliPT5_PT3_
		.amdhsa_group_segment_fixed_size 128
		.amdhsa_private_segment_fixed_size 0
		.amdhsa_kernarg_size 80
		.amdhsa_user_sgpr_count 2
		.amdhsa_user_sgpr_dispatch_ptr 0
		.amdhsa_user_sgpr_queue_ptr 0
		.amdhsa_user_sgpr_kernarg_segment_ptr 1
		.amdhsa_user_sgpr_dispatch_id 0
		.amdhsa_user_sgpr_kernarg_preload_length 0
		.amdhsa_user_sgpr_kernarg_preload_offset 0
		.amdhsa_user_sgpr_private_segment_size 0
		.amdhsa_wavefront_size32 1
		.amdhsa_uses_dynamic_stack 0
		.amdhsa_enable_private_segment 0
		.amdhsa_system_sgpr_workgroup_id_x 1
		.amdhsa_system_sgpr_workgroup_id_y 0
		.amdhsa_system_sgpr_workgroup_id_z 1
		.amdhsa_system_sgpr_workgroup_info 0
		.amdhsa_system_vgpr_workitem_id 0
		.amdhsa_next_free_vgpr 19
		.amdhsa_next_free_sgpr 30
		.amdhsa_named_barrier_count 0
		.amdhsa_reserve_vcc 1
		.amdhsa_float_round_mode_32 0
		.amdhsa_float_round_mode_16_64 0
		.amdhsa_float_denorm_mode_32 3
		.amdhsa_float_denorm_mode_16_64 3
		.amdhsa_fp16_overflow 0
		.amdhsa_memory_ordered 1
		.amdhsa_forward_progress 1
		.amdhsa_inst_pref_size 9
		.amdhsa_round_robin_scheduling 0
		.amdhsa_exception_fp_ieee_invalid_op 0
		.amdhsa_exception_fp_denorm_src 0
		.amdhsa_exception_fp_ieee_div_zero 0
		.amdhsa_exception_fp_ieee_overflow 0
		.amdhsa_exception_fp_ieee_underflow 0
		.amdhsa_exception_fp_ieee_inexact 0
		.amdhsa_exception_int_div_zero 0
	.end_amdhsa_kernel
	.section	.text._ZL26rocblas_dot_kernel_inc1by2ILb1ELi1024ELi32ELb1EDF16_PKDF16_fEviT4_llS2_lliPT5_PT3_,"axG",@progbits,_ZL26rocblas_dot_kernel_inc1by2ILb1ELi1024ELi32ELb1EDF16_PKDF16_fEviT4_llS2_lliPT5_PT3_,comdat
.Lfunc_end158:
	.size	_ZL26rocblas_dot_kernel_inc1by2ILb1ELi1024ELi32ELb1EDF16_PKDF16_fEviT4_llS2_lliPT5_PT3_, .Lfunc_end158-_ZL26rocblas_dot_kernel_inc1by2ILb1ELi1024ELi32ELb1EDF16_PKDF16_fEviT4_llS2_lliPT5_PT3_
                                        ; -- End function
	.set _ZL26rocblas_dot_kernel_inc1by2ILb1ELi1024ELi32ELb1EDF16_PKDF16_fEviT4_llS2_lliPT5_PT3_.num_vgpr, 19
	.set _ZL26rocblas_dot_kernel_inc1by2ILb1ELi1024ELi32ELb1EDF16_PKDF16_fEviT4_llS2_lliPT5_PT3_.num_agpr, 0
	.set _ZL26rocblas_dot_kernel_inc1by2ILb1ELi1024ELi32ELb1EDF16_PKDF16_fEviT4_llS2_lliPT5_PT3_.numbered_sgpr, 30
	.set _ZL26rocblas_dot_kernel_inc1by2ILb1ELi1024ELi32ELb1EDF16_PKDF16_fEviT4_llS2_lliPT5_PT3_.num_named_barrier, 0
	.set _ZL26rocblas_dot_kernel_inc1by2ILb1ELi1024ELi32ELb1EDF16_PKDF16_fEviT4_llS2_lliPT5_PT3_.private_seg_size, 0
	.set _ZL26rocblas_dot_kernel_inc1by2ILb1ELi1024ELi32ELb1EDF16_PKDF16_fEviT4_llS2_lliPT5_PT3_.uses_vcc, 1
	.set _ZL26rocblas_dot_kernel_inc1by2ILb1ELi1024ELi32ELb1EDF16_PKDF16_fEviT4_llS2_lliPT5_PT3_.uses_flat_scratch, 0
	.set _ZL26rocblas_dot_kernel_inc1by2ILb1ELi1024ELi32ELb1EDF16_PKDF16_fEviT4_llS2_lliPT5_PT3_.has_dyn_sized_stack, 0
	.set _ZL26rocblas_dot_kernel_inc1by2ILb1ELi1024ELi32ELb1EDF16_PKDF16_fEviT4_llS2_lliPT5_PT3_.has_recursion, 0
	.set _ZL26rocblas_dot_kernel_inc1by2ILb1ELi1024ELi32ELb1EDF16_PKDF16_fEviT4_llS2_lliPT5_PT3_.has_indirect_call, 0
	.section	.AMDGPU.csdata,"",@progbits
; Kernel info:
; codeLenInByte = 1056
; TotalNumSgprs: 32
; NumVgprs: 19
; ScratchSize: 0
; MemoryBound: 0
; FloatMode: 240
; IeeeMode: 1
; LDSByteSize: 128 bytes/workgroup (compile time only)
; SGPRBlocks: 0
; VGPRBlocks: 1
; NumSGPRsForWavesPerEU: 32
; NumVGPRsForWavesPerEU: 19
; NamedBarCnt: 0
; Occupancy: 16
; WaveLimiterHint : 0
; COMPUTE_PGM_RSRC2:SCRATCH_EN: 0
; COMPUTE_PGM_RSRC2:USER_SGPR: 2
; COMPUTE_PGM_RSRC2:TRAP_HANDLER: 0
; COMPUTE_PGM_RSRC2:TGID_X_EN: 1
; COMPUTE_PGM_RSRC2:TGID_Y_EN: 0
; COMPUTE_PGM_RSRC2:TGID_Z_EN: 1
; COMPUTE_PGM_RSRC2:TIDIG_COMP_CNT: 0
	.section	.text._ZL18rocblas_dot_kernelIiLb1ELi1024ELi32ELb1EDF16_PKDF16_fEviT5_lT_lS2_lS3_liPT6_PT4_,"axG",@progbits,_ZL18rocblas_dot_kernelIiLb1ELi1024ELi32ELb1EDF16_PKDF16_fEviT5_lT_lS2_lS3_liPT6_PT4_,comdat
	.globl	_ZL18rocblas_dot_kernelIiLb1ELi1024ELi32ELb1EDF16_PKDF16_fEviT5_lT_lS2_lS3_liPT6_PT4_ ; -- Begin function _ZL18rocblas_dot_kernelIiLb1ELi1024ELi32ELb1EDF16_PKDF16_fEviT5_lT_lS2_lS3_liPT6_PT4_
	.p2align	8
	.type	_ZL18rocblas_dot_kernelIiLb1ELi1024ELi32ELb1EDF16_PKDF16_fEviT5_lT_lS2_lS3_liPT6_PT4_,@function
_ZL18rocblas_dot_kernelIiLb1ELi1024ELi32ELb1EDF16_PKDF16_fEviT5_lT_lS2_lS3_liPT6_PT4_: ; @_ZL18rocblas_dot_kernelIiLb1ELi1024ELi32ELb1EDF16_PKDF16_fEviT5_lT_lS2_lS3_liPT6_PT4_
; %bb.0:
	s_load_b32 s3, s[0:1], 0x48
	s_bfe_u32 s2, ttmp6, 0x40014
	s_lshr_b32 s4, ttmp7, 16
	s_add_co_i32 s2, s2, 1
	s_bfe_u32 s5, ttmp6, 0x40008
	s_mul_i32 s2, s4, s2
	s_getreg_b32 s6, hwreg(HW_REG_IB_STS2, 6, 4)
	s_add_co_i32 s5, s5, s2
	s_cmp_eq_u32 s6, 0
	s_mov_b32 s17, 0
	s_cselect_b32 s16, s4, s5
	s_wait_kmcnt 0x0
	s_cmp_ge_u32 s16, s3
	s_cbranch_scc1 .LBB159_17
; %bb.1:
	v_mbcnt_lo_u32_b32 v3, -1, 0
	s_clause 0x6
	s_load_b32 s24, s[0:1], 0x18
	s_load_b96 s[12:14], s[0:1], 0x30
	s_load_b96 s[8:10], s[0:1], 0x58
	s_load_b128 s[4:7], s[0:1], 0x20
	s_load_b128 s[20:23], s[0:1], 0x8
	s_load_b32 s26, s[0:1], 0x0
	s_load_b64 s[28:29], s[0:1], 0x40
	v_and_b32_e32 v2, 31, v0
	s_wait_xcnt 0x0
	v_cmp_eq_u32_e64 s1, 0, v0
	v_cmp_gt_u32_e64 s0, 24, v3
	v_lshl_or_b32 v6, v3, 2, 64
	v_cmp_gt_u32_e32 vcc_lo, 32, v0
	v_mov_b32_e32 v12, 0
	s_delay_alu instid0(VALU_DEP_4) | instskip(SKIP_1) | instid1(VALU_DEP_2)
	v_cndmask_b32_e64 v4, 0, 8, s0
	v_cmp_gt_u32_e64 s0, 28, v3
	v_add_lshl_u32 v7, v4, v3, 2
	s_delay_alu instid0(VALU_DEP_2)
	v_cndmask_b32_e64 v5, 0, 4, s0
	v_cmp_gt_u32_e64 s0, 30, v3
	v_lshrrev_b32_e32 v4, 3, v0
	s_wait_kmcnt 0x0
	s_ashr_i32 s25, s24, 31
	s_lshl_b32 s10, s10, 10
	s_ashr_i32 s31, s14, 31
	v_cndmask_b32_e64 v9, 0, 2, s0
	v_cmp_ne_u32_e64 s0, 31, v3
	s_mov_b32 s30, s14
	s_lshl_b64 s[14:15], s[22:23], 1
	s_ashr_i32 s11, s10, 31
	v_lshlrev_b32_e32 v1, 2, v2
	v_add_co_ci_u32_e64 v10, null, 0, v3, s0
	v_add_lshl_u32 v8, v5, v3, 2
	v_add_lshl_u32 v9, v9, v3, 2
	v_cmp_eq_u32_e64 s0, 0, v2
	s_delay_alu instid0(VALU_DEP_4)
	v_lshlrev_b32_e32 v10, 2, v10
	v_and_b32_e32 v11, 0x7c, v4
	s_add_nc_u64 s[14:15], s[20:21], s[14:15]
	s_lshl_b64 s[18:19], s[24:25], 1
	s_mul_u64 s[20:21], s[24:25], s[10:11]
	s_lshl_b64 s[22:23], s[12:13], 1
	s_mul_u64 s[24:25], s[30:31], s[10:11]
	s_lshl_b64 s[4:5], s[4:5], 1
	s_lshl_b64 s[12:13], s[20:21], 1
	s_add_nc_u64 s[6:7], s[6:7], s[22:23]
	s_lshl_b64 s[20:21], s[30:31], 1
	s_lshl_b64 s[22:23], s[28:29], 1
	s_lshl_b64 s[24:25], s[24:25], 1
	s_branch .LBB159_3
.LBB159_2:                              ;   in Loop: Header=BB159_3 Depth=1
	s_wait_xcnt 0x0
	s_or_b32 exec_lo, exec_lo, s2
	s_add_co_i32 s16, s16, 0x10000
	s_delay_alu instid0(SALU_CYCLE_1)
	s_cmp_lt_u32 s16, s3
	s_cbranch_scc0 .LBB159_17
.LBB159_3:                              ; =>This Loop Header: Depth=1
                                        ;     Child Loop BB159_5 Depth 2
	v_mov_b32_e32 v13, 0
	s_mov_b32 s11, exec_lo
	v_cmpx_gt_i32_e64 s26, v0
	s_cbranch_execz .LBB159_7
; %bb.4:                                ;   in Loop: Header=BB159_3 Depth=1
	s_mul_u64 s[28:29], s[4:5], s[16:17]
	s_mul_u64 s[30:31], s[22:23], s[16:17]
	s_add_nc_u64 s[28:29], s[14:15], s[28:29]
	s_add_nc_u64 s[30:31], s[6:7], s[30:31]
	s_wait_dscnt 0x0
	v_mad_nc_u64_u32 v[2:3], s18, v0, s[28:29]
	v_mad_nc_u64_u32 v[4:5], s20, v0, s[30:31]
	v_ashrrev_i32_e32 v13, 31, v0
	s_mov_b32 s27, 0
	s_mov_b32 s28, 0
	s_delay_alu instid0(VALU_DEP_3) | instskip(NEXT) | instid1(VALU_DEP_3)
	v_mad_u32 v3, s19, v0, v3
	v_mad_u32 v5, s21, v0, v5
	s_delay_alu instid0(VALU_DEP_2) | instskip(NEXT) | instid1(VALU_DEP_2)
	v_mad_u32 v3, s18, v13, v3
	v_mad_u32 v5, s20, v13, v5
	v_mov_b32_e32 v13, 0
.LBB159_5:                              ;   Parent Loop BB159_3 Depth=1
                                        ; =>  This Inner Loop Header: Depth=2
	global_load_u16 v14, v[4:5], off
	global_load_u16 v15, v[2:3], off
	v_add_nc_u32_e32 v0, s10, v0
	s_add_co_i32 s29, s28, 1
	s_cmp_gt_u32 s28, 30
	s_wait_xcnt 0x0
	v_add_nc_u64_e32 v[2:3], s[12:13], v[2:3]
	s_cselect_b32 s28, -1, 0
	v_cmp_le_i32_e64 s2, s26, v0
	v_add_nc_u64_e32 v[4:5], s[24:25], v[4:5]
	s_or_b32 s2, s28, s2
	s_mov_b32 s28, s29
	s_and_b32 s2, exec_lo, s2
	s_delay_alu instid0(SALU_CYCLE_1)
	s_or_b32 s27, s2, s27
	s_wait_loadcnt 0x0
	v_fma_mix_f32 v13, v14, v15, v13 op_sel_hi:[1,1,0]
	s_and_not1_b32 exec_lo, exec_lo, s27
	s_cbranch_execnz .LBB159_5
; %bb.6:                                ;   in Loop: Header=BB159_3 Depth=1
	s_or_b32 exec_lo, exec_lo, s27
.LBB159_7:                              ;   in Loop: Header=BB159_3 Depth=1
	s_delay_alu instid0(SALU_CYCLE_1)
	s_or_b32 exec_lo, exec_lo, s11
	s_and_saveexec_b32 s2, vcc_lo
; %bb.8:                                ;   in Loop: Header=BB159_3 Depth=1
	ds_store_b32 v1, v12
; %bb.9:                                ;   in Loop: Header=BB159_3 Depth=1
	s_or_b32 exec_lo, exec_lo, s2
	s_wait_dscnt 0x0
	ds_bpermute_b32 v2, v6, v13
	s_wait_dscnt 0x0
	s_barrier_signal -1
	s_barrier_wait -1
	v_add_f32_e32 v2, v13, v2
	ds_bpermute_b32 v3, v7, v2
	s_wait_dscnt 0x0
	v_add_f32_e32 v2, v2, v3
	ds_bpermute_b32 v3, v8, v2
	s_wait_dscnt 0x0
	;; [unrolled: 3-line block ×3, first 2 shown]
	v_add_f32_e32 v2, v2, v3
	ds_bpermute_b32 v3, v10, v2
	s_and_saveexec_b32 s2, s0
	s_cbranch_execz .LBB159_11
; %bb.10:                               ;   in Loop: Header=BB159_3 Depth=1
	s_wait_dscnt 0x0
	v_add_f32_e32 v2, v2, v3
	ds_store_b32 v11, v2
.LBB159_11:                             ;   in Loop: Header=BB159_3 Depth=1
	s_or_b32 exec_lo, exec_lo, s2
	v_mov_b32_e32 v2, 0
	s_wait_dscnt 0x0
	s_barrier_signal -1
	s_barrier_wait -1
	s_and_saveexec_b32 s2, vcc_lo
	s_cbranch_execnz .LBB159_14
; %bb.12:                               ;   in Loop: Header=BB159_3 Depth=1
	s_or_b32 exec_lo, exec_lo, s2
	s_and_saveexec_b32 s2, vcc_lo
	s_cbranch_execnz .LBB159_15
.LBB159_13:                             ;   in Loop: Header=BB159_3 Depth=1
	s_or_b32 exec_lo, exec_lo, s2
	s_and_saveexec_b32 s2, s1
	s_cbranch_execz .LBB159_2
	s_branch .LBB159_16
.LBB159_14:                             ;   in Loop: Header=BB159_3 Depth=1
	ds_load_b32 v2, v1
	s_or_b32 exec_lo, exec_lo, s2
	s_and_saveexec_b32 s2, vcc_lo
	s_cbranch_execz .LBB159_13
.LBB159_15:                             ;   in Loop: Header=BB159_3 Depth=1
	s_wait_dscnt 0x0
	ds_bpermute_b32 v3, v6, v2
	s_wait_dscnt 0x0
	v_add_f32_e32 v2, v2, v3
	ds_bpermute_b32 v3, v7, v2
	s_wait_dscnt 0x0
	v_add_f32_e32 v2, v2, v3
	;; [unrolled: 3-line block ×5, first 2 shown]
	s_or_b32 exec_lo, exec_lo, s2
	s_and_saveexec_b32 s2, s1
	s_cbranch_execz .LBB159_2
.LBB159_16:                             ;   in Loop: Header=BB159_3 Depth=1
	s_wait_dscnt 0x0
	v_cvt_f16_f32_e32 v2, v2
	s_lshl_b64 s[28:29], s[16:17], 1
	s_delay_alu instid0(SALU_CYCLE_1)
	s_add_nc_u64 s[28:29], s[8:9], s[28:29]
	global_store_b16 v12, v2, s[28:29]
	s_branch .LBB159_2
.LBB159_17:
	s_endpgm
	.section	.rodata,"a",@progbits
	.p2align	6, 0x0
	.amdhsa_kernel _ZL18rocblas_dot_kernelIiLb1ELi1024ELi32ELb1EDF16_PKDF16_fEviT5_lT_lS2_lS3_liPT6_PT4_
		.amdhsa_group_segment_fixed_size 128
		.amdhsa_private_segment_fixed_size 0
		.amdhsa_kernarg_size 352
		.amdhsa_user_sgpr_count 2
		.amdhsa_user_sgpr_dispatch_ptr 0
		.amdhsa_user_sgpr_queue_ptr 0
		.amdhsa_user_sgpr_kernarg_segment_ptr 1
		.amdhsa_user_sgpr_dispatch_id 0
		.amdhsa_user_sgpr_kernarg_preload_length 0
		.amdhsa_user_sgpr_kernarg_preload_offset 0
		.amdhsa_user_sgpr_private_segment_size 0
		.amdhsa_wavefront_size32 1
		.amdhsa_uses_dynamic_stack 0
		.amdhsa_enable_private_segment 0
		.amdhsa_system_sgpr_workgroup_id_x 1
		.amdhsa_system_sgpr_workgroup_id_y 0
		.amdhsa_system_sgpr_workgroup_id_z 1
		.amdhsa_system_sgpr_workgroup_info 0
		.amdhsa_system_vgpr_workitem_id 0
		.amdhsa_next_free_vgpr 16
		.amdhsa_next_free_sgpr 32
		.amdhsa_named_barrier_count 0
		.amdhsa_reserve_vcc 1
		.amdhsa_float_round_mode_32 0
		.amdhsa_float_round_mode_16_64 0
		.amdhsa_float_denorm_mode_32 3
		.amdhsa_float_denorm_mode_16_64 3
		.amdhsa_fp16_overflow 0
		.amdhsa_memory_ordered 1
		.amdhsa_forward_progress 1
		.amdhsa_inst_pref_size 8
		.amdhsa_round_robin_scheduling 0
		.amdhsa_exception_fp_ieee_invalid_op 0
		.amdhsa_exception_fp_denorm_src 0
		.amdhsa_exception_fp_ieee_div_zero 0
		.amdhsa_exception_fp_ieee_overflow 0
		.amdhsa_exception_fp_ieee_underflow 0
		.amdhsa_exception_fp_ieee_inexact 0
		.amdhsa_exception_int_div_zero 0
	.end_amdhsa_kernel
	.section	.text._ZL18rocblas_dot_kernelIiLb1ELi1024ELi32ELb1EDF16_PKDF16_fEviT5_lT_lS2_lS3_liPT6_PT4_,"axG",@progbits,_ZL18rocblas_dot_kernelIiLb1ELi1024ELi32ELb1EDF16_PKDF16_fEviT5_lT_lS2_lS3_liPT6_PT4_,comdat
.Lfunc_end159:
	.size	_ZL18rocblas_dot_kernelIiLb1ELi1024ELi32ELb1EDF16_PKDF16_fEviT5_lT_lS2_lS3_liPT6_PT4_, .Lfunc_end159-_ZL18rocblas_dot_kernelIiLb1ELi1024ELi32ELb1EDF16_PKDF16_fEviT5_lT_lS2_lS3_liPT6_PT4_
                                        ; -- End function
	.set _ZL18rocblas_dot_kernelIiLb1ELi1024ELi32ELb1EDF16_PKDF16_fEviT5_lT_lS2_lS3_liPT6_PT4_.num_vgpr, 16
	.set _ZL18rocblas_dot_kernelIiLb1ELi1024ELi32ELb1EDF16_PKDF16_fEviT5_lT_lS2_lS3_liPT6_PT4_.num_agpr, 0
	.set _ZL18rocblas_dot_kernelIiLb1ELi1024ELi32ELb1EDF16_PKDF16_fEviT5_lT_lS2_lS3_liPT6_PT4_.numbered_sgpr, 32
	.set _ZL18rocblas_dot_kernelIiLb1ELi1024ELi32ELb1EDF16_PKDF16_fEviT5_lT_lS2_lS3_liPT6_PT4_.num_named_barrier, 0
	.set _ZL18rocblas_dot_kernelIiLb1ELi1024ELi32ELb1EDF16_PKDF16_fEviT5_lT_lS2_lS3_liPT6_PT4_.private_seg_size, 0
	.set _ZL18rocblas_dot_kernelIiLb1ELi1024ELi32ELb1EDF16_PKDF16_fEviT5_lT_lS2_lS3_liPT6_PT4_.uses_vcc, 1
	.set _ZL18rocblas_dot_kernelIiLb1ELi1024ELi32ELb1EDF16_PKDF16_fEviT5_lT_lS2_lS3_liPT6_PT4_.uses_flat_scratch, 0
	.set _ZL18rocblas_dot_kernelIiLb1ELi1024ELi32ELb1EDF16_PKDF16_fEviT5_lT_lS2_lS3_liPT6_PT4_.has_dyn_sized_stack, 0
	.set _ZL18rocblas_dot_kernelIiLb1ELi1024ELi32ELb1EDF16_PKDF16_fEviT5_lT_lS2_lS3_liPT6_PT4_.has_recursion, 0
	.set _ZL18rocblas_dot_kernelIiLb1ELi1024ELi32ELb1EDF16_PKDF16_fEviT5_lT_lS2_lS3_liPT6_PT4_.has_indirect_call, 0
	.section	.AMDGPU.csdata,"",@progbits
; Kernel info:
; codeLenInByte = 960
; TotalNumSgprs: 34
; NumVgprs: 16
; ScratchSize: 0
; MemoryBound: 0
; FloatMode: 240
; IeeeMode: 1
; LDSByteSize: 128 bytes/workgroup (compile time only)
; SGPRBlocks: 0
; VGPRBlocks: 0
; NumSGPRsForWavesPerEU: 34
; NumVGPRsForWavesPerEU: 16
; NamedBarCnt: 0
; Occupancy: 16
; WaveLimiterHint : 0
; COMPUTE_PGM_RSRC2:SCRATCH_EN: 0
; COMPUTE_PGM_RSRC2:USER_SGPR: 2
; COMPUTE_PGM_RSRC2:TRAP_HANDLER: 0
; COMPUTE_PGM_RSRC2:TGID_X_EN: 1
; COMPUTE_PGM_RSRC2:TGID_Y_EN: 0
; COMPUTE_PGM_RSRC2:TGID_Z_EN: 1
; COMPUTE_PGM_RSRC2:TIDIG_COMP_CNT: 0
	.section	.text._ZL24rocblas_dot_kernel_magsqIiLb1ELi1024ELi32ELb1EDF16_PKDF16_fEviT5_lT_liPT6_PT4_,"axG",@progbits,_ZL24rocblas_dot_kernel_magsqIiLb1ELi1024ELi32ELb1EDF16_PKDF16_fEviT5_lT_liPT6_PT4_,comdat
	.globl	_ZL24rocblas_dot_kernel_magsqIiLb1ELi1024ELi32ELb1EDF16_PKDF16_fEviT5_lT_liPT6_PT4_ ; -- Begin function _ZL24rocblas_dot_kernel_magsqIiLb1ELi1024ELi32ELb1EDF16_PKDF16_fEviT5_lT_liPT6_PT4_
	.p2align	8
	.type	_ZL24rocblas_dot_kernel_magsqIiLb1ELi1024ELi32ELb1EDF16_PKDF16_fEviT5_lT_liPT6_PT4_,@function
_ZL24rocblas_dot_kernel_magsqIiLb1ELi1024ELi32ELb1EDF16_PKDF16_fEviT5_lT_liPT6_PT4_: ; @_ZL24rocblas_dot_kernel_magsqIiLb1ELi1024ELi32ELb1EDF16_PKDF16_fEviT5_lT_liPT6_PT4_
; %bb.0:
	s_load_b32 s3, s[0:1], 0x28
	s_bfe_u32 s2, ttmp6, 0x40014
	s_lshr_b32 s4, ttmp7, 16
	s_add_co_i32 s2, s2, 1
	s_bfe_u32 s5, ttmp6, 0x40008
	s_mul_i32 s2, s4, s2
	s_getreg_b32 s6, hwreg(HW_REG_IB_STS2, 6, 4)
	s_add_co_i32 s5, s5, s2
	s_cmp_eq_u32 s6, 0
	s_mov_b32 s9, 0
	s_cselect_b32 s8, s4, s5
	s_wait_kmcnt 0x0
	s_cmp_ge_u32 s8, s3
	s_cbranch_scc1 .LBB160_17
; %bb.1:
	v_mbcnt_lo_u32_b32 v3, -1, 0
	s_clause 0x4
	s_load_b32 s16, s[0:1], 0x18
	s_load_b96 s[4:6], s[0:1], 0x38
	s_load_b128 s[12:15], s[0:1], 0x8
	s_load_b64 s[20:21], s[0:1], 0x20
	s_load_b32 s18, s[0:1], 0x0
	v_dual_lshrrev_b32 v9, 3, v0 :: v_dual_bitop2_b32 v2, 31, v0 bitop3:0x40
	s_wait_xcnt 0x0
	v_cmp_gt_u32_e64 s0, 24, v3
	v_lshl_or_b32 v4, v3, 2, 64
	v_cmp_eq_u32_e64 s1, 0, v0
	v_mov_b32_e32 v10, 0
	v_and_b32_e32 v9, 0x7c, v9
	v_cndmask_b32_e64 v5, 0, 8, s0
	v_cmp_gt_u32_e64 s0, 28, v3
	v_cmp_gt_u32_e32 vcc_lo, 32, v0
	s_delay_alu instid0(VALU_DEP_3) | instskip(NEXT) | instid1(VALU_DEP_3)
	v_add_lshl_u32 v5, v5, v3, 2
	v_cndmask_b32_e64 v6, 0, 4, s0
	v_cmp_gt_u32_e64 s0, 30, v3
	s_wait_kmcnt 0x0
	s_lshl_b64 s[10:11], s[14:15], 1
	s_lshl_b32 s6, s6, 10
	v_cndmask_b32_e64 v7, 0, 2, s0
	v_cmp_ne_u32_e64 s0, 31, v3
	s_ashr_i32 s17, s16, 31
	s_ashr_i32 s7, s6, 31
	v_add_lshl_u32 v6, v6, v3, 2
	v_add_lshl_u32 v7, v7, v3, 2
	v_add_co_ci_u32_e64 v8, null, 0, v3, s0
	v_lshlrev_b32_e32 v1, 2, v2
	v_cmp_eq_u32_e64 s0, 0, v2
	s_add_nc_u64 s[10:11], s[12:13], s[10:11]
	v_lshlrev_b32_e32 v8, 2, v8
	s_lshl_b64 s[12:13], s[16:17], 1
	s_mul_u64 s[16:17], s[16:17], s[6:7]
	s_lshl_b64 s[14:15], s[20:21], 1
	s_lshl_b64 s[16:17], s[16:17], 1
	s_branch .LBB160_3
.LBB160_2:                              ;   in Loop: Header=BB160_3 Depth=1
	s_wait_xcnt 0x0
	s_or_b32 exec_lo, exec_lo, s2
	s_add_co_i32 s8, s8, 0x10000
	s_delay_alu instid0(SALU_CYCLE_1)
	s_cmp_lt_u32 s8, s3
	s_cbranch_scc0 .LBB160_17
.LBB160_3:                              ; =>This Loop Header: Depth=1
                                        ;     Child Loop BB160_5 Depth 2
	v_mov_b32_e32 v11, 0
	s_mov_b32 s7, exec_lo
	v_cmpx_gt_i32_e64 s18, v0
	s_cbranch_execz .LBB160_7
; %bb.4:                                ;   in Loop: Header=BB160_3 Depth=1
	s_mul_u64 s[20:21], s[14:15], s[8:9]
	v_ashrrev_i32_e32 v11, 31, v0
	s_add_nc_u64 s[20:21], s[10:11], s[20:21]
	s_mov_b32 s19, 0
	s_wait_dscnt 0x0
	v_mad_nc_u64_u32 v[2:3], s12, v0, s[20:21]
	s_mov_b32 s20, 0
	s_delay_alu instid0(VALU_DEP_1) | instskip(NEXT) | instid1(VALU_DEP_1)
	v_mad_u32 v3, s13, v0, v3
	v_mad_u32 v3, s12, v11, v3
	v_mov_b32_e32 v11, 0
.LBB160_5:                              ;   Parent Loop BB160_3 Depth=1
                                        ; =>  This Inner Loop Header: Depth=2
	global_load_u16 v12, v[2:3], off
	v_add_nc_u32_e32 v0, s6, v0
	s_add_co_i32 s21, s20, 1
	s_cmp_gt_u32 s20, 30
	s_wait_xcnt 0x0
	v_add_nc_u64_e32 v[2:3], s[16:17], v[2:3]
	s_cselect_b32 s20, -1, 0
	v_cmp_le_i32_e64 s2, s18, v0
	s_or_b32 s2, s20, s2
	s_mov_b32 s20, s21
	s_and_b32 s2, exec_lo, s2
	s_delay_alu instid0(SALU_CYCLE_1)
	s_or_b32 s19, s2, s19
	s_wait_loadcnt 0x0
	v_fma_mix_f32 v11, v12, v12, v11 op_sel_hi:[1,1,0]
	s_and_not1_b32 exec_lo, exec_lo, s19
	s_cbranch_execnz .LBB160_5
; %bb.6:                                ;   in Loop: Header=BB160_3 Depth=1
	s_or_b32 exec_lo, exec_lo, s19
.LBB160_7:                              ;   in Loop: Header=BB160_3 Depth=1
	s_delay_alu instid0(SALU_CYCLE_1)
	s_or_b32 exec_lo, exec_lo, s7
	s_and_saveexec_b32 s2, vcc_lo
; %bb.8:                                ;   in Loop: Header=BB160_3 Depth=1
	ds_store_b32 v1, v10
; %bb.9:                                ;   in Loop: Header=BB160_3 Depth=1
	s_or_b32 exec_lo, exec_lo, s2
	s_wait_dscnt 0x0
	ds_bpermute_b32 v2, v4, v11
	s_wait_dscnt 0x0
	s_barrier_signal -1
	s_barrier_wait -1
	v_add_f32_e32 v2, v11, v2
	ds_bpermute_b32 v3, v5, v2
	s_wait_dscnt 0x0
	v_add_f32_e32 v2, v2, v3
	ds_bpermute_b32 v3, v6, v2
	s_wait_dscnt 0x0
	;; [unrolled: 3-line block ×3, first 2 shown]
	v_add_f32_e32 v2, v2, v3
	ds_bpermute_b32 v3, v8, v2
	s_and_saveexec_b32 s2, s0
	s_cbranch_execz .LBB160_11
; %bb.10:                               ;   in Loop: Header=BB160_3 Depth=1
	s_wait_dscnt 0x0
	v_add_f32_e32 v2, v2, v3
	ds_store_b32 v9, v2
.LBB160_11:                             ;   in Loop: Header=BB160_3 Depth=1
	s_or_b32 exec_lo, exec_lo, s2
	v_mov_b32_e32 v2, 0
	s_wait_dscnt 0x0
	s_barrier_signal -1
	s_barrier_wait -1
	s_and_saveexec_b32 s2, vcc_lo
	s_cbranch_execnz .LBB160_14
; %bb.12:                               ;   in Loop: Header=BB160_3 Depth=1
	s_or_b32 exec_lo, exec_lo, s2
	s_and_saveexec_b32 s2, vcc_lo
	s_cbranch_execnz .LBB160_15
.LBB160_13:                             ;   in Loop: Header=BB160_3 Depth=1
	s_or_b32 exec_lo, exec_lo, s2
	s_and_saveexec_b32 s2, s1
	s_cbranch_execz .LBB160_2
	s_branch .LBB160_16
.LBB160_14:                             ;   in Loop: Header=BB160_3 Depth=1
	ds_load_b32 v2, v1
	s_or_b32 exec_lo, exec_lo, s2
	s_and_saveexec_b32 s2, vcc_lo
	s_cbranch_execz .LBB160_13
.LBB160_15:                             ;   in Loop: Header=BB160_3 Depth=1
	s_wait_dscnt 0x0
	ds_bpermute_b32 v3, v4, v2
	s_wait_dscnt 0x0
	v_add_f32_e32 v2, v2, v3
	ds_bpermute_b32 v3, v5, v2
	s_wait_dscnt 0x0
	v_add_f32_e32 v2, v2, v3
	;; [unrolled: 3-line block ×5, first 2 shown]
	s_or_b32 exec_lo, exec_lo, s2
	s_and_saveexec_b32 s2, s1
	s_cbranch_execz .LBB160_2
.LBB160_16:                             ;   in Loop: Header=BB160_3 Depth=1
	s_wait_dscnt 0x0
	v_cvt_f16_f32_e32 v2, v2
	s_lshl_b64 s[20:21], s[8:9], 1
	s_delay_alu instid0(SALU_CYCLE_1)
	s_add_nc_u64 s[20:21], s[4:5], s[20:21]
	global_store_b16 v10, v2, s[20:21]
	s_branch .LBB160_2
.LBB160_17:
	s_endpgm
	.section	.rodata,"a",@progbits
	.p2align	6, 0x0
	.amdhsa_kernel _ZL24rocblas_dot_kernel_magsqIiLb1ELi1024ELi32ELb1EDF16_PKDF16_fEviT5_lT_liPT6_PT4_
		.amdhsa_group_segment_fixed_size 128
		.amdhsa_private_segment_fixed_size 0
		.amdhsa_kernarg_size 320
		.amdhsa_user_sgpr_count 2
		.amdhsa_user_sgpr_dispatch_ptr 0
		.amdhsa_user_sgpr_queue_ptr 0
		.amdhsa_user_sgpr_kernarg_segment_ptr 1
		.amdhsa_user_sgpr_dispatch_id 0
		.amdhsa_user_sgpr_kernarg_preload_length 0
		.amdhsa_user_sgpr_kernarg_preload_offset 0
		.amdhsa_user_sgpr_private_segment_size 0
		.amdhsa_wavefront_size32 1
		.amdhsa_uses_dynamic_stack 0
		.amdhsa_enable_private_segment 0
		.amdhsa_system_sgpr_workgroup_id_x 1
		.amdhsa_system_sgpr_workgroup_id_y 0
		.amdhsa_system_sgpr_workgroup_id_z 1
		.amdhsa_system_sgpr_workgroup_info 0
		.amdhsa_system_vgpr_workitem_id 0
		.amdhsa_next_free_vgpr 13
		.amdhsa_next_free_sgpr 22
		.amdhsa_named_barrier_count 0
		.amdhsa_reserve_vcc 1
		.amdhsa_float_round_mode_32 0
		.amdhsa_float_round_mode_16_64 0
		.amdhsa_float_denorm_mode_32 3
		.amdhsa_float_denorm_mode_16_64 3
		.amdhsa_fp16_overflow 0
		.amdhsa_memory_ordered 1
		.amdhsa_forward_progress 1
		.amdhsa_inst_pref_size 7
		.amdhsa_round_robin_scheduling 0
		.amdhsa_exception_fp_ieee_invalid_op 0
		.amdhsa_exception_fp_denorm_src 0
		.amdhsa_exception_fp_ieee_div_zero 0
		.amdhsa_exception_fp_ieee_overflow 0
		.amdhsa_exception_fp_ieee_underflow 0
		.amdhsa_exception_fp_ieee_inexact 0
		.amdhsa_exception_int_div_zero 0
	.end_amdhsa_kernel
	.section	.text._ZL24rocblas_dot_kernel_magsqIiLb1ELi1024ELi32ELb1EDF16_PKDF16_fEviT5_lT_liPT6_PT4_,"axG",@progbits,_ZL24rocblas_dot_kernel_magsqIiLb1ELi1024ELi32ELb1EDF16_PKDF16_fEviT5_lT_liPT6_PT4_,comdat
.Lfunc_end160:
	.size	_ZL24rocblas_dot_kernel_magsqIiLb1ELi1024ELi32ELb1EDF16_PKDF16_fEviT5_lT_liPT6_PT4_, .Lfunc_end160-_ZL24rocblas_dot_kernel_magsqIiLb1ELi1024ELi32ELb1EDF16_PKDF16_fEviT5_lT_liPT6_PT4_
                                        ; -- End function
	.set _ZL24rocblas_dot_kernel_magsqIiLb1ELi1024ELi32ELb1EDF16_PKDF16_fEviT5_lT_liPT6_PT4_.num_vgpr, 13
	.set _ZL24rocblas_dot_kernel_magsqIiLb1ELi1024ELi32ELb1EDF16_PKDF16_fEviT5_lT_liPT6_PT4_.num_agpr, 0
	.set _ZL24rocblas_dot_kernel_magsqIiLb1ELi1024ELi32ELb1EDF16_PKDF16_fEviT5_lT_liPT6_PT4_.numbered_sgpr, 22
	.set _ZL24rocblas_dot_kernel_magsqIiLb1ELi1024ELi32ELb1EDF16_PKDF16_fEviT5_lT_liPT6_PT4_.num_named_barrier, 0
	.set _ZL24rocblas_dot_kernel_magsqIiLb1ELi1024ELi32ELb1EDF16_PKDF16_fEviT5_lT_liPT6_PT4_.private_seg_size, 0
	.set _ZL24rocblas_dot_kernel_magsqIiLb1ELi1024ELi32ELb1EDF16_PKDF16_fEviT5_lT_liPT6_PT4_.uses_vcc, 1
	.set _ZL24rocblas_dot_kernel_magsqIiLb1ELi1024ELi32ELb1EDF16_PKDF16_fEviT5_lT_liPT6_PT4_.uses_flat_scratch, 0
	.set _ZL24rocblas_dot_kernel_magsqIiLb1ELi1024ELi32ELb1EDF16_PKDF16_fEviT5_lT_liPT6_PT4_.has_dyn_sized_stack, 0
	.set _ZL24rocblas_dot_kernel_magsqIiLb1ELi1024ELi32ELb1EDF16_PKDF16_fEviT5_lT_liPT6_PT4_.has_recursion, 0
	.set _ZL24rocblas_dot_kernel_magsqIiLb1ELi1024ELi32ELb1EDF16_PKDF16_fEviT5_lT_liPT6_PT4_.has_indirect_call, 0
	.section	.AMDGPU.csdata,"",@progbits
; Kernel info:
; codeLenInByte = 856
; TotalNumSgprs: 24
; NumVgprs: 13
; ScratchSize: 0
; MemoryBound: 0
; FloatMode: 240
; IeeeMode: 1
; LDSByteSize: 128 bytes/workgroup (compile time only)
; SGPRBlocks: 0
; VGPRBlocks: 0
; NumSGPRsForWavesPerEU: 24
; NumVGPRsForWavesPerEU: 13
; NamedBarCnt: 0
; Occupancy: 16
; WaveLimiterHint : 0
; COMPUTE_PGM_RSRC2:SCRATCH_EN: 0
; COMPUTE_PGM_RSRC2:USER_SGPR: 2
; COMPUTE_PGM_RSRC2:TRAP_HANDLER: 0
; COMPUTE_PGM_RSRC2:TGID_X_EN: 1
; COMPUTE_PGM_RSRC2:TGID_Y_EN: 0
; COMPUTE_PGM_RSRC2:TGID_Z_EN: 1
; COMPUTE_PGM_RSRC2:TIDIG_COMP_CNT: 0
	.section	.text._ZL23rocblas_dot_kernel_inc1ILb0ELi512ELi8ELb1EDF16_PKDF16_fEviT4_llS2_lliPT5_PT3_,"axG",@progbits,_ZL23rocblas_dot_kernel_inc1ILb0ELi512ELi8ELb1EDF16_PKDF16_fEviT4_llS2_lliPT5_PT3_,comdat
	.globl	_ZL23rocblas_dot_kernel_inc1ILb0ELi512ELi8ELb1EDF16_PKDF16_fEviT4_llS2_lliPT5_PT3_ ; -- Begin function _ZL23rocblas_dot_kernel_inc1ILb0ELi512ELi8ELb1EDF16_PKDF16_fEviT4_llS2_lliPT5_PT3_
	.p2align	8
	.type	_ZL23rocblas_dot_kernel_inc1ILb0ELi512ELi8ELb1EDF16_PKDF16_fEviT4_llS2_lliPT5_PT3_,@function
_ZL23rocblas_dot_kernel_inc1ILb0ELi512ELi8ELb1EDF16_PKDF16_fEviT4_llS2_lliPT5_PT3_: ; @_ZL23rocblas_dot_kernel_inc1ILb0ELi512ELi8ELb1EDF16_PKDF16_fEviT4_llS2_lliPT5_PT3_
; %bb.0:
	s_load_b32 s28, s[0:1], 0x38
	s_bfe_u32 s2, ttmp6, 0x40014
	s_lshr_b32 s3, ttmp7, 16
	s_add_co_i32 s2, s2, 1
	s_bfe_u32 s5, ttmp6, 0x40008
	s_mul_i32 s4, s3, s2
	s_getreg_b32 s2, hwreg(HW_REG_IB_STS2, 6, 4)
	s_add_co_i32 s5, s5, s4
	s_cmp_eq_u32 s2, 0
	s_mov_b32 s17, 0
	s_cselect_b32 s16, s3, s5
	s_wait_kmcnt 0x0
	s_cmp_ge_u32 s16, s28
	s_cbranch_scc1 .LBB161_20
; %bb.1:
	v_mbcnt_lo_u32_b32 v3, -1, 0
	s_clause 0x6
	s_load_b32 s18, s[0:1], 0x50
	s_load_b64 s[22:23], s[0:1], 0x8
	s_load_b32 s29, s[0:1], 0x0
	s_load_b64 s[24:25], s[0:1], 0x20
	s_load_b128 s[8:11], s[0:1], 0x10
	s_load_b128 s[4:7], s[0:1], 0x40
	;; [unrolled: 1-line block ×3, first 2 shown]
	s_wait_xcnt 0x0
	s_bfe_u32 s0, ttmp6, 0x4000c
	s_and_b32 s1, ttmp6, 15
	s_add_co_i32 s3, s0, 1
	v_cmp_gt_u32_e32 vcc_lo, 24, v3
	s_mul_i32 s3, ttmp9, s3
	v_dual_lshrrev_b32 v10, 3, v0 :: v_dual_bitop2_b32 v1, 31, v0 bitop3:0x40
	s_add_co_i32 s1, s1, s3
	v_cndmask_b32_e64 v6, 0, 8, vcc_lo
	v_cmp_gt_u32_e32 vcc_lo, 28, v3
	s_cmp_eq_u32 s2, 0
	s_mov_b32 s27, s17
	s_cselect_b32 s26, ttmp9, s1
	s_wait_kmcnt 0x0
	s_cmp_lg_u32 s18, 1
	v_cndmask_b32_e64 v7, 0, 4, vcc_lo
	v_cmp_gt_u32_e32 vcc_lo, 30, v3
	s_cselect_b32 s30, -1, 0
	s_lshl_b32 s20, s18, 9
	v_cmp_gt_u32_e64 s0, 32, v0
	s_lshl_b64 s[12:13], s[12:13], 1
	v_cndmask_b32_e64 v8, 0, 2, vcc_lo
	v_cmp_ne_u32_e32 vcc_lo, 31, v3
	v_dual_lshlrev_b32 v4, 2, v1 :: v_dual_bitop2_b32 v10, 60, v10 bitop3:0x40
	v_lshl_or_b32 v2, s26, 9, v0
	v_lshl_or_b32 v5, v3, 2, 64
	v_add_co_ci_u32_e64 v9, null, 0, v3, vcc_lo
	v_add_lshl_u32 v6, v6, v3, 2
	v_add_lshl_u32 v7, v7, v3, 2
	;; [unrolled: 1-line block ×3, first 2 shown]
	s_delay_alu instid0(VALU_DEP_4)
	v_dual_lshlrev_b32 v9, 2, v9 :: v_dual_mov_b32 v11, 0
	v_cmp_eq_u32_e64 s1, 0, v1
	v_cmp_gt_u32_e64 s2, 16, v0
	v_cmp_eq_u32_e64 s3, 0, v0
	s_lshl_b64 s[26:27], s[26:27], 2
	s_add_nc_u64 s[12:13], s[24:25], s[12:13]
	s_ashr_i32 s21, s20, 31
	s_lshl_b64 s[24:25], s[8:9], 1
	s_mov_b32 s19, s17
	s_add_nc_u64 s[4:5], s[4:5], s[26:27]
	s_lshl_b64 s[14:15], s[14:15], 1
	s_lshl_b64 s[8:9], s[20:21], 1
	s_add_nc_u64 s[22:23], s[22:23], s[24:25]
	s_lshl_b64 s[10:11], s[10:11], 1
	s_branch .LBB161_3
.LBB161_2:                              ;   in Loop: Header=BB161_3 Depth=1
	s_wait_xcnt 0x0
	s_or_b32 exec_lo, exec_lo, s21
	s_add_co_i32 s16, s16, 0x10000
	s_delay_alu instid0(SALU_CYCLE_1)
	s_cmp_lt_u32 s16, s28
	s_cbranch_scc0 .LBB161_20
.LBB161_3:                              ; =>This Loop Header: Depth=1
                                        ;     Child Loop BB161_5 Depth 2
	v_mov_b32_e32 v3, 0
	s_mov_b32 s21, exec_lo
	v_cmpx_gt_i32_e64 s29, v2
	s_cbranch_execz .LBB161_7
; %bb.4:                                ;   in Loop: Header=BB161_3 Depth=1
	v_ashrrev_i32_e32 v3, 31, v2
	s_mul_u64 s[24:25], s[14:15], s[16:17]
	s_mul_u64 s[26:27], s[10:11], s[16:17]
	s_add_nc_u64 s[24:25], s[12:13], s[24:25]
	s_add_nc_u64 s[26:27], s[22:23], s[26:27]
	s_wait_dscnt 0x0
	v_lshlrev_b64_e32 v[0:1], 1, v[2:3]
	v_mov_b32_e32 v3, 0
	s_mov_b32 s31, 0
	s_mov_b32 s33, 0
.LBB161_5:                              ;   Parent Loop BB161_3 Depth=1
                                        ; =>  This Inner Loop Header: Depth=2
	s_delay_alu instid0(VALU_DEP_2)
	v_add_nc_u64_e32 v[12:13], s[24:25], v[0:1]
	v_add_nc_u64_e32 v[14:15], s[26:27], v[0:1]
	v_add_nc_u32_e32 v2, s20, v2
	s_add_co_i32 s34, s33, 1
	s_cmp_gt_u32 s33, 6
	v_add_nc_u64_e32 v[0:1], s[8:9], v[0:1]
	s_cselect_b32 s33, -1, 0
	global_load_u16 v16, v[12:13], off
	global_load_u16 v17, v[14:15], off
	v_cmp_le_i32_e32 vcc_lo, s29, v2
	s_or_b32 s33, s33, vcc_lo
	s_delay_alu instid0(SALU_CYCLE_1) | instskip(NEXT) | instid1(SALU_CYCLE_1)
	s_and_b32 s33, exec_lo, s33
	s_or_b32 s31, s33, s31
	s_mov_b32 s33, s34
	s_wait_loadcnt 0x0
	v_fma_mix_f32 v3, v16, v17, v3 op_sel_hi:[1,1,0]
	s_wait_xcnt 0x0
	s_and_not1_b32 exec_lo, exec_lo, s31
	s_cbranch_execnz .LBB161_5
; %bb.6:                                ;   in Loop: Header=BB161_3 Depth=1
	s_or_b32 exec_lo, exec_lo, s31
.LBB161_7:                              ;   in Loop: Header=BB161_3 Depth=1
	s_delay_alu instid0(SALU_CYCLE_1)
	s_or_b32 exec_lo, exec_lo, s21
	s_and_saveexec_b32 s21, s0
; %bb.8:                                ;   in Loop: Header=BB161_3 Depth=1
	ds_store_b32 v4, v11
; %bb.9:                                ;   in Loop: Header=BB161_3 Depth=1
	s_or_b32 exec_lo, exec_lo, s21
	s_wait_dscnt 0x0
	ds_bpermute_b32 v0, v5, v3
	s_wait_dscnt 0x0
	s_barrier_signal -1
	s_barrier_wait -1
	v_add_f32_e32 v0, v3, v0
	ds_bpermute_b32 v1, v6, v0
	s_wait_dscnt 0x0
	v_add_f32_e32 v0, v0, v1
	ds_bpermute_b32 v1, v7, v0
	s_wait_dscnt 0x0
	;; [unrolled: 3-line block ×3, first 2 shown]
	v_add_f32_e32 v0, v0, v1
	ds_bpermute_b32 v1, v9, v0
	s_and_saveexec_b32 s21, s1
	s_cbranch_execz .LBB161_11
; %bb.10:                               ;   in Loop: Header=BB161_3 Depth=1
	s_wait_dscnt 0x0
	v_add_f32_e32 v0, v0, v1
	ds_store_b32 v10, v0
.LBB161_11:                             ;   in Loop: Header=BB161_3 Depth=1
	s_or_b32 exec_lo, exec_lo, s21
	v_mov_b32_e32 v0, 0
	s_wait_dscnt 0x0
	s_barrier_signal -1
	s_barrier_wait -1
	s_and_saveexec_b32 s21, s2
	s_cbranch_execnz .LBB161_14
; %bb.12:                               ;   in Loop: Header=BB161_3 Depth=1
	s_or_b32 exec_lo, exec_lo, s21
	s_and_saveexec_b32 s21, s0
	s_cbranch_execnz .LBB161_15
.LBB161_13:                             ;   in Loop: Header=BB161_3 Depth=1
	s_or_b32 exec_lo, exec_lo, s21
	s_and_saveexec_b32 s21, s3
	s_cbranch_execz .LBB161_2
	s_branch .LBB161_16
.LBB161_14:                             ;   in Loop: Header=BB161_3 Depth=1
	ds_load_b32 v0, v4
	s_or_b32 exec_lo, exec_lo, s21
	s_and_saveexec_b32 s21, s0
	s_cbranch_execz .LBB161_13
.LBB161_15:                             ;   in Loop: Header=BB161_3 Depth=1
	s_wait_dscnt 0x0
	ds_bpermute_b32 v1, v6, v0
	s_wait_dscnt 0x0
	v_add_f32_e32 v0, v0, v1
	ds_bpermute_b32 v1, v7, v0
	s_wait_dscnt 0x0
	v_add_f32_e32 v0, v0, v1
	;; [unrolled: 3-line block ×4, first 2 shown]
	s_or_b32 exec_lo, exec_lo, s21
	s_and_saveexec_b32 s21, s3
	s_cbranch_execz .LBB161_2
.LBB161_16:                             ;   in Loop: Header=BB161_3 Depth=1
	s_and_b32 vcc_lo, exec_lo, s30
	s_mov_b32 s24, -1
	s_cbranch_vccz .LBB161_18
; %bb.17:                               ;   in Loop: Header=BB161_3 Depth=1
	s_mul_u64 s[24:25], s[18:19], s[16:17]
	s_delay_alu instid0(SALU_CYCLE_1) | instskip(NEXT) | instid1(SALU_CYCLE_1)
	s_lshl_b64 s[24:25], s[24:25], 2
	s_add_nc_u64 s[26:27], s[4:5], s[24:25]
	s_mov_b32 s24, 0
	s_wait_dscnt 0x0
	global_store_b32 v11, v0, s[26:27]
.LBB161_18:                             ;   in Loop: Header=BB161_3 Depth=1
	s_and_not1_b32 vcc_lo, exec_lo, s24
	s_cbranch_vccnz .LBB161_2
; %bb.19:                               ;   in Loop: Header=BB161_3 Depth=1
	s_wait_dscnt 0x0
	s_wait_xcnt 0x0
	v_cvt_f16_f32_e32 v0, v0
	s_lshl_b64 s[24:25], s[16:17], 1
	s_delay_alu instid0(SALU_CYCLE_1)
	s_add_nc_u64 s[24:25], s[6:7], s[24:25]
	global_store_b16 v11, v0, s[24:25]
	s_branch .LBB161_2
.LBB161_20:
	s_endpgm
	.section	.rodata,"a",@progbits
	.p2align	6, 0x0
	.amdhsa_kernel _ZL23rocblas_dot_kernel_inc1ILb0ELi512ELi8ELb1EDF16_PKDF16_fEviT4_llS2_lliPT5_PT3_
		.amdhsa_group_segment_fixed_size 128
		.amdhsa_private_segment_fixed_size 0
		.amdhsa_kernarg_size 336
		.amdhsa_user_sgpr_count 2
		.amdhsa_user_sgpr_dispatch_ptr 0
		.amdhsa_user_sgpr_queue_ptr 0
		.amdhsa_user_sgpr_kernarg_segment_ptr 1
		.amdhsa_user_sgpr_dispatch_id 0
		.amdhsa_user_sgpr_kernarg_preload_length 0
		.amdhsa_user_sgpr_kernarg_preload_offset 0
		.amdhsa_user_sgpr_private_segment_size 0
		.amdhsa_wavefront_size32 1
		.amdhsa_uses_dynamic_stack 0
		.amdhsa_enable_private_segment 0
		.amdhsa_system_sgpr_workgroup_id_x 1
		.amdhsa_system_sgpr_workgroup_id_y 0
		.amdhsa_system_sgpr_workgroup_id_z 1
		.amdhsa_system_sgpr_workgroup_info 0
		.amdhsa_system_vgpr_workitem_id 0
		.amdhsa_next_free_vgpr 18
		.amdhsa_next_free_sgpr 35
		.amdhsa_named_barrier_count 0
		.amdhsa_reserve_vcc 1
		.amdhsa_float_round_mode_32 0
		.amdhsa_float_round_mode_16_64 0
		.amdhsa_float_denorm_mode_32 3
		.amdhsa_float_denorm_mode_16_64 3
		.amdhsa_fp16_overflow 0
		.amdhsa_memory_ordered 1
		.amdhsa_forward_progress 1
		.amdhsa_inst_pref_size 8
		.amdhsa_round_robin_scheduling 0
		.amdhsa_exception_fp_ieee_invalid_op 0
		.amdhsa_exception_fp_denorm_src 0
		.amdhsa_exception_fp_ieee_div_zero 0
		.amdhsa_exception_fp_ieee_overflow 0
		.amdhsa_exception_fp_ieee_underflow 0
		.amdhsa_exception_fp_ieee_inexact 0
		.amdhsa_exception_int_div_zero 0
	.end_amdhsa_kernel
	.section	.text._ZL23rocblas_dot_kernel_inc1ILb0ELi512ELi8ELb1EDF16_PKDF16_fEviT4_llS2_lliPT5_PT3_,"axG",@progbits,_ZL23rocblas_dot_kernel_inc1ILb0ELi512ELi8ELb1EDF16_PKDF16_fEviT4_llS2_lliPT5_PT3_,comdat
.Lfunc_end161:
	.size	_ZL23rocblas_dot_kernel_inc1ILb0ELi512ELi8ELb1EDF16_PKDF16_fEviT4_llS2_lliPT5_PT3_, .Lfunc_end161-_ZL23rocblas_dot_kernel_inc1ILb0ELi512ELi8ELb1EDF16_PKDF16_fEviT4_llS2_lliPT5_PT3_
                                        ; -- End function
	.set _ZL23rocblas_dot_kernel_inc1ILb0ELi512ELi8ELb1EDF16_PKDF16_fEviT4_llS2_lliPT5_PT3_.num_vgpr, 18
	.set _ZL23rocblas_dot_kernel_inc1ILb0ELi512ELi8ELb1EDF16_PKDF16_fEviT4_llS2_lliPT5_PT3_.num_agpr, 0
	.set _ZL23rocblas_dot_kernel_inc1ILb0ELi512ELi8ELb1EDF16_PKDF16_fEviT4_llS2_lliPT5_PT3_.numbered_sgpr, 35
	.set _ZL23rocblas_dot_kernel_inc1ILb0ELi512ELi8ELb1EDF16_PKDF16_fEviT4_llS2_lliPT5_PT3_.num_named_barrier, 0
	.set _ZL23rocblas_dot_kernel_inc1ILb0ELi512ELi8ELb1EDF16_PKDF16_fEviT4_llS2_lliPT5_PT3_.private_seg_size, 0
	.set _ZL23rocblas_dot_kernel_inc1ILb0ELi512ELi8ELb1EDF16_PKDF16_fEviT4_llS2_lliPT5_PT3_.uses_vcc, 1
	.set _ZL23rocblas_dot_kernel_inc1ILb0ELi512ELi8ELb1EDF16_PKDF16_fEviT4_llS2_lliPT5_PT3_.uses_flat_scratch, 0
	.set _ZL23rocblas_dot_kernel_inc1ILb0ELi512ELi8ELb1EDF16_PKDF16_fEviT4_llS2_lliPT5_PT3_.has_dyn_sized_stack, 0
	.set _ZL23rocblas_dot_kernel_inc1ILb0ELi512ELi8ELb1EDF16_PKDF16_fEviT4_llS2_lliPT5_PT3_.has_recursion, 0
	.set _ZL23rocblas_dot_kernel_inc1ILb0ELi512ELi8ELb1EDF16_PKDF16_fEviT4_llS2_lliPT5_PT3_.has_indirect_call, 0
	.section	.AMDGPU.csdata,"",@progbits
; Kernel info:
; codeLenInByte = 984
; TotalNumSgprs: 37
; NumVgprs: 18
; ScratchSize: 0
; MemoryBound: 0
; FloatMode: 240
; IeeeMode: 1
; LDSByteSize: 128 bytes/workgroup (compile time only)
; SGPRBlocks: 0
; VGPRBlocks: 1
; NumSGPRsForWavesPerEU: 37
; NumVGPRsForWavesPerEU: 18
; NamedBarCnt: 0
; Occupancy: 16
; WaveLimiterHint : 0
; COMPUTE_PGM_RSRC2:SCRATCH_EN: 0
; COMPUTE_PGM_RSRC2:USER_SGPR: 2
; COMPUTE_PGM_RSRC2:TRAP_HANDLER: 0
; COMPUTE_PGM_RSRC2:TGID_X_EN: 1
; COMPUTE_PGM_RSRC2:TGID_Y_EN: 0
; COMPUTE_PGM_RSRC2:TGID_Z_EN: 1
; COMPUTE_PGM_RSRC2:TIDIG_COMP_CNT: 0
	.section	.text._ZL18rocblas_dot_kernelIiLb0ELi512ELi8ELb1EDF16_PKDF16_fEviT5_lT_lS2_lS3_liPT6_PT4_,"axG",@progbits,_ZL18rocblas_dot_kernelIiLb0ELi512ELi8ELb1EDF16_PKDF16_fEviT5_lT_lS2_lS3_liPT6_PT4_,comdat
	.globl	_ZL18rocblas_dot_kernelIiLb0ELi512ELi8ELb1EDF16_PKDF16_fEviT5_lT_lS2_lS3_liPT6_PT4_ ; -- Begin function _ZL18rocblas_dot_kernelIiLb0ELi512ELi8ELb1EDF16_PKDF16_fEviT5_lT_lS2_lS3_liPT6_PT4_
	.p2align	8
	.type	_ZL18rocblas_dot_kernelIiLb0ELi512ELi8ELb1EDF16_PKDF16_fEviT5_lT_lS2_lS3_liPT6_PT4_,@function
_ZL18rocblas_dot_kernelIiLb0ELi512ELi8ELb1EDF16_PKDF16_fEviT5_lT_lS2_lS3_liPT6_PT4_: ; @_ZL18rocblas_dot_kernelIiLb0ELi512ELi8ELb1EDF16_PKDF16_fEviT5_lT_lS2_lS3_liPT6_PT4_
; %bb.0:
	s_load_b32 s30, s[0:1], 0x48
	s_bfe_u32 s2, ttmp6, 0x40014
	s_lshr_b32 s3, ttmp7, 16
	s_add_co_i32 s2, s2, 1
	s_bfe_u32 s5, ttmp6, 0x40008
	s_mul_i32 s4, s3, s2
	s_getreg_b32 s2, hwreg(HW_REG_IB_STS2, 6, 4)
	s_add_co_i32 s5, s5, s4
	s_cmp_eq_u32 s2, 0
	s_mov_b32 s21, 0
	s_cselect_b32 s20, s3, s5
	s_wait_kmcnt 0x0
	s_cmp_ge_u32 s20, s30
	s_cbranch_scc1 .LBB162_20
; %bb.1:
	v_mbcnt_lo_u32_b32 v2, -1, 0
	s_clause 0x7
	s_load_b32 s24, s[0:1], 0x18
	s_load_b96 s[16:18], s[0:1], 0x30
	s_load_b32 s22, s[0:1], 0x60
	s_load_b128 s[8:11], s[0:1], 0x20
	s_load_b128 s[12:15], s[0:1], 0x8
	s_load_b32 s31, s[0:1], 0x0
	s_load_b128 s[4:7], s[0:1], 0x50
	s_load_b64 s[26:27], s[0:1], 0x40
	s_wait_xcnt 0x0
	s_bfe_u32 s0, ttmp6, 0x4000c
	s_and_b32 s1, ttmp6, 15
	s_add_co_i32 s3, s0, 1
	v_cmp_gt_u32_e32 vcc_lo, 24, v2
	s_mul_i32 s3, ttmp9, s3
	v_and_b32_e32 v1, 31, v0
	s_add_co_i32 s1, s1, s3
	s_mov_b32 s35, s21
	v_cndmask_b32_e64 v3, 0, 8, vcc_lo
	v_cmp_gt_u32_e32 vcc_lo, 28, v2
	v_cmp_gt_u32_e64 s0, 32, v0
	v_lshl_or_b32 v6, v2, 2, 64
	s_wait_kmcnt 0x0
	s_ashr_i32 s25, s24, 31
	s_ashr_i32 s29, s18, 31
	v_cndmask_b32_e64 v8, 0, 4, vcc_lo
	v_cmp_gt_u32_e32 vcc_lo, 30, v2
	s_cmp_eq_u32 s2, 0
	s_mov_b32 s28, s18
	s_cselect_b32 s34, ttmp9, s1
	s_cmp_lg_u32 s22, 1
	v_cndmask_b32_e64 v9, 0, 2, vcc_lo
	v_cmp_ne_u32_e32 vcc_lo, 31, v2
	s_cselect_b32 s33, -1, 0
	s_lshl_b32 s18, s22, 9
	v_add_lshl_u32 v7, v3, v2, 2
	v_lshrrev_b32_e32 v3, 3, v0
	v_add_co_ci_u32_e64 v10, null, 0, v2, vcc_lo
	s_lshl_b64 s[14:15], s[14:15], 1
	s_ashr_i32 s19, s18, 31
	v_lshl_or_b32 v4, s34, 9, v0
	s_lshl_b64 s[34:35], s[34:35], 2
	s_add_nc_u64 s[12:13], s[12:13], s[14:15]
	s_lshl_b64 s[14:15], s[24:25], 1
	s_mul_u64 s[24:25], s[24:25], s[18:19]
	v_dual_lshlrev_b32 v5, 2, v1 :: v_dual_lshlrev_b32 v10, 2, v10
	v_add_lshl_u32 v8, v8, v2, 2
	v_add_lshl_u32 v9, v9, v2, 2
	v_cmp_eq_u32_e64 s1, 0, v1
	v_dual_mov_b32 v12, 0 :: v_dual_bitop2_b32 v11, 60, v3 bitop3:0x40
	v_cmp_gt_u32_e64 s2, 16, v0
	v_cmp_eq_u32_e64 s3, 0, v0
	s_add_nc_u64 s[4:5], s[4:5], s[34:35]
	s_lshl_b64 s[34:35], s[16:17], 1
	s_lshl_b64 s[16:17], s[24:25], 1
	;; [unrolled: 1-line block ×3, first 2 shown]
	s_mul_u64 s[28:29], s[28:29], s[18:19]
	s_mov_b32 s23, s21
	s_lshl_b64 s[8:9], s[8:9], 1
	s_add_nc_u64 s[10:11], s[10:11], s[34:35]
	s_lshl_b64 s[26:27], s[26:27], 1
	s_lshl_b64 s[28:29], s[28:29], 1
	s_branch .LBB162_3
.LBB162_2:                              ;   in Loop: Header=BB162_3 Depth=1
	s_wait_xcnt 0x0
	s_or_b32 exec_lo, exec_lo, s19
	s_add_co_i32 s20, s20, 0x10000
	s_delay_alu instid0(SALU_CYCLE_1)
	s_cmp_lt_u32 s20, s30
	s_cbranch_scc0 .LBB162_20
.LBB162_3:                              ; =>This Loop Header: Depth=1
                                        ;     Child Loop BB162_5 Depth 2
	v_mov_b32_e32 v13, 0
	s_mov_b32 s19, exec_lo
	v_cmpx_gt_i32_e64 s31, v4
	s_cbranch_execz .LBB162_7
; %bb.4:                                ;   in Loop: Header=BB162_3 Depth=1
	s_mul_u64 s[34:35], s[8:9], s[20:21]
	s_mul_u64 s[36:37], s[26:27], s[20:21]
	s_add_nc_u64 s[34:35], s[12:13], s[34:35]
	s_add_nc_u64 s[36:37], s[10:11], s[36:37]
	s_wait_dscnt 0x0
	v_mad_nc_u64_u32 v[0:1], s14, v4, s[34:35]
	v_mad_nc_u64_u32 v[2:3], s24, v4, s[36:37]
	v_ashrrev_i32_e32 v13, 31, v4
	s_mov_b32 s34, 0
	s_mov_b32 s35, 0
	s_delay_alu instid0(VALU_DEP_3) | instskip(NEXT) | instid1(VALU_DEP_3)
	v_mad_u32 v1, s15, v4, v1
	v_mad_u32 v3, s25, v4, v3
	s_delay_alu instid0(VALU_DEP_2) | instskip(NEXT) | instid1(VALU_DEP_2)
	v_mad_u32 v1, s14, v13, v1
	v_mad_u32 v3, s24, v13, v3
	v_mov_b32_e32 v13, 0
.LBB162_5:                              ;   Parent Loop BB162_3 Depth=1
                                        ; =>  This Inner Loop Header: Depth=2
	global_load_u16 v14, v[2:3], off
	global_load_u16 v15, v[0:1], off
	v_add_nc_u32_e32 v4, s18, v4
	s_add_co_i32 s36, s35, 1
	s_cmp_gt_u32 s35, 6
	s_wait_xcnt 0x0
	v_add_nc_u64_e32 v[0:1], s[16:17], v[0:1]
	s_cselect_b32 s35, -1, 0
	v_cmp_le_i32_e32 vcc_lo, s31, v4
	v_add_nc_u64_e32 v[2:3], s[28:29], v[2:3]
	s_or_b32 s35, s35, vcc_lo
	s_delay_alu instid0(SALU_CYCLE_1) | instskip(NEXT) | instid1(SALU_CYCLE_1)
	s_and_b32 s35, exec_lo, s35
	s_or_b32 s34, s35, s34
	s_mov_b32 s35, s36
	s_wait_loadcnt 0x0
	v_fma_mix_f32 v13, v14, v15, v13 op_sel_hi:[1,1,0]
	s_and_not1_b32 exec_lo, exec_lo, s34
	s_cbranch_execnz .LBB162_5
; %bb.6:                                ;   in Loop: Header=BB162_3 Depth=1
	s_or_b32 exec_lo, exec_lo, s34
.LBB162_7:                              ;   in Loop: Header=BB162_3 Depth=1
	s_delay_alu instid0(SALU_CYCLE_1)
	s_or_b32 exec_lo, exec_lo, s19
	s_and_saveexec_b32 s19, s0
; %bb.8:                                ;   in Loop: Header=BB162_3 Depth=1
	ds_store_b32 v5, v12
; %bb.9:                                ;   in Loop: Header=BB162_3 Depth=1
	s_or_b32 exec_lo, exec_lo, s19
	s_wait_dscnt 0x0
	ds_bpermute_b32 v0, v6, v13
	s_wait_dscnt 0x0
	s_barrier_signal -1
	s_barrier_wait -1
	v_add_f32_e32 v0, v13, v0
	ds_bpermute_b32 v1, v7, v0
	s_wait_dscnt 0x0
	v_add_f32_e32 v0, v0, v1
	ds_bpermute_b32 v1, v8, v0
	s_wait_dscnt 0x0
	;; [unrolled: 3-line block ×3, first 2 shown]
	v_add_f32_e32 v0, v0, v1
	ds_bpermute_b32 v1, v10, v0
	s_and_saveexec_b32 s19, s1
	s_cbranch_execz .LBB162_11
; %bb.10:                               ;   in Loop: Header=BB162_3 Depth=1
	s_wait_dscnt 0x0
	v_add_f32_e32 v0, v0, v1
	ds_store_b32 v11, v0
.LBB162_11:                             ;   in Loop: Header=BB162_3 Depth=1
	s_or_b32 exec_lo, exec_lo, s19
	v_mov_b32_e32 v0, 0
	s_wait_dscnt 0x0
	s_barrier_signal -1
	s_barrier_wait -1
	s_and_saveexec_b32 s19, s2
	s_cbranch_execnz .LBB162_14
; %bb.12:                               ;   in Loop: Header=BB162_3 Depth=1
	s_or_b32 exec_lo, exec_lo, s19
	s_and_saveexec_b32 s19, s0
	s_cbranch_execnz .LBB162_15
.LBB162_13:                             ;   in Loop: Header=BB162_3 Depth=1
	s_or_b32 exec_lo, exec_lo, s19
	s_and_saveexec_b32 s19, s3
	s_cbranch_execz .LBB162_2
	s_branch .LBB162_16
.LBB162_14:                             ;   in Loop: Header=BB162_3 Depth=1
	ds_load_b32 v0, v5
	s_or_b32 exec_lo, exec_lo, s19
	s_and_saveexec_b32 s19, s0
	s_cbranch_execz .LBB162_13
.LBB162_15:                             ;   in Loop: Header=BB162_3 Depth=1
	s_wait_dscnt 0x0
	ds_bpermute_b32 v1, v7, v0
	s_wait_dscnt 0x0
	v_add_f32_e32 v0, v0, v1
	ds_bpermute_b32 v1, v8, v0
	s_wait_dscnt 0x0
	v_add_f32_e32 v0, v0, v1
	;; [unrolled: 3-line block ×4, first 2 shown]
	s_or_b32 exec_lo, exec_lo, s19
	s_and_saveexec_b32 s19, s3
	s_cbranch_execz .LBB162_2
.LBB162_16:                             ;   in Loop: Header=BB162_3 Depth=1
	s_and_b32 vcc_lo, exec_lo, s33
	s_mov_b32 s34, -1
	s_cbranch_vccz .LBB162_18
; %bb.17:                               ;   in Loop: Header=BB162_3 Depth=1
	s_mul_u64 s[34:35], s[22:23], s[20:21]
	s_delay_alu instid0(SALU_CYCLE_1) | instskip(NEXT) | instid1(SALU_CYCLE_1)
	s_lshl_b64 s[34:35], s[34:35], 2
	s_add_nc_u64 s[36:37], s[4:5], s[34:35]
	s_mov_b32 s34, 0
	s_wait_dscnt 0x0
	global_store_b32 v12, v0, s[36:37]
.LBB162_18:                             ;   in Loop: Header=BB162_3 Depth=1
	s_and_not1_b32 vcc_lo, exec_lo, s34
	s_cbranch_vccnz .LBB162_2
; %bb.19:                               ;   in Loop: Header=BB162_3 Depth=1
	s_wait_dscnt 0x0
	s_wait_xcnt 0x0
	v_cvt_f16_f32_e32 v0, v0
	s_lshl_b64 s[34:35], s[20:21], 1
	s_delay_alu instid0(SALU_CYCLE_1)
	s_add_nc_u64 s[34:35], s[6:7], s[34:35]
	global_store_b16 v12, v0, s[34:35]
	s_branch .LBB162_2
.LBB162_20:
	s_endpgm
	.section	.rodata,"a",@progbits
	.p2align	6, 0x0
	.amdhsa_kernel _ZL18rocblas_dot_kernelIiLb0ELi512ELi8ELb1EDF16_PKDF16_fEviT5_lT_lS2_lS3_liPT6_PT4_
		.amdhsa_group_segment_fixed_size 128
		.amdhsa_private_segment_fixed_size 0
		.amdhsa_kernarg_size 352
		.amdhsa_user_sgpr_count 2
		.amdhsa_user_sgpr_dispatch_ptr 0
		.amdhsa_user_sgpr_queue_ptr 0
		.amdhsa_user_sgpr_kernarg_segment_ptr 1
		.amdhsa_user_sgpr_dispatch_id 0
		.amdhsa_user_sgpr_kernarg_preload_length 0
		.amdhsa_user_sgpr_kernarg_preload_offset 0
		.amdhsa_user_sgpr_private_segment_size 0
		.amdhsa_wavefront_size32 1
		.amdhsa_uses_dynamic_stack 0
		.amdhsa_enable_private_segment 0
		.amdhsa_system_sgpr_workgroup_id_x 1
		.amdhsa_system_sgpr_workgroup_id_y 0
		.amdhsa_system_sgpr_workgroup_id_z 1
		.amdhsa_system_sgpr_workgroup_info 0
		.amdhsa_system_vgpr_workitem_id 0
		.amdhsa_next_free_vgpr 16
		.amdhsa_next_free_sgpr 38
		.amdhsa_named_barrier_count 0
		.amdhsa_reserve_vcc 1
		.amdhsa_float_round_mode_32 0
		.amdhsa_float_round_mode_16_64 0
		.amdhsa_float_denorm_mode_32 3
		.amdhsa_float_denorm_mode_16_64 3
		.amdhsa_fp16_overflow 0
		.amdhsa_memory_ordered 1
		.amdhsa_forward_progress 1
		.amdhsa_inst_pref_size 9
		.amdhsa_round_robin_scheduling 0
		.amdhsa_exception_fp_ieee_invalid_op 0
		.amdhsa_exception_fp_denorm_src 0
		.amdhsa_exception_fp_ieee_div_zero 0
		.amdhsa_exception_fp_ieee_overflow 0
		.amdhsa_exception_fp_ieee_underflow 0
		.amdhsa_exception_fp_ieee_inexact 0
		.amdhsa_exception_int_div_zero 0
	.end_amdhsa_kernel
	.section	.text._ZL18rocblas_dot_kernelIiLb0ELi512ELi8ELb1EDF16_PKDF16_fEviT5_lT_lS2_lS3_liPT6_PT4_,"axG",@progbits,_ZL18rocblas_dot_kernelIiLb0ELi512ELi8ELb1EDF16_PKDF16_fEviT5_lT_lS2_lS3_liPT6_PT4_,comdat
.Lfunc_end162:
	.size	_ZL18rocblas_dot_kernelIiLb0ELi512ELi8ELb1EDF16_PKDF16_fEviT5_lT_lS2_lS3_liPT6_PT4_, .Lfunc_end162-_ZL18rocblas_dot_kernelIiLb0ELi512ELi8ELb1EDF16_PKDF16_fEviT5_lT_lS2_lS3_liPT6_PT4_
                                        ; -- End function
	.set _ZL18rocblas_dot_kernelIiLb0ELi512ELi8ELb1EDF16_PKDF16_fEviT5_lT_lS2_lS3_liPT6_PT4_.num_vgpr, 16
	.set _ZL18rocblas_dot_kernelIiLb0ELi512ELi8ELb1EDF16_PKDF16_fEviT5_lT_lS2_lS3_liPT6_PT4_.num_agpr, 0
	.set _ZL18rocblas_dot_kernelIiLb0ELi512ELi8ELb1EDF16_PKDF16_fEviT5_lT_lS2_lS3_liPT6_PT4_.numbered_sgpr, 38
	.set _ZL18rocblas_dot_kernelIiLb0ELi512ELi8ELb1EDF16_PKDF16_fEviT5_lT_lS2_lS3_liPT6_PT4_.num_named_barrier, 0
	.set _ZL18rocblas_dot_kernelIiLb0ELi512ELi8ELb1EDF16_PKDF16_fEviT5_lT_lS2_lS3_liPT6_PT4_.private_seg_size, 0
	.set _ZL18rocblas_dot_kernelIiLb0ELi512ELi8ELb1EDF16_PKDF16_fEviT5_lT_lS2_lS3_liPT6_PT4_.uses_vcc, 1
	.set _ZL18rocblas_dot_kernelIiLb0ELi512ELi8ELb1EDF16_PKDF16_fEviT5_lT_lS2_lS3_liPT6_PT4_.uses_flat_scratch, 0
	.set _ZL18rocblas_dot_kernelIiLb0ELi512ELi8ELb1EDF16_PKDF16_fEviT5_lT_lS2_lS3_liPT6_PT4_.has_dyn_sized_stack, 0
	.set _ZL18rocblas_dot_kernelIiLb0ELi512ELi8ELb1EDF16_PKDF16_fEviT5_lT_lS2_lS3_liPT6_PT4_.has_recursion, 0
	.set _ZL18rocblas_dot_kernelIiLb0ELi512ELi8ELb1EDF16_PKDF16_fEviT5_lT_lS2_lS3_liPT6_PT4_.has_indirect_call, 0
	.section	.AMDGPU.csdata,"",@progbits
; Kernel info:
; codeLenInByte = 1060
; TotalNumSgprs: 40
; NumVgprs: 16
; ScratchSize: 0
; MemoryBound: 0
; FloatMode: 240
; IeeeMode: 1
; LDSByteSize: 128 bytes/workgroup (compile time only)
; SGPRBlocks: 0
; VGPRBlocks: 0
; NumSGPRsForWavesPerEU: 40
; NumVGPRsForWavesPerEU: 16
; NamedBarCnt: 0
; Occupancy: 16
; WaveLimiterHint : 0
; COMPUTE_PGM_RSRC2:SCRATCH_EN: 0
; COMPUTE_PGM_RSRC2:USER_SGPR: 2
; COMPUTE_PGM_RSRC2:TRAP_HANDLER: 0
; COMPUTE_PGM_RSRC2:TGID_X_EN: 1
; COMPUTE_PGM_RSRC2:TGID_Y_EN: 0
; COMPUTE_PGM_RSRC2:TGID_Z_EN: 1
; COMPUTE_PGM_RSRC2:TIDIG_COMP_CNT: 0
	.section	.text._ZL24rocblas_dot_kernel_magsqIiLb0ELi512ELi8ELb1EDF16_PKDF16_fEviT5_lT_liPT6_PT4_,"axG",@progbits,_ZL24rocblas_dot_kernel_magsqIiLb0ELi512ELi8ELb1EDF16_PKDF16_fEviT5_lT_liPT6_PT4_,comdat
	.globl	_ZL24rocblas_dot_kernel_magsqIiLb0ELi512ELi8ELb1EDF16_PKDF16_fEviT5_lT_liPT6_PT4_ ; -- Begin function _ZL24rocblas_dot_kernel_magsqIiLb0ELi512ELi8ELb1EDF16_PKDF16_fEviT5_lT_liPT6_PT4_
	.p2align	8
	.type	_ZL24rocblas_dot_kernel_magsqIiLb0ELi512ELi8ELb1EDF16_PKDF16_fEviT5_lT_liPT6_PT4_,@function
_ZL24rocblas_dot_kernel_magsqIiLb0ELi512ELi8ELb1EDF16_PKDF16_fEviT5_lT_liPT6_PT4_: ; @_ZL24rocblas_dot_kernel_magsqIiLb0ELi512ELi8ELb1EDF16_PKDF16_fEviT5_lT_liPT6_PT4_
; %bb.0:
	s_load_b32 s22, s[0:1], 0x28
	s_bfe_u32 s2, ttmp6, 0x40014
	s_lshr_b32 s3, ttmp7, 16
	s_add_co_i32 s2, s2, 1
	s_bfe_u32 s5, ttmp6, 0x40008
	s_mul_i32 s4, s3, s2
	s_getreg_b32 s2, hwreg(HW_REG_IB_STS2, 6, 4)
	s_add_co_i32 s5, s5, s4
	s_cmp_eq_u32 s2, 0
	s_mov_b32 s13, 0
	s_cselect_b32 s12, s3, s5
	s_wait_kmcnt 0x0
	s_cmp_ge_u32 s12, s22
	s_cbranch_scc1 .LBB163_20
; %bb.1:
	v_mbcnt_lo_u32_b32 v7, -1, 0
	s_clause 0x5
	s_load_b32 s18, s[0:1], 0x18
	s_load_b128 s[4:7], s[0:1], 0x30
	s_load_b32 s14, s[0:1], 0x40
	s_load_b128 s[8:11], s[0:1], 0x8
	s_load_b64 s[20:21], s[0:1], 0x20
	s_load_b32 s23, s[0:1], 0x0
	s_wait_xcnt 0x0
	s_bfe_u32 s0, ttmp6, 0x4000c
	s_and_b32 s1, ttmp6, 15
	s_add_co_i32 s3, s0, 1
	v_cmp_gt_u32_e32 vcc_lo, 24, v7
	s_mul_i32 s3, ttmp9, s3
	v_dual_lshrrev_b32 v10, 3, v0 :: v_dual_bitop2_b32 v1, 31, v0 bitop3:0x40
	s_add_co_i32 s1, s1, s3
	v_cndmask_b32_e64 v5, 0, 8, vcc_lo
	v_cmp_gt_u32_e32 vcc_lo, 28, v7
	s_mov_b32 s27, s13
	v_cmp_gt_u32_e64 s0, 32, v0
	v_lshlrev_b32_e32 v2, 2, v1
	v_lshl_or_b32 v3, v7, 2, 64
	v_cndmask_b32_e64 v6, 0, 4, vcc_lo
	v_cmp_gt_u32_e32 vcc_lo, 30, v7
	s_wait_kmcnt 0x0
	s_ashr_i32 s19, s18, 31
	s_cmp_eq_u32 s2, 0
	v_add_lshl_u32 v5, v5, v7, 2
	s_cselect_b32 s26, ttmp9, s1
	v_cndmask_b32_e64 v8, 0, 2, vcc_lo
	v_cmp_ne_u32_e32 vcc_lo, 31, v7
	s_cmp_lg_u32 s14, 1
	v_lshl_or_b32 v4, s26, 9, v0
	s_cselect_b32 s24, -1, 0
	s_lshl_b32 s16, s14, 9
	v_add_co_ci_u32_e64 v9, null, 0, v7, vcc_lo
	s_lshl_b64 s[26:27], s[26:27], 2
	s_ashr_i32 s17, s16, 31
	v_add_lshl_u32 v6, v6, v7, 2
	v_add_lshl_u32 v7, v8, v7, 2
	v_lshlrev_b32_e32 v8, 2, v9
	v_cmp_eq_u32_e64 s1, 0, v1
	v_and_b32_e32 v9, 60, v10
	v_cmp_gt_u32_e64 s2, 16, v0
	v_cmp_eq_u32_e64 s3, 0, v0
	v_mov_b32_e32 v10, 0
	s_lshl_b64 s[10:11], s[10:11], 1
	s_add_nc_u64 s[4:5], s[4:5], s[26:27]
	s_mul_u64 s[26:27], s[18:19], s[16:17]
	s_mov_b32 s15, s13
	s_add_nc_u64 s[8:9], s[8:9], s[10:11]
	s_lshl_b64 s[10:11], s[18:19], 1
	s_lshl_b64 s[18:19], s[20:21], 1
	;; [unrolled: 1-line block ×3, first 2 shown]
	s_branch .LBB163_3
.LBB163_2:                              ;   in Loop: Header=BB163_3 Depth=1
	s_wait_xcnt 0x0
	s_or_b32 exec_lo, exec_lo, s17
	s_add_co_i32 s12, s12, 0x10000
	s_delay_alu instid0(SALU_CYCLE_1)
	s_cmp_lt_u32 s12, s22
	s_cbranch_scc0 .LBB163_20
.LBB163_3:                              ; =>This Loop Header: Depth=1
                                        ;     Child Loop BB163_5 Depth 2
	v_mov_b32_e32 v11, 0
	s_mov_b32 s17, exec_lo
	v_cmpx_gt_i32_e64 s23, v4
	s_cbranch_execz .LBB163_7
; %bb.4:                                ;   in Loop: Header=BB163_3 Depth=1
	s_mul_u64 s[26:27], s[18:19], s[12:13]
	v_ashrrev_i32_e32 v11, 31, v4
	s_add_nc_u64 s[26:27], s[8:9], s[26:27]
	s_mov_b32 s25, 0
	s_wait_dscnt 0x0
	v_mad_nc_u64_u32 v[0:1], s10, v4, s[26:27]
	s_mov_b32 s26, 0
	s_delay_alu instid0(VALU_DEP_1) | instskip(NEXT) | instid1(VALU_DEP_1)
	v_mad_u32 v1, s11, v4, v1
	v_mad_u32 v1, s10, v11, v1
	v_mov_b32_e32 v11, 0
.LBB163_5:                              ;   Parent Loop BB163_3 Depth=1
                                        ; =>  This Inner Loop Header: Depth=2
	global_load_u16 v12, v[0:1], off
	v_add_nc_u32_e32 v4, s16, v4
	s_add_co_i32 s27, s26, 1
	s_cmp_gt_u32 s26, 6
	s_wait_xcnt 0x0
	v_add_nc_u64_e32 v[0:1], s[20:21], v[0:1]
	s_cselect_b32 s26, -1, 0
	v_cmp_le_i32_e32 vcc_lo, s23, v4
	s_or_b32 s26, s26, vcc_lo
	s_delay_alu instid0(SALU_CYCLE_1) | instskip(NEXT) | instid1(SALU_CYCLE_1)
	s_and_b32 s26, exec_lo, s26
	s_or_b32 s25, s26, s25
	s_mov_b32 s26, s27
	s_wait_loadcnt 0x0
	v_fma_mix_f32 v11, v12, v12, v11 op_sel_hi:[1,1,0]
	s_and_not1_b32 exec_lo, exec_lo, s25
	s_cbranch_execnz .LBB163_5
; %bb.6:                                ;   in Loop: Header=BB163_3 Depth=1
	s_or_b32 exec_lo, exec_lo, s25
.LBB163_7:                              ;   in Loop: Header=BB163_3 Depth=1
	s_delay_alu instid0(SALU_CYCLE_1)
	s_or_b32 exec_lo, exec_lo, s17
	s_and_saveexec_b32 s17, s0
; %bb.8:                                ;   in Loop: Header=BB163_3 Depth=1
	ds_store_b32 v2, v10
; %bb.9:                                ;   in Loop: Header=BB163_3 Depth=1
	s_or_b32 exec_lo, exec_lo, s17
	s_wait_dscnt 0x0
	ds_bpermute_b32 v0, v3, v11
	s_wait_dscnt 0x0
	s_barrier_signal -1
	s_barrier_wait -1
	v_add_f32_e32 v0, v11, v0
	ds_bpermute_b32 v1, v5, v0
	s_wait_dscnt 0x0
	v_add_f32_e32 v0, v0, v1
	ds_bpermute_b32 v1, v6, v0
	s_wait_dscnt 0x0
	;; [unrolled: 3-line block ×3, first 2 shown]
	v_add_f32_e32 v0, v0, v1
	ds_bpermute_b32 v1, v8, v0
	s_and_saveexec_b32 s17, s1
	s_cbranch_execz .LBB163_11
; %bb.10:                               ;   in Loop: Header=BB163_3 Depth=1
	s_wait_dscnt 0x0
	v_add_f32_e32 v0, v0, v1
	ds_store_b32 v9, v0
.LBB163_11:                             ;   in Loop: Header=BB163_3 Depth=1
	s_or_b32 exec_lo, exec_lo, s17
	v_mov_b32_e32 v0, 0
	s_wait_dscnt 0x0
	s_barrier_signal -1
	s_barrier_wait -1
	s_and_saveexec_b32 s17, s2
	s_cbranch_execnz .LBB163_14
; %bb.12:                               ;   in Loop: Header=BB163_3 Depth=1
	s_or_b32 exec_lo, exec_lo, s17
	s_and_saveexec_b32 s17, s0
	s_cbranch_execnz .LBB163_15
.LBB163_13:                             ;   in Loop: Header=BB163_3 Depth=1
	s_or_b32 exec_lo, exec_lo, s17
	s_and_saveexec_b32 s17, s3
	s_cbranch_execz .LBB163_2
	s_branch .LBB163_16
.LBB163_14:                             ;   in Loop: Header=BB163_3 Depth=1
	ds_load_b32 v0, v2
	s_or_b32 exec_lo, exec_lo, s17
	s_and_saveexec_b32 s17, s0
	s_cbranch_execz .LBB163_13
.LBB163_15:                             ;   in Loop: Header=BB163_3 Depth=1
	s_wait_dscnt 0x0
	ds_bpermute_b32 v1, v5, v0
	s_wait_dscnt 0x0
	v_add_f32_e32 v0, v0, v1
	ds_bpermute_b32 v1, v6, v0
	s_wait_dscnt 0x0
	v_add_f32_e32 v0, v0, v1
	;; [unrolled: 3-line block ×4, first 2 shown]
	s_or_b32 exec_lo, exec_lo, s17
	s_and_saveexec_b32 s17, s3
	s_cbranch_execz .LBB163_2
.LBB163_16:                             ;   in Loop: Header=BB163_3 Depth=1
	s_and_b32 vcc_lo, exec_lo, s24
	s_mov_b32 s25, -1
	s_cbranch_vccz .LBB163_18
; %bb.17:                               ;   in Loop: Header=BB163_3 Depth=1
	s_mul_u64 s[26:27], s[14:15], s[12:13]
	s_mov_b32 s25, 0
	s_lshl_b64 s[26:27], s[26:27], 2
	s_delay_alu instid0(SALU_CYCLE_1)
	s_add_nc_u64 s[26:27], s[4:5], s[26:27]
	s_wait_dscnt 0x0
	global_store_b32 v10, v0, s[26:27]
.LBB163_18:                             ;   in Loop: Header=BB163_3 Depth=1
	s_and_not1_b32 vcc_lo, exec_lo, s25
	s_cbranch_vccnz .LBB163_2
; %bb.19:                               ;   in Loop: Header=BB163_3 Depth=1
	s_wait_dscnt 0x0
	s_wait_xcnt 0x0
	v_cvt_f16_f32_e32 v0, v0
	s_lshl_b64 s[26:27], s[12:13], 1
	s_delay_alu instid0(SALU_CYCLE_1)
	s_add_nc_u64 s[26:27], s[6:7], s[26:27]
	global_store_b16 v10, v0, s[26:27]
	s_branch .LBB163_2
.LBB163_20:
	s_endpgm
	.section	.rodata,"a",@progbits
	.p2align	6, 0x0
	.amdhsa_kernel _ZL24rocblas_dot_kernel_magsqIiLb0ELi512ELi8ELb1EDF16_PKDF16_fEviT5_lT_liPT6_PT4_
		.amdhsa_group_segment_fixed_size 128
		.amdhsa_private_segment_fixed_size 0
		.amdhsa_kernarg_size 320
		.amdhsa_user_sgpr_count 2
		.amdhsa_user_sgpr_dispatch_ptr 0
		.amdhsa_user_sgpr_queue_ptr 0
		.amdhsa_user_sgpr_kernarg_segment_ptr 1
		.amdhsa_user_sgpr_dispatch_id 0
		.amdhsa_user_sgpr_kernarg_preload_length 0
		.amdhsa_user_sgpr_kernarg_preload_offset 0
		.amdhsa_user_sgpr_private_segment_size 0
		.amdhsa_wavefront_size32 1
		.amdhsa_uses_dynamic_stack 0
		.amdhsa_enable_private_segment 0
		.amdhsa_system_sgpr_workgroup_id_x 1
		.amdhsa_system_sgpr_workgroup_id_y 0
		.amdhsa_system_sgpr_workgroup_id_z 1
		.amdhsa_system_sgpr_workgroup_info 0
		.amdhsa_system_vgpr_workitem_id 0
		.amdhsa_next_free_vgpr 13
		.amdhsa_next_free_sgpr 28
		.amdhsa_named_barrier_count 0
		.amdhsa_reserve_vcc 1
		.amdhsa_float_round_mode_32 0
		.amdhsa_float_round_mode_16_64 0
		.amdhsa_float_denorm_mode_32 3
		.amdhsa_float_denorm_mode_16_64 3
		.amdhsa_fp16_overflow 0
		.amdhsa_memory_ordered 1
		.amdhsa_forward_progress 1
		.amdhsa_inst_pref_size 8
		.amdhsa_round_robin_scheduling 0
		.amdhsa_exception_fp_ieee_invalid_op 0
		.amdhsa_exception_fp_denorm_src 0
		.amdhsa_exception_fp_ieee_div_zero 0
		.amdhsa_exception_fp_ieee_overflow 0
		.amdhsa_exception_fp_ieee_underflow 0
		.amdhsa_exception_fp_ieee_inexact 0
		.amdhsa_exception_int_div_zero 0
	.end_amdhsa_kernel
	.section	.text._ZL24rocblas_dot_kernel_magsqIiLb0ELi512ELi8ELb1EDF16_PKDF16_fEviT5_lT_liPT6_PT4_,"axG",@progbits,_ZL24rocblas_dot_kernel_magsqIiLb0ELi512ELi8ELb1EDF16_PKDF16_fEviT5_lT_liPT6_PT4_,comdat
.Lfunc_end163:
	.size	_ZL24rocblas_dot_kernel_magsqIiLb0ELi512ELi8ELb1EDF16_PKDF16_fEviT5_lT_liPT6_PT4_, .Lfunc_end163-_ZL24rocblas_dot_kernel_magsqIiLb0ELi512ELi8ELb1EDF16_PKDF16_fEviT5_lT_liPT6_PT4_
                                        ; -- End function
	.set _ZL24rocblas_dot_kernel_magsqIiLb0ELi512ELi8ELb1EDF16_PKDF16_fEviT5_lT_liPT6_PT4_.num_vgpr, 13
	.set _ZL24rocblas_dot_kernel_magsqIiLb0ELi512ELi8ELb1EDF16_PKDF16_fEviT5_lT_liPT6_PT4_.num_agpr, 0
	.set _ZL24rocblas_dot_kernel_magsqIiLb0ELi512ELi8ELb1EDF16_PKDF16_fEviT5_lT_liPT6_PT4_.numbered_sgpr, 28
	.set _ZL24rocblas_dot_kernel_magsqIiLb0ELi512ELi8ELb1EDF16_PKDF16_fEviT5_lT_liPT6_PT4_.num_named_barrier, 0
	.set _ZL24rocblas_dot_kernel_magsqIiLb0ELi512ELi8ELb1EDF16_PKDF16_fEviT5_lT_liPT6_PT4_.private_seg_size, 0
	.set _ZL24rocblas_dot_kernel_magsqIiLb0ELi512ELi8ELb1EDF16_PKDF16_fEviT5_lT_liPT6_PT4_.uses_vcc, 1
	.set _ZL24rocblas_dot_kernel_magsqIiLb0ELi512ELi8ELb1EDF16_PKDF16_fEviT5_lT_liPT6_PT4_.uses_flat_scratch, 0
	.set _ZL24rocblas_dot_kernel_magsqIiLb0ELi512ELi8ELb1EDF16_PKDF16_fEviT5_lT_liPT6_PT4_.has_dyn_sized_stack, 0
	.set _ZL24rocblas_dot_kernel_magsqIiLb0ELi512ELi8ELb1EDF16_PKDF16_fEviT5_lT_liPT6_PT4_.has_recursion, 0
	.set _ZL24rocblas_dot_kernel_magsqIiLb0ELi512ELi8ELb1EDF16_PKDF16_fEviT5_lT_liPT6_PT4_.has_indirect_call, 0
	.section	.AMDGPU.csdata,"",@progbits
; Kernel info:
; codeLenInByte = 956
; TotalNumSgprs: 30
; NumVgprs: 13
; ScratchSize: 0
; MemoryBound: 0
; FloatMode: 240
; IeeeMode: 1
; LDSByteSize: 128 bytes/workgroup (compile time only)
; SGPRBlocks: 0
; VGPRBlocks: 0
; NumSGPRsForWavesPerEU: 30
; NumVGPRsForWavesPerEU: 13
; NamedBarCnt: 0
; Occupancy: 16
; WaveLimiterHint : 0
; COMPUTE_PGM_RSRC2:SCRATCH_EN: 0
; COMPUTE_PGM_RSRC2:USER_SGPR: 2
; COMPUTE_PGM_RSRC2:TRAP_HANDLER: 0
; COMPUTE_PGM_RSRC2:TGID_X_EN: 1
; COMPUTE_PGM_RSRC2:TGID_Y_EN: 0
; COMPUTE_PGM_RSRC2:TGID_Z_EN: 1
; COMPUTE_PGM_RSRC2:TIDIG_COMP_CNT: 0
	.section	.text._ZL28rocblas_dot_batched_4_kernelIiLi32ELi4ELb1EfDF16_PKPKDF16_EviT5_lT_lS4_lS5_liPT4_,"axG",@progbits,_ZL28rocblas_dot_batched_4_kernelIiLi32ELi4ELb1EfDF16_PKPKDF16_EviT5_lT_lS4_lS5_liPT4_,comdat
	.globl	_ZL28rocblas_dot_batched_4_kernelIiLi32ELi4ELb1EfDF16_PKPKDF16_EviT5_lT_lS4_lS5_liPT4_ ; -- Begin function _ZL28rocblas_dot_batched_4_kernelIiLi32ELi4ELb1EfDF16_PKPKDF16_EviT5_lT_lS4_lS5_liPT4_
	.p2align	8
	.type	_ZL28rocblas_dot_batched_4_kernelIiLi32ELi4ELb1EfDF16_PKPKDF16_EviT5_lT_lS4_lS5_liPT4_,@function
_ZL28rocblas_dot_batched_4_kernelIiLi32ELi4ELb1EfDF16_PKPKDF16_EviT5_lT_lS4_lS5_liPT4_: ; @_ZL28rocblas_dot_batched_4_kernelIiLi32ELi4ELb1EfDF16_PKPKDF16_EviT5_lT_lS4_lS5_liPT4_
; %bb.0:
	s_load_b32 s2, s[0:1], 0x48
	s_bfe_u32 s3, ttmp6, 0x4000c
	s_and_b32 s4, ttmp6, 15
	s_add_co_i32 s3, s3, 1
	v_bfe_u32 v1, v0, 10, 10
	s_mul_i32 s3, ttmp9, s3
	s_delay_alu instid0(SALU_CYCLE_1) | instskip(SKIP_1) | instid1(SALU_CYCLE_1)
	s_add_co_i32 s4, s4, s3
	s_getreg_b32 s3, hwreg(HW_REG_IB_STS2, 6, 4)
	s_cmp_eq_u32 s3, 0
	s_cselect_b32 s3, ttmp9, s4
	s_delay_alu instid0(SALU_CYCLE_1) | instskip(SKIP_1) | instid1(VALU_DEP_1)
	v_lshl_add_u32 v2, s3, 2, v1
	s_wait_kmcnt 0x0
	v_cmp_gt_u32_e32 vcc_lo, s2, v2
	s_and_saveexec_b32 s2, vcc_lo
	s_cbranch_execz .LBB164_7
; %bb.1:
	s_load_b32 s6, s[0:1], 0x0
	v_mov_b32_e32 v3, 0
	v_and_b32_e32 v0, 0x3ff, v0
	s_mov_b32 s7, exec_lo
	s_delay_alu instid0(VALU_DEP_2) | instskip(SKIP_1) | instid1(VALU_DEP_2)
	v_mov_b32_e32 v1, v3
	s_wait_kmcnt 0x0
	v_cmpx_gt_i32_e64 s6, v0
	s_cbranch_execz .LBB164_5
; %bb.2:
	s_clause 0x1
	s_load_b128 s[8:11], s[0:1], 0x8
	s_load_b128 s[12:15], s[0:1], 0x28
	v_lshlrev_b64_e32 v[4:5], 3, v[2:3]
	s_clause 0x1
	s_load_b32 s2, s[0:1], 0x18
	s_load_b32 s4, s[0:1], 0x38
	v_mov_b32_e32 v1, 0
	s_wait_kmcnt 0x0
	s_delay_alu instid0(VALU_DEP_2)
	v_add_nc_u64_e32 v[6:7], s[8:9], v[4:5]
	v_add_nc_u64_e32 v[4:5], s[12:13], v[4:5]
	s_ashr_i32 s3, s2, 31
	s_lshl_b64 s[8:9], s[10:11], 1
	s_ashr_i32 s5, s4, 31
	s_lshl_b64 s[10:11], s[14:15], 1
	global_load_b64 v[8:9], v[6:7], off
	global_load_b64 v[10:11], v[4:5], off
	s_wait_xcnt 0x0
	v_mul_u64_e32 v[4:5], s[2:3], v[0:1]
	s_lshl_b64 s[2:3], s[2:3], 6
	s_delay_alu instid0(VALU_DEP_1) | instskip(SKIP_2) | instid1(VALU_DEP_1)
	v_lshl_add_u64 v[4:5], v[4:5], 1, s[8:9]
	s_mov_b32 s8, 0
	s_wait_loadcnt 0x1
	v_add_nc_u64_e32 v[4:5], v[8:9], v[4:5]
	v_mov_b32_e32 v8, v0
	v_mul_u64_e32 v[6:7], s[4:5], v[0:1]
	s_lshl_b64 s[4:5], s[4:5], 6
	s_delay_alu instid0(VALU_DEP_1) | instskip(SKIP_1) | instid1(VALU_DEP_1)
	v_lshl_add_u64 v[6:7], v[6:7], 1, s[10:11]
	s_wait_loadcnt 0x0
	v_add_nc_u64_e32 v[6:7], v[10:11], v[6:7]
.LBB164_3:                              ; =>This Inner Loop Header: Depth=1
	flat_load_u16 v9, v[4:5]
	flat_load_u16 v10, v[6:7]
	v_add_nc_u32_e32 v8, 32, v8
	s_wait_xcnt 0x1
	v_add_nc_u64_e32 v[4:5], s[2:3], v[4:5]
	s_wait_xcnt 0x0
	v_add_nc_u64_e32 v[6:7], s[4:5], v[6:7]
	v_cmp_le_i32_e32 vcc_lo, s6, v8
	s_or_b32 s8, vcc_lo, s8
	s_wait_loadcnt_dscnt 0x0
	v_fma_mix_f32 v1, v9, v10, v1 op_sel_hi:[1,1,0]
	s_and_not1_b32 exec_lo, exec_lo, s8
	s_cbranch_execnz .LBB164_3
; %bb.4:
	s_or_b32 exec_lo, exec_lo, s8
.LBB164_5:
	s_delay_alu instid0(SALU_CYCLE_1) | instskip(SKIP_4) | instid1(VALU_DEP_1)
	s_or_b32 exec_lo, exec_lo, s7
	v_mbcnt_lo_u32_b32 v4, -1, 0
	s_load_b64 s[0:1], s[0:1], 0x50
	s_barrier_signal -1
	s_barrier_wait -1
	v_lshl_or_b32 v5, v4, 2, 64
	v_cmp_gt_u32_e32 vcc_lo, 24, v4
	ds_bpermute_b32 v5, v5, v1
	v_cndmask_b32_e64 v6, 0, 8, vcc_lo
	v_cmp_gt_u32_e32 vcc_lo, 28, v4
	s_delay_alu instid0(VALU_DEP_2)
	v_add_lshl_u32 v6, v6, v4, 2
	s_wait_dscnt 0x0
	v_add_f32_e32 v1, v1, v5
	ds_bpermute_b32 v5, v6, v1
	v_cndmask_b32_e64 v6, 0, 4, vcc_lo
	v_cmp_gt_u32_e32 vcc_lo, 30, v4
	s_delay_alu instid0(VALU_DEP_2)
	v_add_lshl_u32 v6, v6, v4, 2
	s_wait_dscnt 0x0
	v_add_f32_e32 v1, v1, v5
	ds_bpermute_b32 v5, v6, v1
	v_cndmask_b32_e64 v6, 0, 2, vcc_lo
	v_cmp_ne_u32_e32 vcc_lo, 31, v4
	s_delay_alu instid0(VALU_DEP_2) | instskip(SKIP_3) | instid1(VALU_DEP_2)
	v_add_lshl_u32 v6, v6, v4, 2
	v_add_co_ci_u32_e64 v4, null, 0, v4, vcc_lo
	v_cmp_eq_u32_e32 vcc_lo, 0, v0
	s_wait_dscnt 0x0
	v_dual_add_f32 v1, v1, v5 :: v_dual_lshlrev_b32 v4, 2, v4
	ds_bpermute_b32 v5, v6, v1
	s_wait_dscnt 0x0
	v_add_f32_e32 v1, v1, v5
	ds_bpermute_b32 v4, v4, v1
	s_and_b32 exec_lo, exec_lo, vcc_lo
	s_cbranch_execz .LBB164_7
; %bb.6:
	s_wait_dscnt 0x0
	v_add_f32_e32 v4, v1, v4
	s_wait_kmcnt 0x0
	v_lshl_add_u64 v[0:1], v[2:3], 1, s[0:1]
	s_delay_alu instid0(VALU_DEP_2)
	v_cvt_f16_f32_e32 v2, v4
	global_store_b16 v[0:1], v2, off
.LBB164_7:
	s_endpgm
	.section	.rodata,"a",@progbits
	.p2align	6, 0x0
	.amdhsa_kernel _ZL28rocblas_dot_batched_4_kernelIiLi32ELi4ELb1EfDF16_PKPKDF16_EviT5_lT_lS4_lS5_liPT4_
		.amdhsa_group_segment_fixed_size 0
		.amdhsa_private_segment_fixed_size 0
		.amdhsa_kernarg_size 88
		.amdhsa_user_sgpr_count 2
		.amdhsa_user_sgpr_dispatch_ptr 0
		.amdhsa_user_sgpr_queue_ptr 0
		.amdhsa_user_sgpr_kernarg_segment_ptr 1
		.amdhsa_user_sgpr_dispatch_id 0
		.amdhsa_user_sgpr_kernarg_preload_length 0
		.amdhsa_user_sgpr_kernarg_preload_offset 0
		.amdhsa_user_sgpr_private_segment_size 0
		.amdhsa_wavefront_size32 1
		.amdhsa_uses_dynamic_stack 0
		.amdhsa_enable_private_segment 0
		.amdhsa_system_sgpr_workgroup_id_x 1
		.amdhsa_system_sgpr_workgroup_id_y 0
		.amdhsa_system_sgpr_workgroup_id_z 0
		.amdhsa_system_sgpr_workgroup_info 0
		.amdhsa_system_vgpr_workitem_id 1
		.amdhsa_next_free_vgpr 12
		.amdhsa_next_free_sgpr 16
		.amdhsa_named_barrier_count 0
		.amdhsa_reserve_vcc 1
		.amdhsa_float_round_mode_32 0
		.amdhsa_float_round_mode_16_64 0
		.amdhsa_float_denorm_mode_32 3
		.amdhsa_float_denorm_mode_16_64 3
		.amdhsa_fp16_overflow 0
		.amdhsa_memory_ordered 1
		.amdhsa_forward_progress 1
		.amdhsa_inst_pref_size 5
		.amdhsa_round_robin_scheduling 0
		.amdhsa_exception_fp_ieee_invalid_op 0
		.amdhsa_exception_fp_denorm_src 0
		.amdhsa_exception_fp_ieee_div_zero 0
		.amdhsa_exception_fp_ieee_overflow 0
		.amdhsa_exception_fp_ieee_underflow 0
		.amdhsa_exception_fp_ieee_inexact 0
		.amdhsa_exception_int_div_zero 0
	.end_amdhsa_kernel
	.section	.text._ZL28rocblas_dot_batched_4_kernelIiLi32ELi4ELb1EfDF16_PKPKDF16_EviT5_lT_lS4_lS5_liPT4_,"axG",@progbits,_ZL28rocblas_dot_batched_4_kernelIiLi32ELi4ELb1EfDF16_PKPKDF16_EviT5_lT_lS4_lS5_liPT4_,comdat
.Lfunc_end164:
	.size	_ZL28rocblas_dot_batched_4_kernelIiLi32ELi4ELb1EfDF16_PKPKDF16_EviT5_lT_lS4_lS5_liPT4_, .Lfunc_end164-_ZL28rocblas_dot_batched_4_kernelIiLi32ELi4ELb1EfDF16_PKPKDF16_EviT5_lT_lS4_lS5_liPT4_
                                        ; -- End function
	.set _ZL28rocblas_dot_batched_4_kernelIiLi32ELi4ELb1EfDF16_PKPKDF16_EviT5_lT_lS4_lS5_liPT4_.num_vgpr, 12
	.set _ZL28rocblas_dot_batched_4_kernelIiLi32ELi4ELb1EfDF16_PKPKDF16_EviT5_lT_lS4_lS5_liPT4_.num_agpr, 0
	.set _ZL28rocblas_dot_batched_4_kernelIiLi32ELi4ELb1EfDF16_PKPKDF16_EviT5_lT_lS4_lS5_liPT4_.numbered_sgpr, 16
	.set _ZL28rocblas_dot_batched_4_kernelIiLi32ELi4ELb1EfDF16_PKPKDF16_EviT5_lT_lS4_lS5_liPT4_.num_named_barrier, 0
	.set _ZL28rocblas_dot_batched_4_kernelIiLi32ELi4ELb1EfDF16_PKPKDF16_EviT5_lT_lS4_lS5_liPT4_.private_seg_size, 0
	.set _ZL28rocblas_dot_batched_4_kernelIiLi32ELi4ELb1EfDF16_PKPKDF16_EviT5_lT_lS4_lS5_liPT4_.uses_vcc, 1
	.set _ZL28rocblas_dot_batched_4_kernelIiLi32ELi4ELb1EfDF16_PKPKDF16_EviT5_lT_lS4_lS5_liPT4_.uses_flat_scratch, 0
	.set _ZL28rocblas_dot_batched_4_kernelIiLi32ELi4ELb1EfDF16_PKPKDF16_EviT5_lT_lS4_lS5_liPT4_.has_dyn_sized_stack, 0
	.set _ZL28rocblas_dot_batched_4_kernelIiLi32ELi4ELb1EfDF16_PKPKDF16_EviT5_lT_lS4_lS5_liPT4_.has_recursion, 0
	.set _ZL28rocblas_dot_batched_4_kernelIiLi32ELi4ELb1EfDF16_PKPKDF16_EviT5_lT_lS4_lS5_liPT4_.has_indirect_call, 0
	.section	.AMDGPU.csdata,"",@progbits
; Kernel info:
; codeLenInByte = 636
; TotalNumSgprs: 18
; NumVgprs: 12
; ScratchSize: 0
; MemoryBound: 0
; FloatMode: 240
; IeeeMode: 1
; LDSByteSize: 0 bytes/workgroup (compile time only)
; SGPRBlocks: 0
; VGPRBlocks: 0
; NumSGPRsForWavesPerEU: 18
; NumVGPRsForWavesPerEU: 12
; NamedBarCnt: 0
; Occupancy: 16
; WaveLimiterHint : 0
; COMPUTE_PGM_RSRC2:SCRATCH_EN: 0
; COMPUTE_PGM_RSRC2:USER_SGPR: 2
; COMPUTE_PGM_RSRC2:TRAP_HANDLER: 0
; COMPUTE_PGM_RSRC2:TGID_X_EN: 1
; COMPUTE_PGM_RSRC2:TGID_Y_EN: 0
; COMPUTE_PGM_RSRC2:TGID_Z_EN: 0
; COMPUTE_PGM_RSRC2:TIDIG_COMP_CNT: 1
	.section	.text._ZL28rocblas_dot_batched_4_kernelIiLi64ELi4ELb1EfDF16_PKPKDF16_EviT5_lT_lS4_lS5_liPT4_,"axG",@progbits,_ZL28rocblas_dot_batched_4_kernelIiLi64ELi4ELb1EfDF16_PKPKDF16_EviT5_lT_lS4_lS5_liPT4_,comdat
	.globl	_ZL28rocblas_dot_batched_4_kernelIiLi64ELi4ELb1EfDF16_PKPKDF16_EviT5_lT_lS4_lS5_liPT4_ ; -- Begin function _ZL28rocblas_dot_batched_4_kernelIiLi64ELi4ELb1EfDF16_PKPKDF16_EviT5_lT_lS4_lS5_liPT4_
	.p2align	8
	.type	_ZL28rocblas_dot_batched_4_kernelIiLi64ELi4ELb1EfDF16_PKPKDF16_EviT5_lT_lS4_lS5_liPT4_,@function
_ZL28rocblas_dot_batched_4_kernelIiLi64ELi4ELb1EfDF16_PKPKDF16_EviT5_lT_lS4_lS5_liPT4_: ; @_ZL28rocblas_dot_batched_4_kernelIiLi64ELi4ELb1EfDF16_PKPKDF16_EviT5_lT_lS4_lS5_liPT4_
; %bb.0:
	s_load_b32 s2, s[0:1], 0x48
	s_bfe_u32 s3, ttmp6, 0x4000c
	s_and_b32 s4, ttmp6, 15
	s_add_co_i32 s3, s3, 1
	v_bfe_u32 v1, v0, 10, 10
	s_mul_i32 s3, ttmp9, s3
	s_delay_alu instid0(SALU_CYCLE_1) | instskip(SKIP_1) | instid1(SALU_CYCLE_1)
	s_add_co_i32 s4, s4, s3
	s_getreg_b32 s3, hwreg(HW_REG_IB_STS2, 6, 4)
	s_cmp_eq_u32 s3, 0
	s_cselect_b32 s3, ttmp9, s4
	s_delay_alu instid0(SALU_CYCLE_1) | instskip(SKIP_1) | instid1(VALU_DEP_1)
	v_lshl_add_u32 v2, s3, 2, v1
	s_wait_kmcnt 0x0
	v_cmp_gt_u32_e32 vcc_lo, s2, v2
	s_and_saveexec_b32 s2, vcc_lo
	s_cbranch_execz .LBB165_7
; %bb.1:
	s_load_b32 s6, s[0:1], 0x0
	v_mov_b32_e32 v3, 0
	v_and_b32_e32 v0, 0x3ff, v0
	s_mov_b32 s7, exec_lo
	s_delay_alu instid0(VALU_DEP_2) | instskip(SKIP_1) | instid1(VALU_DEP_2)
	v_mov_b32_e32 v1, v3
	s_wait_kmcnt 0x0
	v_cmpx_gt_i32_e64 s6, v0
	s_cbranch_execz .LBB165_5
; %bb.2:
	s_clause 0x1
	s_load_b128 s[8:11], s[0:1], 0x8
	s_load_b128 s[12:15], s[0:1], 0x28
	v_lshlrev_b64_e32 v[4:5], 3, v[2:3]
	s_clause 0x1
	s_load_b32 s2, s[0:1], 0x18
	s_load_b32 s4, s[0:1], 0x38
	v_mov_b32_e32 v1, 0
	s_wait_kmcnt 0x0
	s_delay_alu instid0(VALU_DEP_2)
	v_add_nc_u64_e32 v[6:7], s[8:9], v[4:5]
	v_add_nc_u64_e32 v[4:5], s[12:13], v[4:5]
	s_ashr_i32 s3, s2, 31
	s_lshl_b64 s[8:9], s[10:11], 1
	s_ashr_i32 s5, s4, 31
	s_lshl_b64 s[10:11], s[14:15], 1
	global_load_b64 v[8:9], v[6:7], off
	global_load_b64 v[10:11], v[4:5], off
	s_wait_xcnt 0x0
	v_mul_u64_e32 v[4:5], s[2:3], v[0:1]
	s_lshl_b64 s[2:3], s[2:3], 7
	s_delay_alu instid0(VALU_DEP_1) | instskip(SKIP_2) | instid1(VALU_DEP_1)
	v_lshl_add_u64 v[4:5], v[4:5], 1, s[8:9]
	s_mov_b32 s8, 0
	s_wait_loadcnt 0x1
	v_add_nc_u64_e32 v[4:5], v[8:9], v[4:5]
	v_mov_b32_e32 v8, v0
	v_mul_u64_e32 v[6:7], s[4:5], v[0:1]
	s_lshl_b64 s[4:5], s[4:5], 7
	s_delay_alu instid0(VALU_DEP_1) | instskip(SKIP_1) | instid1(VALU_DEP_1)
	v_lshl_add_u64 v[6:7], v[6:7], 1, s[10:11]
	s_wait_loadcnt 0x0
	v_add_nc_u64_e32 v[6:7], v[10:11], v[6:7]
.LBB165_3:                              ; =>This Inner Loop Header: Depth=1
	flat_load_u16 v9, v[4:5]
	flat_load_u16 v10, v[6:7]
	v_add_nc_u32_e32 v8, 64, v8
	s_wait_xcnt 0x1
	v_add_nc_u64_e32 v[4:5], s[2:3], v[4:5]
	s_wait_xcnt 0x0
	v_add_nc_u64_e32 v[6:7], s[4:5], v[6:7]
	v_cmp_le_i32_e32 vcc_lo, s6, v8
	s_or_b32 s8, vcc_lo, s8
	s_wait_loadcnt_dscnt 0x0
	v_fma_mix_f32 v1, v9, v10, v1 op_sel_hi:[1,1,0]
	s_and_not1_b32 exec_lo, exec_lo, s8
	s_cbranch_execnz .LBB165_3
; %bb.4:
	s_or_b32 exec_lo, exec_lo, s8
.LBB165_5:
	s_delay_alu instid0(SALU_CYCLE_1) | instskip(SKIP_4) | instid1(VALU_DEP_1)
	s_or_b32 exec_lo, exec_lo, s7
	v_mbcnt_lo_u32_b32 v4, -1, 0
	s_load_b64 s[0:1], s[0:1], 0x50
	s_barrier_signal -1
	s_barrier_wait -1
	v_lshlrev_b32_e32 v5, 2, v4
	v_cmp_gt_u32_e32 vcc_lo, 24, v4
	ds_bpermute_b32 v6, v5, v1
	s_wait_dscnt 0x0
	v_dual_add_f32 v1, v1, v6 :: v_dual_bitop2_b32 v5, 64, v5 bitop3:0x54
	v_cndmask_b32_e64 v6, 0, 8, vcc_lo
	v_cmp_gt_u32_e32 vcc_lo, 28, v4
	ds_bpermute_b32 v5, v5, v1
	v_add_lshl_u32 v6, v6, v4, 2
	s_wait_dscnt 0x0
	v_add_f32_e32 v1, v1, v5
	ds_bpermute_b32 v5, v6, v1
	v_cndmask_b32_e64 v6, 0, 4, vcc_lo
	v_cmp_gt_u32_e32 vcc_lo, 30, v4
	s_delay_alu instid0(VALU_DEP_2)
	v_add_lshl_u32 v6, v6, v4, 2
	s_wait_dscnt 0x0
	v_add_f32_e32 v1, v1, v5
	ds_bpermute_b32 v5, v6, v1
	v_cndmask_b32_e64 v6, 0, 2, vcc_lo
	v_cmp_ne_u32_e32 vcc_lo, 31, v4
	s_delay_alu instid0(VALU_DEP_2) | instskip(SKIP_3) | instid1(VALU_DEP_2)
	v_add_lshl_u32 v6, v6, v4, 2
	v_add_co_ci_u32_e64 v4, null, 0, v4, vcc_lo
	v_cmp_eq_u32_e32 vcc_lo, 0, v0
	s_wait_dscnt 0x0
	v_dual_add_f32 v1, v1, v5 :: v_dual_lshlrev_b32 v4, 2, v4
	ds_bpermute_b32 v5, v6, v1
	s_wait_dscnt 0x0
	v_add_f32_e32 v1, v1, v5
	ds_bpermute_b32 v4, v4, v1
	s_and_b32 exec_lo, exec_lo, vcc_lo
	s_cbranch_execz .LBB165_7
; %bb.6:
	s_wait_dscnt 0x0
	v_add_f32_e32 v4, v1, v4
	s_wait_kmcnt 0x0
	v_lshl_add_u64 v[0:1], v[2:3], 1, s[0:1]
	s_delay_alu instid0(VALU_DEP_2)
	v_cvt_f16_f32_e32 v2, v4
	global_store_b16 v[0:1], v2, off
.LBB165_7:
	s_endpgm
	.section	.rodata,"a",@progbits
	.p2align	6, 0x0
	.amdhsa_kernel _ZL28rocblas_dot_batched_4_kernelIiLi64ELi4ELb1EfDF16_PKPKDF16_EviT5_lT_lS4_lS5_liPT4_
		.amdhsa_group_segment_fixed_size 0
		.amdhsa_private_segment_fixed_size 0
		.amdhsa_kernarg_size 88
		.amdhsa_user_sgpr_count 2
		.amdhsa_user_sgpr_dispatch_ptr 0
		.amdhsa_user_sgpr_queue_ptr 0
		.amdhsa_user_sgpr_kernarg_segment_ptr 1
		.amdhsa_user_sgpr_dispatch_id 0
		.amdhsa_user_sgpr_kernarg_preload_length 0
		.amdhsa_user_sgpr_kernarg_preload_offset 0
		.amdhsa_user_sgpr_private_segment_size 0
		.amdhsa_wavefront_size32 1
		.amdhsa_uses_dynamic_stack 0
		.amdhsa_enable_private_segment 0
		.amdhsa_system_sgpr_workgroup_id_x 1
		.amdhsa_system_sgpr_workgroup_id_y 0
		.amdhsa_system_sgpr_workgroup_id_z 0
		.amdhsa_system_sgpr_workgroup_info 0
		.amdhsa_system_vgpr_workitem_id 1
		.amdhsa_next_free_vgpr 12
		.amdhsa_next_free_sgpr 16
		.amdhsa_named_barrier_count 0
		.amdhsa_reserve_vcc 1
		.amdhsa_float_round_mode_32 0
		.amdhsa_float_round_mode_16_64 0
		.amdhsa_float_denorm_mode_32 3
		.amdhsa_float_denorm_mode_16_64 3
		.amdhsa_fp16_overflow 0
		.amdhsa_memory_ordered 1
		.amdhsa_forward_progress 1
		.amdhsa_inst_pref_size 6
		.amdhsa_round_robin_scheduling 0
		.amdhsa_exception_fp_ieee_invalid_op 0
		.amdhsa_exception_fp_denorm_src 0
		.amdhsa_exception_fp_ieee_div_zero 0
		.amdhsa_exception_fp_ieee_overflow 0
		.amdhsa_exception_fp_ieee_underflow 0
		.amdhsa_exception_fp_ieee_inexact 0
		.amdhsa_exception_int_div_zero 0
	.end_amdhsa_kernel
	.section	.text._ZL28rocblas_dot_batched_4_kernelIiLi64ELi4ELb1EfDF16_PKPKDF16_EviT5_lT_lS4_lS5_liPT4_,"axG",@progbits,_ZL28rocblas_dot_batched_4_kernelIiLi64ELi4ELb1EfDF16_PKPKDF16_EviT5_lT_lS4_lS5_liPT4_,comdat
.Lfunc_end165:
	.size	_ZL28rocblas_dot_batched_4_kernelIiLi64ELi4ELb1EfDF16_PKPKDF16_EviT5_lT_lS4_lS5_liPT4_, .Lfunc_end165-_ZL28rocblas_dot_batched_4_kernelIiLi64ELi4ELb1EfDF16_PKPKDF16_EviT5_lT_lS4_lS5_liPT4_
                                        ; -- End function
	.set _ZL28rocblas_dot_batched_4_kernelIiLi64ELi4ELb1EfDF16_PKPKDF16_EviT5_lT_lS4_lS5_liPT4_.num_vgpr, 12
	.set _ZL28rocblas_dot_batched_4_kernelIiLi64ELi4ELb1EfDF16_PKPKDF16_EviT5_lT_lS4_lS5_liPT4_.num_agpr, 0
	.set _ZL28rocblas_dot_batched_4_kernelIiLi64ELi4ELb1EfDF16_PKPKDF16_EviT5_lT_lS4_lS5_liPT4_.numbered_sgpr, 16
	.set _ZL28rocblas_dot_batched_4_kernelIiLi64ELi4ELb1EfDF16_PKPKDF16_EviT5_lT_lS4_lS5_liPT4_.num_named_barrier, 0
	.set _ZL28rocblas_dot_batched_4_kernelIiLi64ELi4ELb1EfDF16_PKPKDF16_EviT5_lT_lS4_lS5_liPT4_.private_seg_size, 0
	.set _ZL28rocblas_dot_batched_4_kernelIiLi64ELi4ELb1EfDF16_PKPKDF16_EviT5_lT_lS4_lS5_liPT4_.uses_vcc, 1
	.set _ZL28rocblas_dot_batched_4_kernelIiLi64ELi4ELb1EfDF16_PKPKDF16_EviT5_lT_lS4_lS5_liPT4_.uses_flat_scratch, 0
	.set _ZL28rocblas_dot_batched_4_kernelIiLi64ELi4ELb1EfDF16_PKPKDF16_EviT5_lT_lS4_lS5_liPT4_.has_dyn_sized_stack, 0
	.set _ZL28rocblas_dot_batched_4_kernelIiLi64ELi4ELb1EfDF16_PKPKDF16_EviT5_lT_lS4_lS5_liPT4_.has_recursion, 0
	.set _ZL28rocblas_dot_batched_4_kernelIiLi64ELi4ELb1EfDF16_PKPKDF16_EviT5_lT_lS4_lS5_liPT4_.has_indirect_call, 0
	.section	.AMDGPU.csdata,"",@progbits
; Kernel info:
; codeLenInByte = 652
; TotalNumSgprs: 18
; NumVgprs: 12
; ScratchSize: 0
; MemoryBound: 0
; FloatMode: 240
; IeeeMode: 1
; LDSByteSize: 0 bytes/workgroup (compile time only)
; SGPRBlocks: 0
; VGPRBlocks: 0
; NumSGPRsForWavesPerEU: 18
; NumVGPRsForWavesPerEU: 12
; NamedBarCnt: 0
; Occupancy: 16
; WaveLimiterHint : 0
; COMPUTE_PGM_RSRC2:SCRATCH_EN: 0
; COMPUTE_PGM_RSRC2:USER_SGPR: 2
; COMPUTE_PGM_RSRC2:TRAP_HANDLER: 0
; COMPUTE_PGM_RSRC2:TGID_X_EN: 1
; COMPUTE_PGM_RSRC2:TGID_Y_EN: 0
; COMPUTE_PGM_RSRC2:TGID_Z_EN: 0
; COMPUTE_PGM_RSRC2:TIDIG_COMP_CNT: 1
	.section	.text._ZL26rocblas_dot_kernel_inc1by2ILb1ELi1024ELi32ELb1EDF16_PKPKDF16_fEviT4_llS4_lliPT5_PT3_,"axG",@progbits,_ZL26rocblas_dot_kernel_inc1by2ILb1ELi1024ELi32ELb1EDF16_PKPKDF16_fEviT4_llS4_lliPT5_PT3_,comdat
	.globl	_ZL26rocblas_dot_kernel_inc1by2ILb1ELi1024ELi32ELb1EDF16_PKPKDF16_fEviT4_llS4_lliPT5_PT3_ ; -- Begin function _ZL26rocblas_dot_kernel_inc1by2ILb1ELi1024ELi32ELb1EDF16_PKPKDF16_fEviT4_llS4_lliPT5_PT3_
	.p2align	8
	.type	_ZL26rocblas_dot_kernel_inc1by2ILb1ELi1024ELi32ELb1EDF16_PKPKDF16_fEviT4_llS4_lliPT5_PT3_,@function
_ZL26rocblas_dot_kernel_inc1by2ILb1ELi1024ELi32ELb1EDF16_PKPKDF16_fEviT4_llS4_lliPT5_PT3_: ; @_ZL26rocblas_dot_kernel_inc1by2ILb1ELi1024ELi32ELb1EDF16_PKPKDF16_fEviT4_llS4_lliPT5_PT3_
; %bb.0:
	s_load_b32 s3, s[0:1], 0x38
	s_bfe_u32 s2, ttmp6, 0x40014
	s_lshr_b32 s4, ttmp7, 16
	s_add_co_i32 s2, s2, 1
	s_bfe_u32 s5, ttmp6, 0x40008
	s_mul_i32 s2, s4, s2
	s_getreg_b32 s6, hwreg(HW_REG_IB_STS2, 6, 4)
	s_add_co_i32 s5, s5, s2
	s_cmp_eq_u32 s6, 0
	s_mov_b32 s13, 0
	s_cselect_b32 s12, s4, s5
	s_wait_kmcnt 0x0
	s_cmp_ge_u32 s12, s3
	s_cbranch_scc1 .LBB166_19
; %bb.1:
	v_mbcnt_lo_u32_b32 v2, -1, 0
	s_clause 0x3
	s_load_b32 s16, s[0:1], 0x0
	s_load_b128 s[4:7], s[0:1], 0x8
	s_load_b64 s[14:15], s[0:1], 0x48
	s_load_b128 s[8:11], s[0:1], 0x20
	v_dual_lshrrev_b32 v3, 3, v0 :: v_dual_bitop2_b32 v1, 31, v0 bitop3:0x40
	s_wait_xcnt 0x0
	v_cmp_gt_u32_e64 s0, 24, v2
	v_lshl_or_b32 v7, v2, 2, 64
	v_cmp_eq_u32_e64 s1, 0, v0
	v_mov_b32_e32 v13, 0
	v_and_b32_e32 v12, 0x7c, v3
	v_cndmask_b32_e64 v4, 0, 8, s0
	v_cmp_gt_u32_e64 s0, 28, v2
	v_cmp_gt_u32_e32 vcc_lo, 32, v0
	s_delay_alu instid0(VALU_DEP_3) | instskip(NEXT) | instid1(VALU_DEP_3)
	v_add_lshl_u32 v8, v4, v2, 2
	v_cndmask_b32_e64 v5, 0, 4, s0
	v_cmp_gt_u32_e64 s0, 30, v2
	s_wait_kmcnt 0x0
	s_ashr_i32 s17, s16, 31
	s_add_co_i32 s22, s16, -1
	v_cndmask_b32_e64 v10, 0, 2, s0
	v_cmp_ne_u32_e64 s0, 31, v2
	v_add_lshl_u32 v9, v5, v2, 2
	s_bitcmp1_b32 s16, 0
	v_add_lshl_u32 v10, v10, v2, 2
	v_add_co_ci_u32_e64 v11, null, 0, v2, s0
	v_lshlrev_b32_e32 v6, 2, v1
	v_cmp_eq_u32_e64 s0, 0, v1
	s_cselect_b32 s23, -1, 0
	v_lshlrev_b32_e32 v11, 2, v11
	s_lshl_b64 s[6:7], s[6:7], 1
	s_lshl_b64 s[10:11], s[10:11], 1
	s_lshl_b64 s[16:17], s[16:17], 1
	s_branch .LBB166_3
.LBB166_2:                              ;   in Loop: Header=BB166_3 Depth=1
	s_wait_xcnt 0x0
	s_or_b32 exec_lo, exec_lo, s2
	s_add_co_i32 s12, s12, 0x10000
	s_delay_alu instid0(SALU_CYCLE_1)
	s_cmp_lt_u32 s12, s3
	s_cbranch_scc0 .LBB166_19
.LBB166_3:                              ; =>This Loop Header: Depth=1
                                        ;     Child Loop BB166_5 Depth 2
	s_load_b64 s[18:19], s[4:5], s12 offset:0x0 scale_offset
	s_load_b64 s[20:21], s[8:9], s12 offset:0x0 scale_offset
	s_wait_dscnt 0x0
	v_dual_mov_b32 v1, 0 :: v_dual_lshlrev_b32 v0, 1, v0
	s_mov_b32 s24, exec_lo
	s_wait_kmcnt 0x0
	s_add_nc_u64 s[18:19], s[18:19], s[6:7]
	s_add_nc_u64 s[20:21], s[20:21], s[10:11]
	v_cmpx_gt_i32_e64 s22, v0
	s_cbranch_execz .LBB166_7
; %bb.4:                                ;   in Loop: Header=BB166_3 Depth=1
	v_ashrrev_i32_e32 v1, 31, v0
	s_mov_b32 s25, 0
	s_mov_b32 s2, 0
	s_delay_alu instid0(VALU_DEP_1) | instskip(SKIP_1) | instid1(VALU_DEP_2)
	v_lshlrev_b64_e32 v[4:5], 1, v[0:1]
	v_mov_b32_e32 v1, 0
	v_add_nc_u64_e32 v[2:3], s[18:19], v[4:5]
	v_add_nc_u64_e32 v[4:5], s[20:21], v[4:5]
.LBB166_5:                              ;   Parent Loop BB166_3 Depth=1
                                        ; =>  This Inner Loop Header: Depth=2
	flat_load_b32 v14, v[4:5]
	flat_load_b32 v15, v[2:3]
	s_add_co_i32 s26, s2, 1
	s_cmp_gt_u32 s2, 30
	s_wait_xcnt 0x0
	v_add_nc_u64_e32 v[2:3], 0x1000, v[2:3]
	s_cselect_b32 s27, -1, 0
	v_add_nc_u64_e32 v[4:5], 0x1000, v[4:5]
	s_wait_loadcnt_dscnt 0x0
	v_dual_lshrrev_b32 v17, 16, v14 :: v_dual_lshrrev_b32 v18, 16, v15
	v_cvt_f32_f16_e32 v14, v14
	v_cvt_f32_f16_e32 v16, v15
	s_delay_alu instid0(VALU_DEP_3) | instskip(NEXT) | instid1(VALU_DEP_4)
	v_cvt_f32_f16_e32 v15, v17
	v_cvt_f32_f16_e32 v17, v18
	s_delay_alu instid0(VALU_DEP_1) | instskip(NEXT) | instid1(VALU_DEP_1)
	v_pk_mul_f32 v[14:15], v[14:15], v[16:17]
	v_dual_add_f32 v1, v1, v14 :: v_dual_add_nc_u32 v0, 0x800, v0
	s_delay_alu instid0(VALU_DEP_1) | instskip(NEXT) | instid1(VALU_DEP_2)
	v_cmp_le_i32_e64 s2, s22, v0
	v_add_f32_e32 v1, v1, v15
	s_or_b32 s2, s27, s2
	s_delay_alu instid0(SALU_CYCLE_1) | instskip(NEXT) | instid1(SALU_CYCLE_1)
	s_and_b32 s2, exec_lo, s2
	s_or_b32 s25, s2, s25
	s_mov_b32 s2, s26
	s_and_not1_b32 exec_lo, exec_lo, s25
	s_cbranch_execnz .LBB166_5
; %bb.6:                                ;   in Loop: Header=BB166_3 Depth=1
	s_or_b32 exec_lo, exec_lo, s25
.LBB166_7:                              ;   in Loop: Header=BB166_3 Depth=1
	s_delay_alu instid0(SALU_CYCLE_1) | instskip(SKIP_2) | instid1(SALU_CYCLE_1)
	s_or_b32 exec_lo, exec_lo, s24
	v_cmp_eq_u32_e64 s2, s22, v0
	s_and_b32 s24, s23, s2
	s_and_saveexec_b32 s2, s24
	s_cbranch_execz .LBB166_9
; %bb.8:                                ;   in Loop: Header=BB166_3 Depth=1
	s_add_nc_u64 s[20:21], s[20:21], s[16:17]
	s_add_nc_u64 s[18:19], s[18:19], s[16:17]
	s_clause 0x1
	flat_load_u16 v2, v13, s[20:21] offset:-2
	flat_load_u16 v3, v13, s[18:19] offset:-2
	s_wait_loadcnt_dscnt 0x0
	v_fma_mix_f32 v1, v2, v3, v1 op_sel_hi:[1,1,0]
.LBB166_9:                              ;   in Loop: Header=BB166_3 Depth=1
	s_wait_xcnt 0x0
	s_or_b32 exec_lo, exec_lo, s2
	s_and_saveexec_b32 s2, vcc_lo
; %bb.10:                               ;   in Loop: Header=BB166_3 Depth=1
	ds_store_b32 v6, v13
; %bb.11:                               ;   in Loop: Header=BB166_3 Depth=1
	s_or_b32 exec_lo, exec_lo, s2
	ds_bpermute_b32 v2, v7, v1
	s_wait_dscnt 0x0
	s_barrier_signal -1
	s_barrier_wait -1
	v_add_f32_e32 v1, v1, v2
	ds_bpermute_b32 v2, v8, v1
	s_wait_dscnt 0x0
	v_add_f32_e32 v1, v1, v2
	ds_bpermute_b32 v2, v9, v1
	s_wait_dscnt 0x0
	v_add_f32_e32 v1, v1, v2
	ds_bpermute_b32 v2, v10, v1
	s_wait_dscnt 0x0
	v_add_f32_e32 v1, v1, v2
	ds_bpermute_b32 v2, v11, v1
	s_and_saveexec_b32 s2, s0
	s_cbranch_execz .LBB166_13
; %bb.12:                               ;   in Loop: Header=BB166_3 Depth=1
	s_wait_dscnt 0x0
	v_add_f32_e32 v1, v1, v2
	ds_store_b32 v12, v1
.LBB166_13:                             ;   in Loop: Header=BB166_3 Depth=1
	s_or_b32 exec_lo, exec_lo, s2
	v_mov_b32_e32 v1, 0
	s_wait_dscnt 0x0
	s_barrier_signal -1
	s_barrier_wait -1
	s_and_saveexec_b32 s2, vcc_lo
	s_cbranch_execnz .LBB166_16
; %bb.14:                               ;   in Loop: Header=BB166_3 Depth=1
	s_or_b32 exec_lo, exec_lo, s2
	s_and_saveexec_b32 s2, vcc_lo
	s_cbranch_execnz .LBB166_17
.LBB166_15:                             ;   in Loop: Header=BB166_3 Depth=1
	s_or_b32 exec_lo, exec_lo, s2
	s_and_saveexec_b32 s2, s1
	s_cbranch_execz .LBB166_2
	s_branch .LBB166_18
.LBB166_16:                             ;   in Loop: Header=BB166_3 Depth=1
	ds_load_b32 v1, v6
	s_or_b32 exec_lo, exec_lo, s2
	s_and_saveexec_b32 s2, vcc_lo
	s_cbranch_execz .LBB166_15
.LBB166_17:                             ;   in Loop: Header=BB166_3 Depth=1
	s_wait_dscnt 0x0
	ds_bpermute_b32 v2, v7, v1
	s_wait_dscnt 0x0
	v_add_f32_e32 v1, v1, v2
	ds_bpermute_b32 v2, v8, v1
	s_wait_dscnt 0x0
	v_add_f32_e32 v1, v1, v2
	;; [unrolled: 3-line block ×5, first 2 shown]
	s_or_b32 exec_lo, exec_lo, s2
	s_and_saveexec_b32 s2, s1
	s_cbranch_execz .LBB166_2
.LBB166_18:                             ;   in Loop: Header=BB166_3 Depth=1
	s_wait_dscnt 0x0
	v_cvt_f16_f32_e32 v1, v1
	s_lshl_b64 s[18:19], s[12:13], 1
	s_delay_alu instid0(SALU_CYCLE_1)
	s_add_nc_u64 s[18:19], s[14:15], s[18:19]
	global_store_b16 v13, v1, s[18:19]
	s_branch .LBB166_2
.LBB166_19:
	s_endpgm
	.section	.rodata,"a",@progbits
	.p2align	6, 0x0
	.amdhsa_kernel _ZL26rocblas_dot_kernel_inc1by2ILb1ELi1024ELi32ELb1EDF16_PKPKDF16_fEviT4_llS4_lliPT5_PT3_
		.amdhsa_group_segment_fixed_size 128
		.amdhsa_private_segment_fixed_size 0
		.amdhsa_kernarg_size 80
		.amdhsa_user_sgpr_count 2
		.amdhsa_user_sgpr_dispatch_ptr 0
		.amdhsa_user_sgpr_queue_ptr 0
		.amdhsa_user_sgpr_kernarg_segment_ptr 1
		.amdhsa_user_sgpr_dispatch_id 0
		.amdhsa_user_sgpr_kernarg_preload_length 0
		.amdhsa_user_sgpr_kernarg_preload_offset 0
		.amdhsa_user_sgpr_private_segment_size 0
		.amdhsa_wavefront_size32 1
		.amdhsa_uses_dynamic_stack 0
		.amdhsa_enable_private_segment 0
		.amdhsa_system_sgpr_workgroup_id_x 1
		.amdhsa_system_sgpr_workgroup_id_y 0
		.amdhsa_system_sgpr_workgroup_id_z 1
		.amdhsa_system_sgpr_workgroup_info 0
		.amdhsa_system_vgpr_workitem_id 0
		.amdhsa_next_free_vgpr 19
		.amdhsa_next_free_sgpr 28
		.amdhsa_named_barrier_count 0
		.amdhsa_reserve_vcc 1
		.amdhsa_float_round_mode_32 0
		.amdhsa_float_round_mode_16_64 0
		.amdhsa_float_denorm_mode_32 3
		.amdhsa_float_denorm_mode_16_64 3
		.amdhsa_fp16_overflow 0
		.amdhsa_memory_ordered 1
		.amdhsa_forward_progress 1
		.amdhsa_inst_pref_size 8
		.amdhsa_round_robin_scheduling 0
		.amdhsa_exception_fp_ieee_invalid_op 0
		.amdhsa_exception_fp_denorm_src 0
		.amdhsa_exception_fp_ieee_div_zero 0
		.amdhsa_exception_fp_ieee_overflow 0
		.amdhsa_exception_fp_ieee_underflow 0
		.amdhsa_exception_fp_ieee_inexact 0
		.amdhsa_exception_int_div_zero 0
	.end_amdhsa_kernel
	.section	.text._ZL26rocblas_dot_kernel_inc1by2ILb1ELi1024ELi32ELb1EDF16_PKPKDF16_fEviT4_llS4_lliPT5_PT3_,"axG",@progbits,_ZL26rocblas_dot_kernel_inc1by2ILb1ELi1024ELi32ELb1EDF16_PKPKDF16_fEviT4_llS4_lliPT5_PT3_,comdat
.Lfunc_end166:
	.size	_ZL26rocblas_dot_kernel_inc1by2ILb1ELi1024ELi32ELb1EDF16_PKPKDF16_fEviT4_llS4_lliPT5_PT3_, .Lfunc_end166-_ZL26rocblas_dot_kernel_inc1by2ILb1ELi1024ELi32ELb1EDF16_PKPKDF16_fEviT4_llS4_lliPT5_PT3_
                                        ; -- End function
	.set _ZL26rocblas_dot_kernel_inc1by2ILb1ELi1024ELi32ELb1EDF16_PKPKDF16_fEviT4_llS4_lliPT5_PT3_.num_vgpr, 19
	.set _ZL26rocblas_dot_kernel_inc1by2ILb1ELi1024ELi32ELb1EDF16_PKPKDF16_fEviT4_llS4_lliPT5_PT3_.num_agpr, 0
	.set _ZL26rocblas_dot_kernel_inc1by2ILb1ELi1024ELi32ELb1EDF16_PKPKDF16_fEviT4_llS4_lliPT5_PT3_.numbered_sgpr, 28
	.set _ZL26rocblas_dot_kernel_inc1by2ILb1ELi1024ELi32ELb1EDF16_PKPKDF16_fEviT4_llS4_lliPT5_PT3_.num_named_barrier, 0
	.set _ZL26rocblas_dot_kernel_inc1by2ILb1ELi1024ELi32ELb1EDF16_PKPKDF16_fEviT4_llS4_lliPT5_PT3_.private_seg_size, 0
	.set _ZL26rocblas_dot_kernel_inc1by2ILb1ELi1024ELi32ELb1EDF16_PKPKDF16_fEviT4_llS4_lliPT5_PT3_.uses_vcc, 1
	.set _ZL26rocblas_dot_kernel_inc1by2ILb1ELi1024ELi32ELb1EDF16_PKPKDF16_fEviT4_llS4_lliPT5_PT3_.uses_flat_scratch, 1
	.set _ZL26rocblas_dot_kernel_inc1by2ILb1ELi1024ELi32ELb1EDF16_PKPKDF16_fEviT4_llS4_lliPT5_PT3_.has_dyn_sized_stack, 0
	.set _ZL26rocblas_dot_kernel_inc1by2ILb1ELi1024ELi32ELb1EDF16_PKPKDF16_fEviT4_llS4_lliPT5_PT3_.has_recursion, 0
	.set _ZL26rocblas_dot_kernel_inc1by2ILb1ELi1024ELi32ELb1EDF16_PKPKDF16_fEviT4_llS4_lliPT5_PT3_.has_indirect_call, 0
	.section	.AMDGPU.csdata,"",@progbits
; Kernel info:
; codeLenInByte = 1000
; TotalNumSgprs: 30
; NumVgprs: 19
; ScratchSize: 0
; MemoryBound: 0
; FloatMode: 240
; IeeeMode: 1
; LDSByteSize: 128 bytes/workgroup (compile time only)
; SGPRBlocks: 0
; VGPRBlocks: 1
; NumSGPRsForWavesPerEU: 30
; NumVGPRsForWavesPerEU: 19
; NamedBarCnt: 0
; Occupancy: 16
; WaveLimiterHint : 1
; COMPUTE_PGM_RSRC2:SCRATCH_EN: 0
; COMPUTE_PGM_RSRC2:USER_SGPR: 2
; COMPUTE_PGM_RSRC2:TRAP_HANDLER: 0
; COMPUTE_PGM_RSRC2:TGID_X_EN: 1
; COMPUTE_PGM_RSRC2:TGID_Y_EN: 0
; COMPUTE_PGM_RSRC2:TGID_Z_EN: 1
; COMPUTE_PGM_RSRC2:TIDIG_COMP_CNT: 0
	.section	.text._ZL18rocblas_dot_kernelIiLb1ELi1024ELi32ELb1EDF16_PKPKDF16_fEviT5_lT_lS4_lS5_liPT6_PT4_,"axG",@progbits,_ZL18rocblas_dot_kernelIiLb1ELi1024ELi32ELb1EDF16_PKPKDF16_fEviT5_lT_lS4_lS5_liPT6_PT4_,comdat
	.globl	_ZL18rocblas_dot_kernelIiLb1ELi1024ELi32ELb1EDF16_PKPKDF16_fEviT5_lT_lS4_lS5_liPT6_PT4_ ; -- Begin function _ZL18rocblas_dot_kernelIiLb1ELi1024ELi32ELb1EDF16_PKPKDF16_fEviT5_lT_lS4_lS5_liPT6_PT4_
	.p2align	8
	.type	_ZL18rocblas_dot_kernelIiLb1ELi1024ELi32ELb1EDF16_PKPKDF16_fEviT5_lT_lS4_lS5_liPT6_PT4_,@function
_ZL18rocblas_dot_kernelIiLb1ELi1024ELi32ELb1EDF16_PKPKDF16_fEviT5_lT_lS4_lS5_liPT6_PT4_: ; @_ZL18rocblas_dot_kernelIiLb1ELi1024ELi32ELb1EDF16_PKPKDF16_fEviT5_lT_lS4_lS5_liPT6_PT4_
; %bb.0:
	s_load_b32 s3, s[0:1], 0x48
	s_bfe_u32 s2, ttmp6, 0x40014
	s_lshr_b32 s4, ttmp7, 16
	s_add_co_i32 s2, s2, 1
	s_bfe_u32 s5, ttmp6, 0x40008
	s_mul_i32 s2, s4, s2
	s_getreg_b32 s6, hwreg(HW_REG_IB_STS2, 6, 4)
	s_add_co_i32 s5, s5, s2
	s_cmp_eq_u32 s6, 0
	s_mov_b32 s17, 0
	s_cselect_b32 s16, s4, s5
	s_wait_kmcnt 0x0
	s_cmp_ge_u32 s16, s3
	s_cbranch_scc1 .LBB167_17
; %bb.1:
	v_mbcnt_lo_u32_b32 v3, -1, 0
	s_clause 0x5
	s_load_b32 s18, s[0:1], 0x18
	s_load_b32 s22, s[0:1], 0x38
	s_load_b96 s[12:14], s[0:1], 0x58
	s_load_b128 s[4:7], s[0:1], 0x28
	s_load_b128 s[8:11], s[0:1], 0x8
	s_load_b32 s26, s[0:1], 0x0
	v_and_b32_e32 v2, 31, v0
	s_wait_xcnt 0x0
	v_cmp_eq_u32_e64 s1, 0, v0
	v_cmp_gt_u32_e64 s0, 24, v3
	v_lshl_or_b32 v6, v3, 2, 64
	v_cmp_gt_u32_e32 vcc_lo, 32, v0
	v_mov_b32_e32 v12, 0
	s_delay_alu instid0(VALU_DEP_4) | instskip(SKIP_1) | instid1(VALU_DEP_2)
	v_cndmask_b32_e64 v4, 0, 8, s0
	v_cmp_gt_u32_e64 s0, 28, v3
	v_add_lshl_u32 v7, v4, v3, 2
	s_delay_alu instid0(VALU_DEP_2)
	v_cndmask_b32_e64 v5, 0, 4, s0
	v_cmp_gt_u32_e64 s0, 30, v3
	v_lshrrev_b32_e32 v4, 3, v0
	s_wait_kmcnt 0x0
	s_ashr_i32 s19, s18, 31
	s_lshl_b32 s14, s14, 10
	s_ashr_i32 s23, s22, 31
	v_cndmask_b32_e64 v9, 0, 2, s0
	v_cmp_ne_u32_e64 s0, 31, v3
	s_ashr_i32 s15, s14, 31
	v_lshlrev_b32_e32 v1, 2, v2
	v_add_lshl_u32 v8, v5, v3, 2
	v_add_lshl_u32 v9, v9, v3, 2
	v_add_co_ci_u32_e64 v10, null, 0, v3, s0
	v_cmp_eq_u32_e64 s0, 0, v2
	v_and_b32_e32 v11, 0x7c, v4
	s_mul_u64 s[20:21], s[18:19], s[14:15]
	v_lshlrev_b32_e32 v10, 2, v10
	s_mul_u64 s[24:25], s[22:23], s[14:15]
	s_lshl_b64 s[10:11], s[10:11], 1
	s_lshl_b64 s[18:19], s[18:19], 1
	;; [unrolled: 1-line block ×6, first 2 shown]
	s_branch .LBB167_3
.LBB167_2:                              ;   in Loop: Header=BB167_3 Depth=1
	s_wait_xcnt 0x0
	s_or_b32 exec_lo, exec_lo, s2
	s_add_co_i32 s16, s16, 0x10000
	s_delay_alu instid0(SALU_CYCLE_1)
	s_cmp_lt_u32 s16, s3
	s_cbranch_scc0 .LBB167_17
.LBB167_3:                              ; =>This Loop Header: Depth=1
                                        ;     Child Loop BB167_5 Depth 2
	v_mov_b32_e32 v13, 0
	s_mov_b32 s15, exec_lo
	v_cmpx_gt_i32_e64 s26, v0
	s_cbranch_execz .LBB167_7
; %bb.4:                                ;   in Loop: Header=BB167_3 Depth=1
	s_lshl_b64 s[28:29], s[16:17], 3
	v_ashrrev_i32_e32 v13, 31, v0
	s_add_nc_u64 s[30:31], s[8:9], s[28:29]
	s_add_nc_u64 s[28:29], s[4:5], s[28:29]
	s_load_b64 s[34:35], s[30:31], 0x0
	s_load_b64 s[36:37], s[28:29], 0x0
	s_mov_b32 s27, 0
	s_wait_kmcnt 0x0
	s_wait_xcnt 0x0
	s_add_nc_u64 s[28:29], s[34:35], s[10:11]
	s_add_nc_u64 s[30:31], s[36:37], s[6:7]
	s_wait_dscnt 0x0
	v_mad_nc_u64_u32 v[2:3], s18, v0, s[28:29]
	v_mad_nc_u64_u32 v[4:5], s22, v0, s[30:31]
	s_mov_b32 s28, 0
	s_delay_alu instid0(VALU_DEP_2) | instskip(NEXT) | instid1(VALU_DEP_2)
	v_mad_u32 v3, s19, v0, v3
	v_mad_u32 v5, s23, v0, v5
	s_delay_alu instid0(VALU_DEP_2) | instskip(NEXT) | instid1(VALU_DEP_2)
	v_mad_u32 v3, s18, v13, v3
	v_mad_u32 v5, s22, v13, v5
	v_mov_b32_e32 v13, 0
.LBB167_5:                              ;   Parent Loop BB167_3 Depth=1
                                        ; =>  This Inner Loop Header: Depth=2
	flat_load_u16 v14, v[4:5]
	flat_load_u16 v15, v[2:3]
	v_add_nc_u32_e32 v0, s14, v0
	s_add_co_i32 s29, s28, 1
	s_cmp_gt_u32 s28, 30
	s_wait_xcnt 0x0
	v_add_nc_u64_e32 v[2:3], s[20:21], v[2:3]
	s_cselect_b32 s28, -1, 0
	v_cmp_le_i32_e64 s2, s26, v0
	v_add_nc_u64_e32 v[4:5], s[24:25], v[4:5]
	s_or_b32 s2, s28, s2
	s_mov_b32 s28, s29
	s_and_b32 s2, exec_lo, s2
	s_delay_alu instid0(SALU_CYCLE_1)
	s_or_b32 s27, s2, s27
	s_wait_loadcnt_dscnt 0x0
	v_fma_mix_f32 v13, v14, v15, v13 op_sel_hi:[1,1,0]
	s_and_not1_b32 exec_lo, exec_lo, s27
	s_cbranch_execnz .LBB167_5
; %bb.6:                                ;   in Loop: Header=BB167_3 Depth=1
	s_or_b32 exec_lo, exec_lo, s27
.LBB167_7:                              ;   in Loop: Header=BB167_3 Depth=1
	s_delay_alu instid0(SALU_CYCLE_1)
	s_or_b32 exec_lo, exec_lo, s15
	s_and_saveexec_b32 s2, vcc_lo
; %bb.8:                                ;   in Loop: Header=BB167_3 Depth=1
	ds_store_b32 v1, v12
; %bb.9:                                ;   in Loop: Header=BB167_3 Depth=1
	s_or_b32 exec_lo, exec_lo, s2
	s_wait_dscnt 0x0
	ds_bpermute_b32 v2, v6, v13
	s_wait_dscnt 0x0
	s_barrier_signal -1
	s_barrier_wait -1
	v_add_f32_e32 v2, v13, v2
	ds_bpermute_b32 v3, v7, v2
	s_wait_dscnt 0x0
	v_add_f32_e32 v2, v2, v3
	ds_bpermute_b32 v3, v8, v2
	s_wait_dscnt 0x0
	;; [unrolled: 3-line block ×3, first 2 shown]
	v_add_f32_e32 v2, v2, v3
	ds_bpermute_b32 v3, v10, v2
	s_and_saveexec_b32 s2, s0
	s_cbranch_execz .LBB167_11
; %bb.10:                               ;   in Loop: Header=BB167_3 Depth=1
	s_wait_dscnt 0x0
	v_add_f32_e32 v2, v2, v3
	ds_store_b32 v11, v2
.LBB167_11:                             ;   in Loop: Header=BB167_3 Depth=1
	s_or_b32 exec_lo, exec_lo, s2
	v_mov_b32_e32 v2, 0
	s_wait_dscnt 0x0
	s_barrier_signal -1
	s_barrier_wait -1
	s_and_saveexec_b32 s2, vcc_lo
	s_cbranch_execnz .LBB167_14
; %bb.12:                               ;   in Loop: Header=BB167_3 Depth=1
	s_or_b32 exec_lo, exec_lo, s2
	s_and_saveexec_b32 s2, vcc_lo
	s_cbranch_execnz .LBB167_15
.LBB167_13:                             ;   in Loop: Header=BB167_3 Depth=1
	s_or_b32 exec_lo, exec_lo, s2
	s_and_saveexec_b32 s2, s1
	s_cbranch_execz .LBB167_2
	s_branch .LBB167_16
.LBB167_14:                             ;   in Loop: Header=BB167_3 Depth=1
	ds_load_b32 v2, v1
	s_or_b32 exec_lo, exec_lo, s2
	s_and_saveexec_b32 s2, vcc_lo
	s_cbranch_execz .LBB167_13
.LBB167_15:                             ;   in Loop: Header=BB167_3 Depth=1
	s_wait_dscnt 0x0
	ds_bpermute_b32 v3, v6, v2
	s_wait_dscnt 0x0
	v_add_f32_e32 v2, v2, v3
	ds_bpermute_b32 v3, v7, v2
	s_wait_dscnt 0x0
	v_add_f32_e32 v2, v2, v3
	;; [unrolled: 3-line block ×5, first 2 shown]
	s_or_b32 exec_lo, exec_lo, s2
	s_and_saveexec_b32 s2, s1
	s_cbranch_execz .LBB167_2
.LBB167_16:                             ;   in Loop: Header=BB167_3 Depth=1
	s_wait_dscnt 0x0
	v_cvt_f16_f32_e32 v2, v2
	s_lshl_b64 s[28:29], s[16:17], 1
	s_delay_alu instid0(SALU_CYCLE_1)
	s_add_nc_u64 s[28:29], s[12:13], s[28:29]
	global_store_b16 v12, v2, s[28:29]
	s_branch .LBB167_2
.LBB167_17:
	s_endpgm
	.section	.rodata,"a",@progbits
	.p2align	6, 0x0
	.amdhsa_kernel _ZL18rocblas_dot_kernelIiLb1ELi1024ELi32ELb1EDF16_PKPKDF16_fEviT5_lT_lS4_lS5_liPT6_PT4_
		.amdhsa_group_segment_fixed_size 128
		.amdhsa_private_segment_fixed_size 0
		.amdhsa_kernarg_size 352
		.amdhsa_user_sgpr_count 2
		.amdhsa_user_sgpr_dispatch_ptr 0
		.amdhsa_user_sgpr_queue_ptr 0
		.amdhsa_user_sgpr_kernarg_segment_ptr 1
		.amdhsa_user_sgpr_dispatch_id 0
		.amdhsa_user_sgpr_kernarg_preload_length 0
		.amdhsa_user_sgpr_kernarg_preload_offset 0
		.amdhsa_user_sgpr_private_segment_size 0
		.amdhsa_wavefront_size32 1
		.amdhsa_uses_dynamic_stack 0
		.amdhsa_enable_private_segment 0
		.amdhsa_system_sgpr_workgroup_id_x 1
		.amdhsa_system_sgpr_workgroup_id_y 0
		.amdhsa_system_sgpr_workgroup_id_z 1
		.amdhsa_system_sgpr_workgroup_info 0
		.amdhsa_system_vgpr_workitem_id 0
		.amdhsa_next_free_vgpr 16
		.amdhsa_next_free_sgpr 38
		.amdhsa_named_barrier_count 0
		.amdhsa_reserve_vcc 1
		.amdhsa_float_round_mode_32 0
		.amdhsa_float_round_mode_16_64 0
		.amdhsa_float_denorm_mode_32 3
		.amdhsa_float_denorm_mode_16_64 3
		.amdhsa_fp16_overflow 0
		.amdhsa_memory_ordered 1
		.amdhsa_forward_progress 1
		.amdhsa_inst_pref_size 8
		.amdhsa_round_robin_scheduling 0
		.amdhsa_exception_fp_ieee_invalid_op 0
		.amdhsa_exception_fp_denorm_src 0
		.amdhsa_exception_fp_ieee_div_zero 0
		.amdhsa_exception_fp_ieee_overflow 0
		.amdhsa_exception_fp_ieee_underflow 0
		.amdhsa_exception_fp_ieee_inexact 0
		.amdhsa_exception_int_div_zero 0
	.end_amdhsa_kernel
	.section	.text._ZL18rocblas_dot_kernelIiLb1ELi1024ELi32ELb1EDF16_PKPKDF16_fEviT5_lT_lS4_lS5_liPT6_PT4_,"axG",@progbits,_ZL18rocblas_dot_kernelIiLb1ELi1024ELi32ELb1EDF16_PKPKDF16_fEviT5_lT_lS4_lS5_liPT6_PT4_,comdat
.Lfunc_end167:
	.size	_ZL18rocblas_dot_kernelIiLb1ELi1024ELi32ELb1EDF16_PKPKDF16_fEviT5_lT_lS4_lS5_liPT6_PT4_, .Lfunc_end167-_ZL18rocblas_dot_kernelIiLb1ELi1024ELi32ELb1EDF16_PKPKDF16_fEviT5_lT_lS4_lS5_liPT6_PT4_
                                        ; -- End function
	.set _ZL18rocblas_dot_kernelIiLb1ELi1024ELi32ELb1EDF16_PKPKDF16_fEviT5_lT_lS4_lS5_liPT6_PT4_.num_vgpr, 16
	.set _ZL18rocblas_dot_kernelIiLb1ELi1024ELi32ELb1EDF16_PKPKDF16_fEviT5_lT_lS4_lS5_liPT6_PT4_.num_agpr, 0
	.set _ZL18rocblas_dot_kernelIiLb1ELi1024ELi32ELb1EDF16_PKPKDF16_fEviT5_lT_lS4_lS5_liPT6_PT4_.numbered_sgpr, 38
	.set _ZL18rocblas_dot_kernelIiLb1ELi1024ELi32ELb1EDF16_PKPKDF16_fEviT5_lT_lS4_lS5_liPT6_PT4_.num_named_barrier, 0
	.set _ZL18rocblas_dot_kernelIiLb1ELi1024ELi32ELb1EDF16_PKPKDF16_fEviT5_lT_lS4_lS5_liPT6_PT4_.private_seg_size, 0
	.set _ZL18rocblas_dot_kernelIiLb1ELi1024ELi32ELb1EDF16_PKPKDF16_fEviT5_lT_lS4_lS5_liPT6_PT4_.uses_vcc, 1
	.set _ZL18rocblas_dot_kernelIiLb1ELi1024ELi32ELb1EDF16_PKPKDF16_fEviT5_lT_lS4_lS5_liPT6_PT4_.uses_flat_scratch, 0
	.set _ZL18rocblas_dot_kernelIiLb1ELi1024ELi32ELb1EDF16_PKPKDF16_fEviT5_lT_lS4_lS5_liPT6_PT4_.has_dyn_sized_stack, 0
	.set _ZL18rocblas_dot_kernelIiLb1ELi1024ELi32ELb1EDF16_PKPKDF16_fEviT5_lT_lS4_lS5_liPT6_PT4_.has_recursion, 0
	.set _ZL18rocblas_dot_kernelIiLb1ELi1024ELi32ELb1EDF16_PKPKDF16_fEviT5_lT_lS4_lS5_liPT6_PT4_.has_indirect_call, 0
	.section	.AMDGPU.csdata,"",@progbits
; Kernel info:
; codeLenInByte = 956
; TotalNumSgprs: 40
; NumVgprs: 16
; ScratchSize: 0
; MemoryBound: 0
; FloatMode: 240
; IeeeMode: 1
; LDSByteSize: 128 bytes/workgroup (compile time only)
; SGPRBlocks: 0
; VGPRBlocks: 0
; NumSGPRsForWavesPerEU: 40
; NumVGPRsForWavesPerEU: 16
; NamedBarCnt: 0
; Occupancy: 16
; WaveLimiterHint : 0
; COMPUTE_PGM_RSRC2:SCRATCH_EN: 0
; COMPUTE_PGM_RSRC2:USER_SGPR: 2
; COMPUTE_PGM_RSRC2:TRAP_HANDLER: 0
; COMPUTE_PGM_RSRC2:TGID_X_EN: 1
; COMPUTE_PGM_RSRC2:TGID_Y_EN: 0
; COMPUTE_PGM_RSRC2:TGID_Z_EN: 1
; COMPUTE_PGM_RSRC2:TIDIG_COMP_CNT: 0
	.section	.text._ZL24rocblas_dot_kernel_magsqIiLb1ELi1024ELi32ELb1EDF16_PKPKDF16_fEviT5_lT_liPT6_PT4_,"axG",@progbits,_ZL24rocblas_dot_kernel_magsqIiLb1ELi1024ELi32ELb1EDF16_PKPKDF16_fEviT5_lT_liPT6_PT4_,comdat
	.globl	_ZL24rocblas_dot_kernel_magsqIiLb1ELi1024ELi32ELb1EDF16_PKPKDF16_fEviT5_lT_liPT6_PT4_ ; -- Begin function _ZL24rocblas_dot_kernel_magsqIiLb1ELi1024ELi32ELb1EDF16_PKPKDF16_fEviT5_lT_liPT6_PT4_
	.p2align	8
	.type	_ZL24rocblas_dot_kernel_magsqIiLb1ELi1024ELi32ELb1EDF16_PKPKDF16_fEviT5_lT_liPT6_PT4_,@function
_ZL24rocblas_dot_kernel_magsqIiLb1ELi1024ELi32ELb1EDF16_PKPKDF16_fEviT5_lT_liPT6_PT4_: ; @_ZL24rocblas_dot_kernel_magsqIiLb1ELi1024ELi32ELb1EDF16_PKPKDF16_fEviT5_lT_liPT6_PT4_
; %bb.0:
	s_load_b32 s3, s[0:1], 0x28
	s_bfe_u32 s2, ttmp6, 0x40014
	s_lshr_b32 s4, ttmp7, 16
	s_add_co_i32 s2, s2, 1
	s_bfe_u32 s5, ttmp6, 0x40008
	s_mul_i32 s2, s4, s2
	s_getreg_b32 s6, hwreg(HW_REG_IB_STS2, 6, 4)
	s_add_co_i32 s5, s5, s2
	s_cmp_eq_u32 s6, 0
	s_mov_b32 s13, 0
	s_cselect_b32 s12, s4, s5
	s_wait_kmcnt 0x0
	s_cmp_ge_u32 s12, s3
	s_cbranch_scc1 .LBB168_17
; %bb.1:
	v_mbcnt_lo_u32_b32 v3, -1, 0
	s_clause 0x3
	s_load_b32 s14, s[0:1], 0x18
	s_load_b96 s[8:10], s[0:1], 0x38
	s_load_b128 s[4:7], s[0:1], 0x8
	s_load_b32 s18, s[0:1], 0x0
	v_dual_lshrrev_b32 v9, 3, v0 :: v_dual_bitop2_b32 v2, 31, v0 bitop3:0x40
	s_wait_xcnt 0x0
	v_cmp_gt_u32_e64 s0, 24, v3
	v_lshl_or_b32 v4, v3, 2, 64
	v_cmp_eq_u32_e64 s1, 0, v0
	v_mov_b32_e32 v10, 0
	v_and_b32_e32 v9, 0x7c, v9
	v_cndmask_b32_e64 v5, 0, 8, s0
	v_cmp_gt_u32_e64 s0, 28, v3
	v_cmp_gt_u32_e32 vcc_lo, 32, v0
	s_delay_alu instid0(VALU_DEP_3) | instskip(NEXT) | instid1(VALU_DEP_3)
	v_add_lshl_u32 v5, v5, v3, 2
	v_cndmask_b32_e64 v6, 0, 4, s0
	v_cmp_gt_u32_e64 s0, 30, v3
	s_wait_kmcnt 0x0
	s_ashr_i32 s15, s14, 31
	s_lshl_b32 s10, s10, 10
	v_cndmask_b32_e64 v7, 0, 2, s0
	v_cmp_ne_u32_e64 s0, 31, v3
	s_ashr_i32 s11, s10, 31
	v_add_lshl_u32 v6, v6, v3, 2
	s_mul_u64 s[16:17], s[14:15], s[10:11]
	v_add_lshl_u32 v7, v7, v3, 2
	v_add_co_ci_u32_e64 v8, null, 0, v3, s0
	v_lshlrev_b32_e32 v1, 2, v2
	v_cmp_eq_u32_e64 s0, 0, v2
	s_lshl_b64 s[6:7], s[6:7], 1
	v_lshlrev_b32_e32 v8, 2, v8
	s_lshl_b64 s[14:15], s[14:15], 1
	s_lshl_b64 s[16:17], s[16:17], 1
	s_branch .LBB168_3
.LBB168_2:                              ;   in Loop: Header=BB168_3 Depth=1
	s_wait_xcnt 0x0
	s_or_b32 exec_lo, exec_lo, s2
	s_add_co_i32 s12, s12, 0x10000
	s_delay_alu instid0(SALU_CYCLE_1)
	s_cmp_lt_u32 s12, s3
	s_cbranch_scc0 .LBB168_17
.LBB168_3:                              ; =>This Loop Header: Depth=1
                                        ;     Child Loop BB168_5 Depth 2
	v_mov_b32_e32 v11, 0
	s_mov_b32 s11, exec_lo
	v_cmpx_gt_i32_e64 s18, v0
	s_cbranch_execz .LBB168_7
; %bb.4:                                ;   in Loop: Header=BB168_3 Depth=1
	s_lshl_b64 s[20:21], s[12:13], 3
	v_ashrrev_i32_e32 v11, 31, v0
	s_add_nc_u64 s[20:21], s[4:5], s[20:21]
	s_mov_b32 s19, 0
	s_load_b64 s[20:21], s[20:21], 0x0
	s_wait_kmcnt 0x0
	s_wait_xcnt 0x0
	s_add_nc_u64 s[20:21], s[20:21], s[6:7]
	s_wait_dscnt 0x0
	v_mad_nc_u64_u32 v[2:3], s14, v0, s[20:21]
	s_mov_b32 s20, 0
	s_delay_alu instid0(VALU_DEP_1) | instskip(NEXT) | instid1(VALU_DEP_1)
	v_mad_u32 v3, s15, v0, v3
	v_mad_u32 v3, s14, v11, v3
	v_mov_b32_e32 v11, 0
.LBB168_5:                              ;   Parent Loop BB168_3 Depth=1
                                        ; =>  This Inner Loop Header: Depth=2
	flat_load_u16 v12, v[2:3]
	v_add_nc_u32_e32 v0, s10, v0
	s_add_co_i32 s21, s20, 1
	s_cmp_gt_u32 s20, 30
	s_wait_xcnt 0x0
	v_add_nc_u64_e32 v[2:3], s[16:17], v[2:3]
	s_cselect_b32 s20, -1, 0
	v_cmp_le_i32_e64 s2, s18, v0
	s_or_b32 s2, s20, s2
	s_mov_b32 s20, s21
	s_and_b32 s2, exec_lo, s2
	s_delay_alu instid0(SALU_CYCLE_1)
	s_or_b32 s19, s2, s19
	s_wait_loadcnt_dscnt 0x0
	v_fma_mix_f32 v11, v12, v12, v11 op_sel_hi:[1,1,0]
	s_and_not1_b32 exec_lo, exec_lo, s19
	s_cbranch_execnz .LBB168_5
; %bb.6:                                ;   in Loop: Header=BB168_3 Depth=1
	s_or_b32 exec_lo, exec_lo, s19
.LBB168_7:                              ;   in Loop: Header=BB168_3 Depth=1
	s_delay_alu instid0(SALU_CYCLE_1)
	s_or_b32 exec_lo, exec_lo, s11
	s_and_saveexec_b32 s2, vcc_lo
; %bb.8:                                ;   in Loop: Header=BB168_3 Depth=1
	ds_store_b32 v1, v10
; %bb.9:                                ;   in Loop: Header=BB168_3 Depth=1
	s_or_b32 exec_lo, exec_lo, s2
	s_wait_dscnt 0x0
	ds_bpermute_b32 v2, v4, v11
	s_wait_dscnt 0x0
	s_barrier_signal -1
	s_barrier_wait -1
	v_add_f32_e32 v2, v11, v2
	ds_bpermute_b32 v3, v5, v2
	s_wait_dscnt 0x0
	v_add_f32_e32 v2, v2, v3
	ds_bpermute_b32 v3, v6, v2
	s_wait_dscnt 0x0
	;; [unrolled: 3-line block ×3, first 2 shown]
	v_add_f32_e32 v2, v2, v3
	ds_bpermute_b32 v3, v8, v2
	s_and_saveexec_b32 s2, s0
	s_cbranch_execz .LBB168_11
; %bb.10:                               ;   in Loop: Header=BB168_3 Depth=1
	s_wait_dscnt 0x0
	v_add_f32_e32 v2, v2, v3
	ds_store_b32 v9, v2
.LBB168_11:                             ;   in Loop: Header=BB168_3 Depth=1
	s_or_b32 exec_lo, exec_lo, s2
	v_mov_b32_e32 v2, 0
	s_wait_dscnt 0x0
	s_barrier_signal -1
	s_barrier_wait -1
	s_and_saveexec_b32 s2, vcc_lo
	s_cbranch_execnz .LBB168_14
; %bb.12:                               ;   in Loop: Header=BB168_3 Depth=1
	s_or_b32 exec_lo, exec_lo, s2
	s_and_saveexec_b32 s2, vcc_lo
	s_cbranch_execnz .LBB168_15
.LBB168_13:                             ;   in Loop: Header=BB168_3 Depth=1
	s_or_b32 exec_lo, exec_lo, s2
	s_and_saveexec_b32 s2, s1
	s_cbranch_execz .LBB168_2
	s_branch .LBB168_16
.LBB168_14:                             ;   in Loop: Header=BB168_3 Depth=1
	ds_load_b32 v2, v1
	s_or_b32 exec_lo, exec_lo, s2
	s_and_saveexec_b32 s2, vcc_lo
	s_cbranch_execz .LBB168_13
.LBB168_15:                             ;   in Loop: Header=BB168_3 Depth=1
	s_wait_dscnt 0x0
	ds_bpermute_b32 v3, v4, v2
	s_wait_dscnt 0x0
	v_add_f32_e32 v2, v2, v3
	ds_bpermute_b32 v3, v5, v2
	s_wait_dscnt 0x0
	v_add_f32_e32 v2, v2, v3
	;; [unrolled: 3-line block ×5, first 2 shown]
	s_or_b32 exec_lo, exec_lo, s2
	s_and_saveexec_b32 s2, s1
	s_cbranch_execz .LBB168_2
.LBB168_16:                             ;   in Loop: Header=BB168_3 Depth=1
	s_wait_dscnt 0x0
	v_cvt_f16_f32_e32 v2, v2
	s_lshl_b64 s[20:21], s[12:13], 1
	s_delay_alu instid0(SALU_CYCLE_1)
	s_add_nc_u64 s[20:21], s[8:9], s[20:21]
	global_store_b16 v10, v2, s[20:21]
	s_branch .LBB168_2
.LBB168_17:
	s_endpgm
	.section	.rodata,"a",@progbits
	.p2align	6, 0x0
	.amdhsa_kernel _ZL24rocblas_dot_kernel_magsqIiLb1ELi1024ELi32ELb1EDF16_PKPKDF16_fEviT5_lT_liPT6_PT4_
		.amdhsa_group_segment_fixed_size 128
		.amdhsa_private_segment_fixed_size 0
		.amdhsa_kernarg_size 320
		.amdhsa_user_sgpr_count 2
		.amdhsa_user_sgpr_dispatch_ptr 0
		.amdhsa_user_sgpr_queue_ptr 0
		.amdhsa_user_sgpr_kernarg_segment_ptr 1
		.amdhsa_user_sgpr_dispatch_id 0
		.amdhsa_user_sgpr_kernarg_preload_length 0
		.amdhsa_user_sgpr_kernarg_preload_offset 0
		.amdhsa_user_sgpr_private_segment_size 0
		.amdhsa_wavefront_size32 1
		.amdhsa_uses_dynamic_stack 0
		.amdhsa_enable_private_segment 0
		.amdhsa_system_sgpr_workgroup_id_x 1
		.amdhsa_system_sgpr_workgroup_id_y 0
		.amdhsa_system_sgpr_workgroup_id_z 1
		.amdhsa_system_sgpr_workgroup_info 0
		.amdhsa_system_vgpr_workitem_id 0
		.amdhsa_next_free_vgpr 13
		.amdhsa_next_free_sgpr 22
		.amdhsa_named_barrier_count 0
		.amdhsa_reserve_vcc 1
		.amdhsa_float_round_mode_32 0
		.amdhsa_float_round_mode_16_64 0
		.amdhsa_float_denorm_mode_32 3
		.amdhsa_float_denorm_mode_16_64 3
		.amdhsa_fp16_overflow 0
		.amdhsa_memory_ordered 1
		.amdhsa_forward_progress 1
		.amdhsa_inst_pref_size 7
		.amdhsa_round_robin_scheduling 0
		.amdhsa_exception_fp_ieee_invalid_op 0
		.amdhsa_exception_fp_denorm_src 0
		.amdhsa_exception_fp_ieee_div_zero 0
		.amdhsa_exception_fp_ieee_overflow 0
		.amdhsa_exception_fp_ieee_underflow 0
		.amdhsa_exception_fp_ieee_inexact 0
		.amdhsa_exception_int_div_zero 0
	.end_amdhsa_kernel
	.section	.text._ZL24rocblas_dot_kernel_magsqIiLb1ELi1024ELi32ELb1EDF16_PKPKDF16_fEviT5_lT_liPT6_PT4_,"axG",@progbits,_ZL24rocblas_dot_kernel_magsqIiLb1ELi1024ELi32ELb1EDF16_PKPKDF16_fEviT5_lT_liPT6_PT4_,comdat
.Lfunc_end168:
	.size	_ZL24rocblas_dot_kernel_magsqIiLb1ELi1024ELi32ELb1EDF16_PKPKDF16_fEviT5_lT_liPT6_PT4_, .Lfunc_end168-_ZL24rocblas_dot_kernel_magsqIiLb1ELi1024ELi32ELb1EDF16_PKPKDF16_fEviT5_lT_liPT6_PT4_
                                        ; -- End function
	.set _ZL24rocblas_dot_kernel_magsqIiLb1ELi1024ELi32ELb1EDF16_PKPKDF16_fEviT5_lT_liPT6_PT4_.num_vgpr, 13
	.set _ZL24rocblas_dot_kernel_magsqIiLb1ELi1024ELi32ELb1EDF16_PKPKDF16_fEviT5_lT_liPT6_PT4_.num_agpr, 0
	.set _ZL24rocblas_dot_kernel_magsqIiLb1ELi1024ELi32ELb1EDF16_PKPKDF16_fEviT5_lT_liPT6_PT4_.numbered_sgpr, 22
	.set _ZL24rocblas_dot_kernel_magsqIiLb1ELi1024ELi32ELb1EDF16_PKPKDF16_fEviT5_lT_liPT6_PT4_.num_named_barrier, 0
	.set _ZL24rocblas_dot_kernel_magsqIiLb1ELi1024ELi32ELb1EDF16_PKPKDF16_fEviT5_lT_liPT6_PT4_.private_seg_size, 0
	.set _ZL24rocblas_dot_kernel_magsqIiLb1ELi1024ELi32ELb1EDF16_PKPKDF16_fEviT5_lT_liPT6_PT4_.uses_vcc, 1
	.set _ZL24rocblas_dot_kernel_magsqIiLb1ELi1024ELi32ELb1EDF16_PKPKDF16_fEviT5_lT_liPT6_PT4_.uses_flat_scratch, 0
	.set _ZL24rocblas_dot_kernel_magsqIiLb1ELi1024ELi32ELb1EDF16_PKPKDF16_fEviT5_lT_liPT6_PT4_.has_dyn_sized_stack, 0
	.set _ZL24rocblas_dot_kernel_magsqIiLb1ELi1024ELi32ELb1EDF16_PKPKDF16_fEviT5_lT_liPT6_PT4_.has_recursion, 0
	.set _ZL24rocblas_dot_kernel_magsqIiLb1ELi1024ELi32ELb1EDF16_PKPKDF16_fEviT5_lT_liPT6_PT4_.has_indirect_call, 0
	.section	.AMDGPU.csdata,"",@progbits
; Kernel info:
; codeLenInByte = 860
; TotalNumSgprs: 24
; NumVgprs: 13
; ScratchSize: 0
; MemoryBound: 0
; FloatMode: 240
; IeeeMode: 1
; LDSByteSize: 128 bytes/workgroup (compile time only)
; SGPRBlocks: 0
; VGPRBlocks: 0
; NumSGPRsForWavesPerEU: 24
; NumVGPRsForWavesPerEU: 13
; NamedBarCnt: 0
; Occupancy: 16
; WaveLimiterHint : 0
; COMPUTE_PGM_RSRC2:SCRATCH_EN: 0
; COMPUTE_PGM_RSRC2:USER_SGPR: 2
; COMPUTE_PGM_RSRC2:TRAP_HANDLER: 0
; COMPUTE_PGM_RSRC2:TGID_X_EN: 1
; COMPUTE_PGM_RSRC2:TGID_Y_EN: 0
; COMPUTE_PGM_RSRC2:TGID_Z_EN: 1
; COMPUTE_PGM_RSRC2:TIDIG_COMP_CNT: 0
	.section	.text._ZL23rocblas_dot_kernel_inc1ILb0ELi512ELi8ELb1EDF16_PKPKDF16_fEviT4_llS4_lliPT5_PT3_,"axG",@progbits,_ZL23rocblas_dot_kernel_inc1ILb0ELi512ELi8ELb1EDF16_PKPKDF16_fEviT4_llS4_lliPT5_PT3_,comdat
	.globl	_ZL23rocblas_dot_kernel_inc1ILb0ELi512ELi8ELb1EDF16_PKPKDF16_fEviT4_llS4_lliPT5_PT3_ ; -- Begin function _ZL23rocblas_dot_kernel_inc1ILb0ELi512ELi8ELb1EDF16_PKPKDF16_fEviT4_llS4_lliPT5_PT3_
	.p2align	8
	.type	_ZL23rocblas_dot_kernel_inc1ILb0ELi512ELi8ELb1EDF16_PKPKDF16_fEviT4_llS4_lliPT5_PT3_,@function
_ZL23rocblas_dot_kernel_inc1ILb0ELi512ELi8ELb1EDF16_PKPKDF16_fEviT4_llS4_lliPT5_PT3_: ; @_ZL23rocblas_dot_kernel_inc1ILb0ELi512ELi8ELb1EDF16_PKPKDF16_fEviT4_llS4_lliPT5_PT3_
; %bb.0:
	s_load_b32 s28, s[0:1], 0x38
	s_bfe_u32 s2, ttmp6, 0x40014
	s_lshr_b32 s3, ttmp7, 16
	s_add_co_i32 s2, s2, 1
	s_bfe_u32 s5, ttmp6, 0x40008
	s_mul_i32 s4, s3, s2
	s_getreg_b32 s2, hwreg(HW_REG_IB_STS2, 6, 4)
	s_add_co_i32 s5, s5, s4
	s_cmp_eq_u32 s2, 0
	s_mov_b32 s17, 0
	s_cselect_b32 s16, s3, s5
	s_wait_kmcnt 0x0
	s_cmp_ge_u32 s16, s28
	s_cbranch_scc1 .LBB169_20
; %bb.1:
	v_mbcnt_lo_u32_b32 v3, -1, 0
	s_clause 0x4
	s_load_b32 s18, s[0:1], 0x50
	s_load_b128 s[4:7], s[0:1], 0x40
	s_load_b128 s[8:11], s[0:1], 0x20
	;; [unrolled: 1-line block ×3, first 2 shown]
	s_load_b32 s29, s[0:1], 0x0
	s_bfe_u32 s3, ttmp6, 0x4000c
	s_wait_xcnt 0x0
	s_and_b32 s1, ttmp6, 15
	s_add_co_i32 s3, s3, 1
	v_cmp_gt_u32_e32 vcc_lo, 24, v3
	s_mul_i32 s3, ttmp9, s3
	v_dual_lshrrev_b32 v10, 3, v0 :: v_dual_bitop2_b32 v1, 31, v0 bitop3:0x40
	s_add_co_i32 s1, s1, s3
	v_cndmask_b32_e64 v6, 0, 8, vcc_lo
	v_cmp_gt_u32_e32 vcc_lo, 28, v3
	s_cmp_eq_u32 s2, 0
	s_mov_b32 s23, s17
	s_cselect_b32 s22, ttmp9, s1
	v_cmp_gt_u32_e64 s0, 32, v0
	v_cndmask_b32_e64 v7, 0, 4, vcc_lo
	v_cmp_gt_u32_e32 vcc_lo, 30, v3
	s_wait_kmcnt 0x0
	s_cmp_lg_u32 s18, 1
	v_dual_lshlrev_b32 v4, 2, v1 :: v_dual_bitop2_b32 v10, 60, v10 bitop3:0x40
	s_cselect_b32 s30, -1, 0
	v_cndmask_b32_e64 v8, 0, 2, vcc_lo
	v_cmp_ne_u32_e32 vcc_lo, 31, v3
	s_lshl_b32 s20, s18, 9
	v_lshl_or_b32 v5, v3, 2, 64
	v_lshl_or_b32 v2, s22, 9, v0
	v_add_lshl_u32 v6, v6, v3, 2
	v_add_co_ci_u32_e64 v9, null, 0, v3, vcc_lo
	v_add_lshl_u32 v7, v7, v3, 2
	v_add_lshl_u32 v8, v8, v3, 2
	v_cmp_eq_u32_e64 s1, 0, v1
	s_delay_alu instid0(VALU_DEP_4)
	v_dual_lshlrev_b32 v9, 2, v9 :: v_dual_mov_b32 v11, 0
	v_cmp_gt_u32_e64 s2, 16, v0
	v_cmp_eq_u32_e64 s3, 0, v0
	s_lshl_b64 s[22:23], s[22:23], 2
	s_ashr_i32 s21, s20, 31
	s_mov_b32 s19, s17
	s_add_nc_u64 s[4:5], s[4:5], s[22:23]
	s_lshl_b64 s[22:23], s[20:21], 1
	s_lshl_b64 s[14:15], s[14:15], 1
	;; [unrolled: 1-line block ×3, first 2 shown]
	s_branch .LBB169_3
.LBB169_2:                              ;   in Loop: Header=BB169_3 Depth=1
	s_wait_xcnt 0x0
	s_or_b32 exec_lo, exec_lo, s21
	s_add_co_i32 s16, s16, 0x10000
	s_delay_alu instid0(SALU_CYCLE_1)
	s_cmp_lt_u32 s16, s28
	s_cbranch_scc0 .LBB169_20
.LBB169_3:                              ; =>This Loop Header: Depth=1
                                        ;     Child Loop BB169_5 Depth 2
	v_mov_b32_e32 v3, 0
	s_mov_b32 s21, exec_lo
	v_cmpx_gt_i32_e64 s29, v2
	s_cbranch_execz .LBB169_7
; %bb.4:                                ;   in Loop: Header=BB169_3 Depth=1
	s_lshl_b64 s[24:25], s[16:17], 3
	v_ashrrev_i32_e32 v3, 31, v2
	s_add_nc_u64 s[26:27], s[12:13], s[24:25]
	s_add_nc_u64 s[24:25], s[8:9], s[24:25]
	s_load_b64 s[34:35], s[26:27], 0x0
	s_load_b64 s[36:37], s[24:25], 0x0
	s_mov_b32 s31, 0
	s_wait_dscnt 0x0
	v_lshlrev_b64_e32 v[0:1], 1, v[2:3]
	v_mov_b32_e32 v3, 0
	s_mov_b32 s33, 0
	s_wait_kmcnt 0x0
	s_wait_xcnt 0x0
	s_add_nc_u64 s[24:25], s[34:35], s[14:15]
	s_add_nc_u64 s[26:27], s[36:37], s[10:11]
.LBB169_5:                              ;   Parent Loop BB169_3 Depth=1
                                        ; =>  This Inner Loop Header: Depth=2
	s_delay_alu instid0(SALU_CYCLE_1)
	v_add_nc_u64_e32 v[12:13], s[26:27], v[0:1]
	v_add_nc_u64_e32 v[14:15], s[24:25], v[0:1]
	v_add_nc_u32_e32 v2, s20, v2
	s_add_co_i32 s34, s33, 1
	s_cmp_gt_u32 s33, 6
	v_add_nc_u64_e32 v[0:1], s[22:23], v[0:1]
	s_cselect_b32 s33, -1, 0
	flat_load_u16 v16, v[12:13]
	flat_load_u16 v17, v[14:15]
	v_cmp_le_i32_e32 vcc_lo, s29, v2
	s_or_b32 s33, s33, vcc_lo
	s_delay_alu instid0(SALU_CYCLE_1) | instskip(NEXT) | instid1(SALU_CYCLE_1)
	s_and_b32 s33, exec_lo, s33
	s_or_b32 s31, s33, s31
	s_mov_b32 s33, s34
	s_wait_loadcnt_dscnt 0x0
	v_fma_mix_f32 v3, v16, v17, v3 op_sel_hi:[1,1,0]
	s_wait_xcnt 0x0
	s_and_not1_b32 exec_lo, exec_lo, s31
	s_cbranch_execnz .LBB169_5
; %bb.6:                                ;   in Loop: Header=BB169_3 Depth=1
	s_or_b32 exec_lo, exec_lo, s31
.LBB169_7:                              ;   in Loop: Header=BB169_3 Depth=1
	s_delay_alu instid0(SALU_CYCLE_1)
	s_or_b32 exec_lo, exec_lo, s21
	s_and_saveexec_b32 s21, s0
; %bb.8:                                ;   in Loop: Header=BB169_3 Depth=1
	ds_store_b32 v4, v11
; %bb.9:                                ;   in Loop: Header=BB169_3 Depth=1
	s_or_b32 exec_lo, exec_lo, s21
	s_wait_dscnt 0x0
	ds_bpermute_b32 v0, v5, v3
	s_wait_dscnt 0x0
	s_barrier_signal -1
	s_barrier_wait -1
	v_add_f32_e32 v0, v3, v0
	ds_bpermute_b32 v1, v6, v0
	s_wait_dscnt 0x0
	v_add_f32_e32 v0, v0, v1
	ds_bpermute_b32 v1, v7, v0
	s_wait_dscnt 0x0
	;; [unrolled: 3-line block ×3, first 2 shown]
	v_add_f32_e32 v0, v0, v1
	ds_bpermute_b32 v1, v9, v0
	s_and_saveexec_b32 s21, s1
	s_cbranch_execz .LBB169_11
; %bb.10:                               ;   in Loop: Header=BB169_3 Depth=1
	s_wait_dscnt 0x0
	v_add_f32_e32 v0, v0, v1
	ds_store_b32 v10, v0
.LBB169_11:                             ;   in Loop: Header=BB169_3 Depth=1
	s_or_b32 exec_lo, exec_lo, s21
	v_mov_b32_e32 v0, 0
	s_wait_dscnt 0x0
	s_barrier_signal -1
	s_barrier_wait -1
	s_and_saveexec_b32 s21, s2
	s_cbranch_execnz .LBB169_14
; %bb.12:                               ;   in Loop: Header=BB169_3 Depth=1
	s_or_b32 exec_lo, exec_lo, s21
	s_and_saveexec_b32 s21, s0
	s_cbranch_execnz .LBB169_15
.LBB169_13:                             ;   in Loop: Header=BB169_3 Depth=1
	s_or_b32 exec_lo, exec_lo, s21
	s_and_saveexec_b32 s21, s3
	s_cbranch_execz .LBB169_2
	s_branch .LBB169_16
.LBB169_14:                             ;   in Loop: Header=BB169_3 Depth=1
	ds_load_b32 v0, v4
	s_or_b32 exec_lo, exec_lo, s21
	s_and_saveexec_b32 s21, s0
	s_cbranch_execz .LBB169_13
.LBB169_15:                             ;   in Loop: Header=BB169_3 Depth=1
	s_wait_dscnt 0x0
	ds_bpermute_b32 v1, v6, v0
	s_wait_dscnt 0x0
	v_add_f32_e32 v0, v0, v1
	ds_bpermute_b32 v1, v7, v0
	s_wait_dscnt 0x0
	v_add_f32_e32 v0, v0, v1
	;; [unrolled: 3-line block ×4, first 2 shown]
	s_or_b32 exec_lo, exec_lo, s21
	s_and_saveexec_b32 s21, s3
	s_cbranch_execz .LBB169_2
.LBB169_16:                             ;   in Loop: Header=BB169_3 Depth=1
	s_and_b32 vcc_lo, exec_lo, s30
	s_mov_b32 s24, -1
	s_cbranch_vccz .LBB169_18
; %bb.17:                               ;   in Loop: Header=BB169_3 Depth=1
	s_mul_u64 s[24:25], s[18:19], s[16:17]
	s_delay_alu instid0(SALU_CYCLE_1) | instskip(NEXT) | instid1(SALU_CYCLE_1)
	s_lshl_b64 s[24:25], s[24:25], 2
	s_add_nc_u64 s[26:27], s[4:5], s[24:25]
	s_mov_b32 s24, 0
	s_wait_dscnt 0x0
	global_store_b32 v11, v0, s[26:27]
.LBB169_18:                             ;   in Loop: Header=BB169_3 Depth=1
	s_and_not1_b32 vcc_lo, exec_lo, s24
	s_cbranch_vccnz .LBB169_2
; %bb.19:                               ;   in Loop: Header=BB169_3 Depth=1
	s_wait_dscnt 0x0
	s_wait_xcnt 0x0
	v_cvt_f16_f32_e32 v0, v0
	s_lshl_b64 s[24:25], s[16:17], 1
	s_delay_alu instid0(SALU_CYCLE_1)
	s_add_nc_u64 s[24:25], s[6:7], s[24:25]
	global_store_b16 v11, v0, s[24:25]
	s_branch .LBB169_2
.LBB169_20:
	s_endpgm
	.section	.rodata,"a",@progbits
	.p2align	6, 0x0
	.amdhsa_kernel _ZL23rocblas_dot_kernel_inc1ILb0ELi512ELi8ELb1EDF16_PKPKDF16_fEviT4_llS4_lliPT5_PT3_
		.amdhsa_group_segment_fixed_size 128
		.amdhsa_private_segment_fixed_size 0
		.amdhsa_kernarg_size 336
		.amdhsa_user_sgpr_count 2
		.amdhsa_user_sgpr_dispatch_ptr 0
		.amdhsa_user_sgpr_queue_ptr 0
		.amdhsa_user_sgpr_kernarg_segment_ptr 1
		.amdhsa_user_sgpr_dispatch_id 0
		.amdhsa_user_sgpr_kernarg_preload_length 0
		.amdhsa_user_sgpr_kernarg_preload_offset 0
		.amdhsa_user_sgpr_private_segment_size 0
		.amdhsa_wavefront_size32 1
		.amdhsa_uses_dynamic_stack 0
		.amdhsa_enable_private_segment 0
		.amdhsa_system_sgpr_workgroup_id_x 1
		.amdhsa_system_sgpr_workgroup_id_y 0
		.amdhsa_system_sgpr_workgroup_id_z 1
		.amdhsa_system_sgpr_workgroup_info 0
		.amdhsa_system_vgpr_workitem_id 0
		.amdhsa_next_free_vgpr 18
		.amdhsa_next_free_sgpr 38
		.amdhsa_named_barrier_count 0
		.amdhsa_reserve_vcc 1
		.amdhsa_float_round_mode_32 0
		.amdhsa_float_round_mode_16_64 0
		.amdhsa_float_denorm_mode_32 3
		.amdhsa_float_denorm_mode_16_64 3
		.amdhsa_fp16_overflow 0
		.amdhsa_memory_ordered 1
		.amdhsa_forward_progress 1
		.amdhsa_inst_pref_size 8
		.amdhsa_round_robin_scheduling 0
		.amdhsa_exception_fp_ieee_invalid_op 0
		.amdhsa_exception_fp_denorm_src 0
		.amdhsa_exception_fp_ieee_div_zero 0
		.amdhsa_exception_fp_ieee_overflow 0
		.amdhsa_exception_fp_ieee_underflow 0
		.amdhsa_exception_fp_ieee_inexact 0
		.amdhsa_exception_int_div_zero 0
	.end_amdhsa_kernel
	.section	.text._ZL23rocblas_dot_kernel_inc1ILb0ELi512ELi8ELb1EDF16_PKPKDF16_fEviT4_llS4_lliPT5_PT3_,"axG",@progbits,_ZL23rocblas_dot_kernel_inc1ILb0ELi512ELi8ELb1EDF16_PKPKDF16_fEviT4_llS4_lliPT5_PT3_,comdat
.Lfunc_end169:
	.size	_ZL23rocblas_dot_kernel_inc1ILb0ELi512ELi8ELb1EDF16_PKPKDF16_fEviT4_llS4_lliPT5_PT3_, .Lfunc_end169-_ZL23rocblas_dot_kernel_inc1ILb0ELi512ELi8ELb1EDF16_PKPKDF16_fEviT4_llS4_lliPT5_PT3_
                                        ; -- End function
	.set _ZL23rocblas_dot_kernel_inc1ILb0ELi512ELi8ELb1EDF16_PKPKDF16_fEviT4_llS4_lliPT5_PT3_.num_vgpr, 18
	.set _ZL23rocblas_dot_kernel_inc1ILb0ELi512ELi8ELb1EDF16_PKPKDF16_fEviT4_llS4_lliPT5_PT3_.num_agpr, 0
	.set _ZL23rocblas_dot_kernel_inc1ILb0ELi512ELi8ELb1EDF16_PKPKDF16_fEviT4_llS4_lliPT5_PT3_.numbered_sgpr, 38
	.set _ZL23rocblas_dot_kernel_inc1ILb0ELi512ELi8ELb1EDF16_PKPKDF16_fEviT4_llS4_lliPT5_PT3_.num_named_barrier, 0
	.set _ZL23rocblas_dot_kernel_inc1ILb0ELi512ELi8ELb1EDF16_PKPKDF16_fEviT4_llS4_lliPT5_PT3_.private_seg_size, 0
	.set _ZL23rocblas_dot_kernel_inc1ILb0ELi512ELi8ELb1EDF16_PKPKDF16_fEviT4_llS4_lliPT5_PT3_.uses_vcc, 1
	.set _ZL23rocblas_dot_kernel_inc1ILb0ELi512ELi8ELb1EDF16_PKPKDF16_fEviT4_llS4_lliPT5_PT3_.uses_flat_scratch, 0
	.set _ZL23rocblas_dot_kernel_inc1ILb0ELi512ELi8ELb1EDF16_PKPKDF16_fEviT4_llS4_lliPT5_PT3_.has_dyn_sized_stack, 0
	.set _ZL23rocblas_dot_kernel_inc1ILb0ELi512ELi8ELb1EDF16_PKPKDF16_fEviT4_llS4_lliPT5_PT3_.has_recursion, 0
	.set _ZL23rocblas_dot_kernel_inc1ILb0ELi512ELi8ELb1EDF16_PKPKDF16_fEviT4_llS4_lliPT5_PT3_.has_indirect_call, 0
	.section	.AMDGPU.csdata,"",@progbits
; Kernel info:
; codeLenInByte = 980
; TotalNumSgprs: 40
; NumVgprs: 18
; ScratchSize: 0
; MemoryBound: 0
; FloatMode: 240
; IeeeMode: 1
; LDSByteSize: 128 bytes/workgroup (compile time only)
; SGPRBlocks: 0
; VGPRBlocks: 1
; NumSGPRsForWavesPerEU: 40
; NumVGPRsForWavesPerEU: 18
; NamedBarCnt: 0
; Occupancy: 16
; WaveLimiterHint : 1
; COMPUTE_PGM_RSRC2:SCRATCH_EN: 0
; COMPUTE_PGM_RSRC2:USER_SGPR: 2
; COMPUTE_PGM_RSRC2:TRAP_HANDLER: 0
; COMPUTE_PGM_RSRC2:TGID_X_EN: 1
; COMPUTE_PGM_RSRC2:TGID_Y_EN: 0
; COMPUTE_PGM_RSRC2:TGID_Z_EN: 1
; COMPUTE_PGM_RSRC2:TIDIG_COMP_CNT: 0
	.section	.text._ZL18rocblas_dot_kernelIiLb0ELi512ELi8ELb1EDF16_PKPKDF16_fEviT5_lT_lS4_lS5_liPT6_PT4_,"axG",@progbits,_ZL18rocblas_dot_kernelIiLb0ELi512ELi8ELb1EDF16_PKPKDF16_fEviT5_lT_lS4_lS5_liPT6_PT4_,comdat
	.globl	_ZL18rocblas_dot_kernelIiLb0ELi512ELi8ELb1EDF16_PKPKDF16_fEviT5_lT_lS4_lS5_liPT6_PT4_ ; -- Begin function _ZL18rocblas_dot_kernelIiLb0ELi512ELi8ELb1EDF16_PKPKDF16_fEviT5_lT_lS4_lS5_liPT6_PT4_
	.p2align	8
	.type	_ZL18rocblas_dot_kernelIiLb0ELi512ELi8ELb1EDF16_PKPKDF16_fEviT5_lT_lS4_lS5_liPT6_PT4_,@function
_ZL18rocblas_dot_kernelIiLb0ELi512ELi8ELb1EDF16_PKPKDF16_fEviT5_lT_lS4_lS5_liPT6_PT4_: ; @_ZL18rocblas_dot_kernelIiLb0ELi512ELi8ELb1EDF16_PKPKDF16_fEviT5_lT_lS4_lS5_liPT6_PT4_
; %bb.0:
	s_load_b32 s30, s[0:1], 0x48
	s_bfe_u32 s2, ttmp6, 0x40014
	s_lshr_b32 s3, ttmp7, 16
	s_add_co_i32 s2, s2, 1
	s_bfe_u32 s5, ttmp6, 0x40008
	s_mul_i32 s4, s3, s2
	s_getreg_b32 s2, hwreg(HW_REG_IB_STS2, 6, 4)
	s_add_co_i32 s5, s5, s4
	s_cmp_eq_u32 s2, 0
	s_mov_b32 s17, 0
	s_cselect_b32 s16, s3, s5
	s_wait_kmcnt 0x0
	s_cmp_ge_u32 s16, s30
	s_cbranch_scc1 .LBB170_20
; %bb.1:
	v_mbcnt_lo_u32_b32 v2, -1, 0
	s_clause 0x6
	s_load_b32 s22, s[0:1], 0x18
	s_load_b32 s26, s[0:1], 0x38
	s_load_b32 s18, s[0:1], 0x60
	s_load_b128 s[4:7], s[0:1], 0x50
	s_load_b128 s[8:11], s[0:1], 0x28
	;; [unrolled: 1-line block ×3, first 2 shown]
	s_load_b32 s31, s[0:1], 0x0
	s_bfe_u32 s3, ttmp6, 0x4000c
	s_wait_xcnt 0x0
	s_and_b32 s1, ttmp6, 15
	s_add_co_i32 s3, s3, 1
	v_cmp_gt_u32_e32 vcc_lo, 24, v2
	s_mul_i32 s3, ttmp9, s3
	v_and_b32_e32 v1, 31, v0
	s_add_co_i32 s1, s1, s3
	s_mov_b32 s25, s17
	v_cndmask_b32_e64 v3, 0, 8, vcc_lo
	v_cmp_gt_u32_e32 vcc_lo, 28, v2
	v_cmp_gt_u32_e64 s0, 32, v0
	v_lshl_or_b32 v5, v2, 2, 64
	v_cmp_eq_u32_e64 s3, 0, v0
	s_wait_kmcnt 0x0
	s_ashr_i32 s23, s22, 31
	v_cndmask_b32_e64 v8, 0, 4, vcc_lo
	v_cmp_gt_u32_e32 vcc_lo, 30, v2
	s_ashr_i32 s27, s26, 31
	s_cmp_eq_u32 s2, 0
	v_add_lshl_u32 v7, v3, v2, 2
	s_cselect_b32 s24, ttmp9, s1
	v_cndmask_b32_e64 v9, 0, 2, vcc_lo
	v_cmp_ne_u32_e32 vcc_lo, 31, v2
	s_cmp_lg_u32 s18, 1
	v_lshrrev_b32_e32 v3, 3, v0
	s_cselect_b32 s33, -1, 0
	s_lshl_b32 s20, s18, 9
	v_add_co_ci_u32_e64 v10, null, 0, v2, vcc_lo
	v_lshl_or_b32 v6, s24, 9, v0
	s_lshl_b64 s[24:25], s[24:25], 2
	s_ashr_i32 s21, s20, 31
	s_delay_alu instid0(VALU_DEP_2)
	v_dual_lshlrev_b32 v4, 2, v1 :: v_dual_lshlrev_b32 v10, 2, v10
	v_add_lshl_u32 v8, v8, v2, 2
	v_add_lshl_u32 v9, v9, v2, 2
	v_cmp_eq_u32_e64 s1, 0, v1
	v_dual_mov_b32 v12, 0 :: v_dual_bitop2_b32 v11, 60, v3 bitop3:0x40
	v_cmp_gt_u32_e64 s2, 16, v0
	s_add_nc_u64 s[4:5], s[4:5], s[24:25]
	s_mul_u64 s[24:25], s[22:23], s[20:21]
	s_mul_u64 s[28:29], s[26:27], s[20:21]
	s_mov_b32 s19, s17
	s_lshl_b64 s[14:15], s[14:15], 1
	s_lshl_b64 s[22:23], s[22:23], 1
	s_lshl_b64 s[24:25], s[24:25], 1
	s_lshl_b64 s[10:11], s[10:11], 1
	s_lshl_b64 s[26:27], s[26:27], 1
	s_lshl_b64 s[28:29], s[28:29], 1
	s_branch .LBB170_3
.LBB170_2:                              ;   in Loop: Header=BB170_3 Depth=1
	s_wait_xcnt 0x0
	s_or_b32 exec_lo, exec_lo, s21
	s_add_co_i32 s16, s16, 0x10000
	s_delay_alu instid0(SALU_CYCLE_1)
	s_cmp_lt_u32 s16, s30
	s_cbranch_scc0 .LBB170_20
.LBB170_3:                              ; =>This Loop Header: Depth=1
                                        ;     Child Loop BB170_5 Depth 2
	v_mov_b32_e32 v13, 0
	s_mov_b32 s21, exec_lo
	v_cmpx_gt_i32_e64 s31, v6
	s_cbranch_execz .LBB170_7
; %bb.4:                                ;   in Loop: Header=BB170_3 Depth=1
	s_lshl_b64 s[34:35], s[16:17], 3
	v_ashrrev_i32_e32 v13, 31, v6
	s_add_nc_u64 s[36:37], s[12:13], s[34:35]
	s_add_nc_u64 s[34:35], s[8:9], s[34:35]
	s_load_b64 s[38:39], s[36:37], 0x0
	s_load_b64 s[40:41], s[34:35], 0x0
	s_wait_kmcnt 0x0
	s_wait_xcnt 0x0
	s_add_nc_u64 s[34:35], s[38:39], s[14:15]
	s_add_nc_u64 s[36:37], s[40:41], s[10:11]
	s_wait_dscnt 0x0
	v_mad_nc_u64_u32 v[0:1], s22, v6, s[34:35]
	v_mad_nc_u64_u32 v[2:3], s26, v6, s[36:37]
	s_mov_b32 s34, 0
	s_mov_b32 s35, 0
	s_delay_alu instid0(VALU_DEP_2) | instskip(NEXT) | instid1(VALU_DEP_2)
	v_mad_u32 v1, s23, v6, v1
	v_mad_u32 v3, s27, v6, v3
	s_delay_alu instid0(VALU_DEP_2) | instskip(NEXT) | instid1(VALU_DEP_2)
	v_mad_u32 v1, s22, v13, v1
	v_mad_u32 v3, s26, v13, v3
	v_mov_b32_e32 v13, 0
.LBB170_5:                              ;   Parent Loop BB170_3 Depth=1
                                        ; =>  This Inner Loop Header: Depth=2
	flat_load_u16 v14, v[2:3]
	flat_load_u16 v15, v[0:1]
	v_add_nc_u32_e32 v6, s20, v6
	s_add_co_i32 s36, s35, 1
	s_cmp_gt_u32 s35, 6
	s_wait_xcnt 0x0
	v_add_nc_u64_e32 v[0:1], s[24:25], v[0:1]
	s_cselect_b32 s35, -1, 0
	v_cmp_le_i32_e32 vcc_lo, s31, v6
	v_add_nc_u64_e32 v[2:3], s[28:29], v[2:3]
	s_or_b32 s35, s35, vcc_lo
	s_delay_alu instid0(SALU_CYCLE_1) | instskip(NEXT) | instid1(SALU_CYCLE_1)
	s_and_b32 s35, exec_lo, s35
	s_or_b32 s34, s35, s34
	s_mov_b32 s35, s36
	s_wait_loadcnt_dscnt 0x0
	v_fma_mix_f32 v13, v14, v15, v13 op_sel_hi:[1,1,0]
	s_and_not1_b32 exec_lo, exec_lo, s34
	s_cbranch_execnz .LBB170_5
; %bb.6:                                ;   in Loop: Header=BB170_3 Depth=1
	s_or_b32 exec_lo, exec_lo, s34
.LBB170_7:                              ;   in Loop: Header=BB170_3 Depth=1
	s_delay_alu instid0(SALU_CYCLE_1)
	s_or_b32 exec_lo, exec_lo, s21
	s_and_saveexec_b32 s21, s0
; %bb.8:                                ;   in Loop: Header=BB170_3 Depth=1
	ds_store_b32 v4, v12
; %bb.9:                                ;   in Loop: Header=BB170_3 Depth=1
	s_or_b32 exec_lo, exec_lo, s21
	s_wait_dscnt 0x0
	ds_bpermute_b32 v0, v5, v13
	s_wait_dscnt 0x0
	s_barrier_signal -1
	s_barrier_wait -1
	v_add_f32_e32 v0, v13, v0
	ds_bpermute_b32 v1, v7, v0
	s_wait_dscnt 0x0
	v_add_f32_e32 v0, v0, v1
	ds_bpermute_b32 v1, v8, v0
	s_wait_dscnt 0x0
	;; [unrolled: 3-line block ×3, first 2 shown]
	v_add_f32_e32 v0, v0, v1
	ds_bpermute_b32 v1, v10, v0
	s_and_saveexec_b32 s21, s1
	s_cbranch_execz .LBB170_11
; %bb.10:                               ;   in Loop: Header=BB170_3 Depth=1
	s_wait_dscnt 0x0
	v_add_f32_e32 v0, v0, v1
	ds_store_b32 v11, v0
.LBB170_11:                             ;   in Loop: Header=BB170_3 Depth=1
	s_or_b32 exec_lo, exec_lo, s21
	v_mov_b32_e32 v0, 0
	s_wait_dscnt 0x0
	s_barrier_signal -1
	s_barrier_wait -1
	s_and_saveexec_b32 s21, s2
	s_cbranch_execnz .LBB170_14
; %bb.12:                               ;   in Loop: Header=BB170_3 Depth=1
	s_or_b32 exec_lo, exec_lo, s21
	s_and_saveexec_b32 s21, s0
	s_cbranch_execnz .LBB170_15
.LBB170_13:                             ;   in Loop: Header=BB170_3 Depth=1
	s_or_b32 exec_lo, exec_lo, s21
	s_and_saveexec_b32 s21, s3
	s_cbranch_execz .LBB170_2
	s_branch .LBB170_16
.LBB170_14:                             ;   in Loop: Header=BB170_3 Depth=1
	ds_load_b32 v0, v4
	s_or_b32 exec_lo, exec_lo, s21
	s_and_saveexec_b32 s21, s0
	s_cbranch_execz .LBB170_13
.LBB170_15:                             ;   in Loop: Header=BB170_3 Depth=1
	s_wait_dscnt 0x0
	ds_bpermute_b32 v1, v7, v0
	s_wait_dscnt 0x0
	v_add_f32_e32 v0, v0, v1
	ds_bpermute_b32 v1, v8, v0
	s_wait_dscnt 0x0
	v_add_f32_e32 v0, v0, v1
	;; [unrolled: 3-line block ×4, first 2 shown]
	s_or_b32 exec_lo, exec_lo, s21
	s_and_saveexec_b32 s21, s3
	s_cbranch_execz .LBB170_2
.LBB170_16:                             ;   in Loop: Header=BB170_3 Depth=1
	s_and_b32 vcc_lo, exec_lo, s33
	s_mov_b32 s34, -1
	s_cbranch_vccz .LBB170_18
; %bb.17:                               ;   in Loop: Header=BB170_3 Depth=1
	s_mul_u64 s[34:35], s[18:19], s[16:17]
	s_delay_alu instid0(SALU_CYCLE_1) | instskip(NEXT) | instid1(SALU_CYCLE_1)
	s_lshl_b64 s[34:35], s[34:35], 2
	s_add_nc_u64 s[36:37], s[4:5], s[34:35]
	s_mov_b32 s34, 0
	s_wait_dscnt 0x0
	global_store_b32 v12, v0, s[36:37]
.LBB170_18:                             ;   in Loop: Header=BB170_3 Depth=1
	s_and_not1_b32 vcc_lo, exec_lo, s34
	s_cbranch_vccnz .LBB170_2
; %bb.19:                               ;   in Loop: Header=BB170_3 Depth=1
	s_wait_dscnt 0x0
	s_wait_xcnt 0x0
	v_cvt_f16_f32_e32 v0, v0
	s_lshl_b64 s[34:35], s[16:17], 1
	s_delay_alu instid0(SALU_CYCLE_1)
	s_add_nc_u64 s[34:35], s[6:7], s[34:35]
	global_store_b16 v12, v0, s[34:35]
	s_branch .LBB170_2
.LBB170_20:
	s_endpgm
	.section	.rodata,"a",@progbits
	.p2align	6, 0x0
	.amdhsa_kernel _ZL18rocblas_dot_kernelIiLb0ELi512ELi8ELb1EDF16_PKPKDF16_fEviT5_lT_lS4_lS5_liPT6_PT4_
		.amdhsa_group_segment_fixed_size 128
		.amdhsa_private_segment_fixed_size 0
		.amdhsa_kernarg_size 352
		.amdhsa_user_sgpr_count 2
		.amdhsa_user_sgpr_dispatch_ptr 0
		.amdhsa_user_sgpr_queue_ptr 0
		.amdhsa_user_sgpr_kernarg_segment_ptr 1
		.amdhsa_user_sgpr_dispatch_id 0
		.amdhsa_user_sgpr_kernarg_preload_length 0
		.amdhsa_user_sgpr_kernarg_preload_offset 0
		.amdhsa_user_sgpr_private_segment_size 0
		.amdhsa_wavefront_size32 1
		.amdhsa_uses_dynamic_stack 0
		.amdhsa_enable_private_segment 0
		.amdhsa_system_sgpr_workgroup_id_x 1
		.amdhsa_system_sgpr_workgroup_id_y 0
		.amdhsa_system_sgpr_workgroup_id_z 1
		.amdhsa_system_sgpr_workgroup_info 0
		.amdhsa_system_vgpr_workitem_id 0
		.amdhsa_next_free_vgpr 16
		.amdhsa_next_free_sgpr 42
		.amdhsa_named_barrier_count 0
		.amdhsa_reserve_vcc 1
		.amdhsa_float_round_mode_32 0
		.amdhsa_float_round_mode_16_64 0
		.amdhsa_float_denorm_mode_32 3
		.amdhsa_float_denorm_mode_16_64 3
		.amdhsa_fp16_overflow 0
		.amdhsa_memory_ordered 1
		.amdhsa_forward_progress 1
		.amdhsa_inst_pref_size 9
		.amdhsa_round_robin_scheduling 0
		.amdhsa_exception_fp_ieee_invalid_op 0
		.amdhsa_exception_fp_denorm_src 0
		.amdhsa_exception_fp_ieee_div_zero 0
		.amdhsa_exception_fp_ieee_overflow 0
		.amdhsa_exception_fp_ieee_underflow 0
		.amdhsa_exception_fp_ieee_inexact 0
		.amdhsa_exception_int_div_zero 0
	.end_amdhsa_kernel
	.section	.text._ZL18rocblas_dot_kernelIiLb0ELi512ELi8ELb1EDF16_PKPKDF16_fEviT5_lT_lS4_lS5_liPT6_PT4_,"axG",@progbits,_ZL18rocblas_dot_kernelIiLb0ELi512ELi8ELb1EDF16_PKPKDF16_fEviT5_lT_lS4_lS5_liPT6_PT4_,comdat
.Lfunc_end170:
	.size	_ZL18rocblas_dot_kernelIiLb0ELi512ELi8ELb1EDF16_PKPKDF16_fEviT5_lT_lS4_lS5_liPT6_PT4_, .Lfunc_end170-_ZL18rocblas_dot_kernelIiLb0ELi512ELi8ELb1EDF16_PKPKDF16_fEviT5_lT_lS4_lS5_liPT6_PT4_
                                        ; -- End function
	.set _ZL18rocblas_dot_kernelIiLb0ELi512ELi8ELb1EDF16_PKPKDF16_fEviT5_lT_lS4_lS5_liPT6_PT4_.num_vgpr, 16
	.set _ZL18rocblas_dot_kernelIiLb0ELi512ELi8ELb1EDF16_PKPKDF16_fEviT5_lT_lS4_lS5_liPT6_PT4_.num_agpr, 0
	.set _ZL18rocblas_dot_kernelIiLb0ELi512ELi8ELb1EDF16_PKPKDF16_fEviT5_lT_lS4_lS5_liPT6_PT4_.numbered_sgpr, 42
	.set _ZL18rocblas_dot_kernelIiLb0ELi512ELi8ELb1EDF16_PKPKDF16_fEviT5_lT_lS4_lS5_liPT6_PT4_.num_named_barrier, 0
	.set _ZL18rocblas_dot_kernelIiLb0ELi512ELi8ELb1EDF16_PKPKDF16_fEviT5_lT_lS4_lS5_liPT6_PT4_.private_seg_size, 0
	.set _ZL18rocblas_dot_kernelIiLb0ELi512ELi8ELb1EDF16_PKPKDF16_fEviT5_lT_lS4_lS5_liPT6_PT4_.uses_vcc, 1
	.set _ZL18rocblas_dot_kernelIiLb0ELi512ELi8ELb1EDF16_PKPKDF16_fEviT5_lT_lS4_lS5_liPT6_PT4_.uses_flat_scratch, 0
	.set _ZL18rocblas_dot_kernelIiLb0ELi512ELi8ELb1EDF16_PKPKDF16_fEviT5_lT_lS4_lS5_liPT6_PT4_.has_dyn_sized_stack, 0
	.set _ZL18rocblas_dot_kernelIiLb0ELi512ELi8ELb1EDF16_PKPKDF16_fEviT5_lT_lS4_lS5_liPT6_PT4_.has_recursion, 0
	.set _ZL18rocblas_dot_kernelIiLb0ELi512ELi8ELb1EDF16_PKPKDF16_fEviT5_lT_lS4_lS5_liPT6_PT4_.has_indirect_call, 0
	.section	.AMDGPU.csdata,"",@progbits
; Kernel info:
; codeLenInByte = 1064
; TotalNumSgprs: 44
; NumVgprs: 16
; ScratchSize: 0
; MemoryBound: 0
; FloatMode: 240
; IeeeMode: 1
; LDSByteSize: 128 bytes/workgroup (compile time only)
; SGPRBlocks: 0
; VGPRBlocks: 0
; NumSGPRsForWavesPerEU: 44
; NumVGPRsForWavesPerEU: 16
; NamedBarCnt: 0
; Occupancy: 16
; WaveLimiterHint : 0
; COMPUTE_PGM_RSRC2:SCRATCH_EN: 0
; COMPUTE_PGM_RSRC2:USER_SGPR: 2
; COMPUTE_PGM_RSRC2:TRAP_HANDLER: 0
; COMPUTE_PGM_RSRC2:TGID_X_EN: 1
; COMPUTE_PGM_RSRC2:TGID_Y_EN: 0
; COMPUTE_PGM_RSRC2:TGID_Z_EN: 1
; COMPUTE_PGM_RSRC2:TIDIG_COMP_CNT: 0
	.section	.text._ZL24rocblas_dot_kernel_magsqIiLb0ELi512ELi8ELb1EDF16_PKPKDF16_fEviT5_lT_liPT6_PT4_,"axG",@progbits,_ZL24rocblas_dot_kernel_magsqIiLb0ELi512ELi8ELb1EDF16_PKPKDF16_fEviT5_lT_liPT6_PT4_,comdat
	.globl	_ZL24rocblas_dot_kernel_magsqIiLb0ELi512ELi8ELb1EDF16_PKPKDF16_fEviT5_lT_liPT6_PT4_ ; -- Begin function _ZL24rocblas_dot_kernel_magsqIiLb0ELi512ELi8ELb1EDF16_PKPKDF16_fEviT5_lT_liPT6_PT4_
	.p2align	8
	.type	_ZL24rocblas_dot_kernel_magsqIiLb0ELi512ELi8ELb1EDF16_PKPKDF16_fEviT5_lT_liPT6_PT4_,@function
_ZL24rocblas_dot_kernel_magsqIiLb0ELi512ELi8ELb1EDF16_PKPKDF16_fEviT5_lT_liPT6_PT4_: ; @_ZL24rocblas_dot_kernel_magsqIiLb0ELi512ELi8ELb1EDF16_PKPKDF16_fEviT5_lT_liPT6_PT4_
; %bb.0:
	s_load_b32 s22, s[0:1], 0x28
	s_bfe_u32 s2, ttmp6, 0x40014
	s_lshr_b32 s3, ttmp7, 16
	s_add_co_i32 s2, s2, 1
	s_bfe_u32 s5, ttmp6, 0x40008
	s_mul_i32 s4, s3, s2
	s_getreg_b32 s2, hwreg(HW_REG_IB_STS2, 6, 4)
	s_add_co_i32 s5, s5, s4
	s_cmp_eq_u32 s2, 0
	s_mov_b32 s13, 0
	s_cselect_b32 s12, s3, s5
	s_wait_kmcnt 0x0
	s_cmp_ge_u32 s12, s22
	s_cbranch_scc1 .LBB171_20
; %bb.1:
	v_mbcnt_lo_u32_b32 v7, -1, 0
	s_clause 0x4
	s_load_b32 s18, s[0:1], 0x18
	s_load_b32 s14, s[0:1], 0x40
	s_load_b128 s[4:7], s[0:1], 0x30
	s_load_b128 s[8:11], s[0:1], 0x8
	s_load_b32 s23, s[0:1], 0x0
	s_wait_xcnt 0x0
	s_bfe_u32 s0, ttmp6, 0x4000c
	s_and_b32 s1, ttmp6, 15
	s_add_co_i32 s3, s0, 1
	v_cmp_gt_u32_e32 vcc_lo, 24, v7
	s_mul_i32 s3, ttmp9, s3
	v_dual_lshrrev_b32 v10, 3, v0 :: v_dual_bitop2_b32 v1, 31, v0 bitop3:0x40
	s_add_co_i32 s1, s1, s3
	v_cndmask_b32_e64 v5, 0, 8, vcc_lo
	v_cmp_gt_u32_e32 vcc_lo, 28, v7
	s_mov_b32 s21, s13
	v_cmp_gt_u32_e64 s0, 32, v0
	v_lshlrev_b32_e32 v2, 2, v1
	v_lshl_or_b32 v3, v7, 2, 64
	v_cndmask_b32_e64 v6, 0, 4, vcc_lo
	v_cmp_gt_u32_e32 vcc_lo, 30, v7
	s_wait_kmcnt 0x0
	s_ashr_i32 s19, s18, 31
	s_cmp_eq_u32 s2, 0
	v_add_lshl_u32 v5, v5, v7, 2
	s_cselect_b32 s20, ttmp9, s1
	v_cndmask_b32_e64 v8, 0, 2, vcc_lo
	v_cmp_ne_u32_e32 vcc_lo, 31, v7
	s_cmp_lg_u32 s14, 1
	v_lshl_or_b32 v4, s20, 9, v0
	s_cselect_b32 s24, -1, 0
	s_lshl_b32 s16, s14, 9
	v_add_co_ci_u32_e64 v9, null, 0, v7, vcc_lo
	s_lshl_b64 s[20:21], s[20:21], 2
	s_ashr_i32 s17, s16, 31
	v_add_lshl_u32 v6, v6, v7, 2
	v_add_lshl_u32 v7, v8, v7, 2
	v_lshlrev_b32_e32 v8, 2, v9
	v_cmp_eq_u32_e64 s1, 0, v1
	v_and_b32_e32 v9, 60, v10
	v_cmp_gt_u32_e64 s2, 16, v0
	v_cmp_eq_u32_e64 s3, 0, v0
	v_mov_b32_e32 v10, 0
	s_add_nc_u64 s[4:5], s[4:5], s[20:21]
	s_mul_u64 s[20:21], s[18:19], s[16:17]
	s_mov_b32 s15, s13
	s_lshl_b64 s[10:11], s[10:11], 1
	s_lshl_b64 s[18:19], s[18:19], 1
	;; [unrolled: 1-line block ×3, first 2 shown]
	s_branch .LBB171_3
.LBB171_2:                              ;   in Loop: Header=BB171_3 Depth=1
	s_wait_xcnt 0x0
	s_or_b32 exec_lo, exec_lo, s17
	s_add_co_i32 s12, s12, 0x10000
	s_delay_alu instid0(SALU_CYCLE_1)
	s_cmp_lt_u32 s12, s22
	s_cbranch_scc0 .LBB171_20
.LBB171_3:                              ; =>This Loop Header: Depth=1
                                        ;     Child Loop BB171_5 Depth 2
	v_mov_b32_e32 v11, 0
	s_mov_b32 s17, exec_lo
	v_cmpx_gt_i32_e64 s23, v4
	s_cbranch_execz .LBB171_7
; %bb.4:                                ;   in Loop: Header=BB171_3 Depth=1
	s_lshl_b64 s[26:27], s[12:13], 3
	v_ashrrev_i32_e32 v11, 31, v4
	s_add_nc_u64 s[26:27], s[8:9], s[26:27]
	s_mov_b32 s25, 0
	s_load_b64 s[26:27], s[26:27], 0x0
	s_wait_kmcnt 0x0
	s_wait_xcnt 0x0
	s_add_nc_u64 s[26:27], s[26:27], s[10:11]
	s_wait_dscnt 0x0
	v_mad_nc_u64_u32 v[0:1], s18, v4, s[26:27]
	s_mov_b32 s26, 0
	s_delay_alu instid0(VALU_DEP_1) | instskip(NEXT) | instid1(VALU_DEP_1)
	v_mad_u32 v1, s19, v4, v1
	v_mad_u32 v1, s18, v11, v1
	v_mov_b32_e32 v11, 0
.LBB171_5:                              ;   Parent Loop BB171_3 Depth=1
                                        ; =>  This Inner Loop Header: Depth=2
	flat_load_u16 v12, v[0:1]
	v_add_nc_u32_e32 v4, s16, v4
	s_add_co_i32 s27, s26, 1
	s_cmp_gt_u32 s26, 6
	s_wait_xcnt 0x0
	v_add_nc_u64_e32 v[0:1], s[20:21], v[0:1]
	s_cselect_b32 s26, -1, 0
	v_cmp_le_i32_e32 vcc_lo, s23, v4
	s_or_b32 s26, s26, vcc_lo
	s_delay_alu instid0(SALU_CYCLE_1) | instskip(NEXT) | instid1(SALU_CYCLE_1)
	s_and_b32 s26, exec_lo, s26
	s_or_b32 s25, s26, s25
	s_mov_b32 s26, s27
	s_wait_loadcnt_dscnt 0x0
	v_fma_mix_f32 v11, v12, v12, v11 op_sel_hi:[1,1,0]
	s_and_not1_b32 exec_lo, exec_lo, s25
	s_cbranch_execnz .LBB171_5
; %bb.6:                                ;   in Loop: Header=BB171_3 Depth=1
	s_or_b32 exec_lo, exec_lo, s25
.LBB171_7:                              ;   in Loop: Header=BB171_3 Depth=1
	s_delay_alu instid0(SALU_CYCLE_1)
	s_or_b32 exec_lo, exec_lo, s17
	s_and_saveexec_b32 s17, s0
; %bb.8:                                ;   in Loop: Header=BB171_3 Depth=1
	ds_store_b32 v2, v10
; %bb.9:                                ;   in Loop: Header=BB171_3 Depth=1
	s_or_b32 exec_lo, exec_lo, s17
	s_wait_dscnt 0x0
	ds_bpermute_b32 v0, v3, v11
	s_wait_dscnt 0x0
	s_barrier_signal -1
	s_barrier_wait -1
	v_add_f32_e32 v0, v11, v0
	ds_bpermute_b32 v1, v5, v0
	s_wait_dscnt 0x0
	v_add_f32_e32 v0, v0, v1
	ds_bpermute_b32 v1, v6, v0
	s_wait_dscnt 0x0
	;; [unrolled: 3-line block ×3, first 2 shown]
	v_add_f32_e32 v0, v0, v1
	ds_bpermute_b32 v1, v8, v0
	s_and_saveexec_b32 s17, s1
	s_cbranch_execz .LBB171_11
; %bb.10:                               ;   in Loop: Header=BB171_3 Depth=1
	s_wait_dscnt 0x0
	v_add_f32_e32 v0, v0, v1
	ds_store_b32 v9, v0
.LBB171_11:                             ;   in Loop: Header=BB171_3 Depth=1
	s_or_b32 exec_lo, exec_lo, s17
	v_mov_b32_e32 v0, 0
	s_wait_dscnt 0x0
	s_barrier_signal -1
	s_barrier_wait -1
	s_and_saveexec_b32 s17, s2
	s_cbranch_execnz .LBB171_14
; %bb.12:                               ;   in Loop: Header=BB171_3 Depth=1
	s_or_b32 exec_lo, exec_lo, s17
	s_and_saveexec_b32 s17, s0
	s_cbranch_execnz .LBB171_15
.LBB171_13:                             ;   in Loop: Header=BB171_3 Depth=1
	s_or_b32 exec_lo, exec_lo, s17
	s_and_saveexec_b32 s17, s3
	s_cbranch_execz .LBB171_2
	s_branch .LBB171_16
.LBB171_14:                             ;   in Loop: Header=BB171_3 Depth=1
	ds_load_b32 v0, v2
	s_or_b32 exec_lo, exec_lo, s17
	s_and_saveexec_b32 s17, s0
	s_cbranch_execz .LBB171_13
.LBB171_15:                             ;   in Loop: Header=BB171_3 Depth=1
	s_wait_dscnt 0x0
	ds_bpermute_b32 v1, v5, v0
	s_wait_dscnt 0x0
	v_add_f32_e32 v0, v0, v1
	ds_bpermute_b32 v1, v6, v0
	s_wait_dscnt 0x0
	v_add_f32_e32 v0, v0, v1
	;; [unrolled: 3-line block ×4, first 2 shown]
	s_or_b32 exec_lo, exec_lo, s17
	s_and_saveexec_b32 s17, s3
	s_cbranch_execz .LBB171_2
.LBB171_16:                             ;   in Loop: Header=BB171_3 Depth=1
	s_and_b32 vcc_lo, exec_lo, s24
	s_mov_b32 s25, -1
	s_cbranch_vccz .LBB171_18
; %bb.17:                               ;   in Loop: Header=BB171_3 Depth=1
	s_mul_u64 s[26:27], s[14:15], s[12:13]
	s_mov_b32 s25, 0
	s_lshl_b64 s[26:27], s[26:27], 2
	s_delay_alu instid0(SALU_CYCLE_1)
	s_add_nc_u64 s[26:27], s[4:5], s[26:27]
	s_wait_dscnt 0x0
	global_store_b32 v10, v0, s[26:27]
.LBB171_18:                             ;   in Loop: Header=BB171_3 Depth=1
	s_and_not1_b32 vcc_lo, exec_lo, s25
	s_cbranch_vccnz .LBB171_2
; %bb.19:                               ;   in Loop: Header=BB171_3 Depth=1
	s_wait_dscnt 0x0
	s_wait_xcnt 0x0
	v_cvt_f16_f32_e32 v0, v0
	s_lshl_b64 s[26:27], s[12:13], 1
	s_delay_alu instid0(SALU_CYCLE_1)
	s_add_nc_u64 s[26:27], s[6:7], s[26:27]
	global_store_b16 v10, v0, s[26:27]
	s_branch .LBB171_2
.LBB171_20:
	s_endpgm
	.section	.rodata,"a",@progbits
	.p2align	6, 0x0
	.amdhsa_kernel _ZL24rocblas_dot_kernel_magsqIiLb0ELi512ELi8ELb1EDF16_PKPKDF16_fEviT5_lT_liPT6_PT4_
		.amdhsa_group_segment_fixed_size 128
		.amdhsa_private_segment_fixed_size 0
		.amdhsa_kernarg_size 320
		.amdhsa_user_sgpr_count 2
		.amdhsa_user_sgpr_dispatch_ptr 0
		.amdhsa_user_sgpr_queue_ptr 0
		.amdhsa_user_sgpr_kernarg_segment_ptr 1
		.amdhsa_user_sgpr_dispatch_id 0
		.amdhsa_user_sgpr_kernarg_preload_length 0
		.amdhsa_user_sgpr_kernarg_preload_offset 0
		.amdhsa_user_sgpr_private_segment_size 0
		.amdhsa_wavefront_size32 1
		.amdhsa_uses_dynamic_stack 0
		.amdhsa_enable_private_segment 0
		.amdhsa_system_sgpr_workgroup_id_x 1
		.amdhsa_system_sgpr_workgroup_id_y 0
		.amdhsa_system_sgpr_workgroup_id_z 1
		.amdhsa_system_sgpr_workgroup_info 0
		.amdhsa_system_vgpr_workitem_id 0
		.amdhsa_next_free_vgpr 13
		.amdhsa_next_free_sgpr 28
		.amdhsa_named_barrier_count 0
		.amdhsa_reserve_vcc 1
		.amdhsa_float_round_mode_32 0
		.amdhsa_float_round_mode_16_64 0
		.amdhsa_float_denorm_mode_32 3
		.amdhsa_float_denorm_mode_16_64 3
		.amdhsa_fp16_overflow 0
		.amdhsa_memory_ordered 1
		.amdhsa_forward_progress 1
		.amdhsa_inst_pref_size 8
		.amdhsa_round_robin_scheduling 0
		.amdhsa_exception_fp_ieee_invalid_op 0
		.amdhsa_exception_fp_denorm_src 0
		.amdhsa_exception_fp_ieee_div_zero 0
		.amdhsa_exception_fp_ieee_overflow 0
		.amdhsa_exception_fp_ieee_underflow 0
		.amdhsa_exception_fp_ieee_inexact 0
		.amdhsa_exception_int_div_zero 0
	.end_amdhsa_kernel
	.section	.text._ZL24rocblas_dot_kernel_magsqIiLb0ELi512ELi8ELb1EDF16_PKPKDF16_fEviT5_lT_liPT6_PT4_,"axG",@progbits,_ZL24rocblas_dot_kernel_magsqIiLb0ELi512ELi8ELb1EDF16_PKPKDF16_fEviT5_lT_liPT6_PT4_,comdat
.Lfunc_end171:
	.size	_ZL24rocblas_dot_kernel_magsqIiLb0ELi512ELi8ELb1EDF16_PKPKDF16_fEviT5_lT_liPT6_PT4_, .Lfunc_end171-_ZL24rocblas_dot_kernel_magsqIiLb0ELi512ELi8ELb1EDF16_PKPKDF16_fEviT5_lT_liPT6_PT4_
                                        ; -- End function
	.set _ZL24rocblas_dot_kernel_magsqIiLb0ELi512ELi8ELb1EDF16_PKPKDF16_fEviT5_lT_liPT6_PT4_.num_vgpr, 13
	.set _ZL24rocblas_dot_kernel_magsqIiLb0ELi512ELi8ELb1EDF16_PKPKDF16_fEviT5_lT_liPT6_PT4_.num_agpr, 0
	.set _ZL24rocblas_dot_kernel_magsqIiLb0ELi512ELi8ELb1EDF16_PKPKDF16_fEviT5_lT_liPT6_PT4_.numbered_sgpr, 28
	.set _ZL24rocblas_dot_kernel_magsqIiLb0ELi512ELi8ELb1EDF16_PKPKDF16_fEviT5_lT_liPT6_PT4_.num_named_barrier, 0
	.set _ZL24rocblas_dot_kernel_magsqIiLb0ELi512ELi8ELb1EDF16_PKPKDF16_fEviT5_lT_liPT6_PT4_.private_seg_size, 0
	.set _ZL24rocblas_dot_kernel_magsqIiLb0ELi512ELi8ELb1EDF16_PKPKDF16_fEviT5_lT_liPT6_PT4_.uses_vcc, 1
	.set _ZL24rocblas_dot_kernel_magsqIiLb0ELi512ELi8ELb1EDF16_PKPKDF16_fEviT5_lT_liPT6_PT4_.uses_flat_scratch, 0
	.set _ZL24rocblas_dot_kernel_magsqIiLb0ELi512ELi8ELb1EDF16_PKPKDF16_fEviT5_lT_liPT6_PT4_.has_dyn_sized_stack, 0
	.set _ZL24rocblas_dot_kernel_magsqIiLb0ELi512ELi8ELb1EDF16_PKPKDF16_fEviT5_lT_liPT6_PT4_.has_recursion, 0
	.set _ZL24rocblas_dot_kernel_magsqIiLb0ELi512ELi8ELb1EDF16_PKPKDF16_fEviT5_lT_liPT6_PT4_.has_indirect_call, 0
	.section	.AMDGPU.csdata,"",@progbits
; Kernel info:
; codeLenInByte = 960
; TotalNumSgprs: 30
; NumVgprs: 13
; ScratchSize: 0
; MemoryBound: 0
; FloatMode: 240
; IeeeMode: 1
; LDSByteSize: 128 bytes/workgroup (compile time only)
; SGPRBlocks: 0
; VGPRBlocks: 0
; NumSGPRsForWavesPerEU: 30
; NumVGPRsForWavesPerEU: 13
; NamedBarCnt: 0
; Occupancy: 16
; WaveLimiterHint : 0
; COMPUTE_PGM_RSRC2:SCRATCH_EN: 0
; COMPUTE_PGM_RSRC2:USER_SGPR: 2
; COMPUTE_PGM_RSRC2:TRAP_HANDLER: 0
; COMPUTE_PGM_RSRC2:TGID_X_EN: 1
; COMPUTE_PGM_RSRC2:TGID_Y_EN: 0
; COMPUTE_PGM_RSRC2:TGID_Z_EN: 1
; COMPUTE_PGM_RSRC2:TIDIG_COMP_CNT: 0
	.section	.text._ZL28rocblas_dot_batched_4_kernelIiLi32ELi4ELb1EDF16_DF16_PKDF16_EviT5_lT_lS2_lS3_liPT4_,"axG",@progbits,_ZL28rocblas_dot_batched_4_kernelIiLi32ELi4ELb1EDF16_DF16_PKDF16_EviT5_lT_lS2_lS3_liPT4_,comdat
	.globl	_ZL28rocblas_dot_batched_4_kernelIiLi32ELi4ELb1EDF16_DF16_PKDF16_EviT5_lT_lS2_lS3_liPT4_ ; -- Begin function _ZL28rocblas_dot_batched_4_kernelIiLi32ELi4ELb1EDF16_DF16_PKDF16_EviT5_lT_lS2_lS3_liPT4_
	.p2align	8
	.type	_ZL28rocblas_dot_batched_4_kernelIiLi32ELi4ELb1EDF16_DF16_PKDF16_EviT5_lT_lS2_lS3_liPT4_,@function
_ZL28rocblas_dot_batched_4_kernelIiLi32ELi4ELb1EDF16_DF16_PKDF16_EviT5_lT_lS2_lS3_liPT4_: ; @_ZL28rocblas_dot_batched_4_kernelIiLi32ELi4ELb1EDF16_DF16_PKDF16_EviT5_lT_lS2_lS3_liPT4_
; %bb.0:
	s_load_b32 s2, s[0:1], 0x48
	s_bfe_u32 s3, ttmp6, 0x4000c
	s_and_b32 s4, ttmp6, 15
	s_add_co_i32 s3, s3, 1
	v_bfe_u32 v1, v0, 10, 10
	s_mul_i32 s3, ttmp9, s3
	s_delay_alu instid0(SALU_CYCLE_1) | instskip(SKIP_1) | instid1(SALU_CYCLE_1)
	s_add_co_i32 s4, s4, s3
	s_getreg_b32 s3, hwreg(HW_REG_IB_STS2, 6, 4)
	s_cmp_eq_u32 s3, 0
	s_cselect_b32 s3, ttmp9, s4
	s_delay_alu instid0(SALU_CYCLE_1) | instskip(SKIP_1) | instid1(VALU_DEP_1)
	v_lshl_add_u32 v2, s3, 2, v1
	s_wait_kmcnt 0x0
	v_cmp_gt_u32_e32 vcc_lo, s2, v2
	s_and_saveexec_b32 s2, vcc_lo
	s_cbranch_execz .LBB172_7
; %bb.1:
	s_load_b32 s6, s[0:1], 0x0
	v_mov_b32_e32 v3, 0
	v_and_b32_e32 v0, 0x3ff, v0
	s_mov_b32 s7, exec_lo
	s_delay_alu instid0(VALU_DEP_2) | instskip(SKIP_1) | instid1(VALU_DEP_2)
	v_mov_b32_e32 v1, v3
	s_wait_kmcnt 0x0
	v_cmpx_gt_i32_e64 s6, v0
	s_cbranch_execz .LBB172_5
; %bb.2:
	s_clause 0x3
	s_load_b128 s[8:11], s[0:1], 0x20
	s_load_b64 s[2:3], s[0:1], 0x40
	s_load_b32 s4, s[0:1], 0x18
	s_load_b96 s[16:18], s[0:1], 0x30
	v_mov_b32_e32 v1, 0
	s_load_b128 s[12:15], s[0:1], 0x8
	s_wait_kmcnt 0x0
	v_mul_u64_e32 v[4:5], s[8:9], v[2:3]
	v_mul_u64_e32 v[6:7], s[2:3], v[2:3]
	s_ashr_i32 s5, s4, 31
	s_ashr_i32 s9, s18, 31
	v_mul_u64_e32 v[8:9], s[4:5], v[0:1]
	s_mov_b32 s8, s18
	s_lshl_b64 s[2:3], s[14:15], 1
	s_lshl_b64 s[14:15], s[16:17], 1
	s_add_nc_u64 s[2:3], s[12:13], s[2:3]
	s_add_nc_u64 s[10:11], s[10:11], s[14:15]
	s_delay_alu instid0(VALU_DEP_3) | instskip(NEXT) | instid1(VALU_DEP_3)
	v_lshlrev_b64_e32 v[4:5], 1, v[4:5]
	v_lshlrev_b64_e32 v[6:7], 1, v[6:7]
	s_delay_alu instid0(VALU_DEP_2) | instskip(SKIP_2) | instid1(VALU_DEP_3)
	v_lshl_add_u64 v[4:5], v[8:9], 1, v[4:5]
	v_mov_b32_e32 v8, v0
	v_mul_u64_e32 v[10:11], s[8:9], v[0:1]
	v_add_nc_u64_e32 v[4:5], s[2:3], v[4:5]
	s_lshl_b64 s[2:3], s[4:5], 6
	s_lshl_b64 s[4:5], s[8:9], 6
	s_mov_b32 s8, 0
	s_delay_alu instid0(VALU_DEP_2) | instskip(NEXT) | instid1(VALU_DEP_1)
	v_lshl_add_u64 v[6:7], v[10:11], 1, v[6:7]
	v_add_nc_u64_e32 v[6:7], s[10:11], v[6:7]
.LBB172_3:                              ; =>This Inner Loop Header: Depth=1
	global_load_u16 v9, v[4:5], off
	global_load_u16 v10, v[6:7], off
	v_add_nc_u32_e32 v8, 32, v8
	s_wait_xcnt 0x1
	v_add_nc_u64_e32 v[4:5], s[2:3], v[4:5]
	s_wait_xcnt 0x0
	v_add_nc_u64_e32 v[6:7], s[4:5], v[6:7]
	v_cmp_le_i32_e32 vcc_lo, s6, v8
	s_or_b32 s8, vcc_lo, s8
	s_wait_loadcnt 0x0
	v_fmac_f16_e32 v1, v9, v10
	s_and_not1_b32 exec_lo, exec_lo, s8
	s_cbranch_execnz .LBB172_3
; %bb.4:
	s_or_b32 exec_lo, exec_lo, s8
.LBB172_5:
	s_delay_alu instid0(SALU_CYCLE_1) | instskip(SKIP_4) | instid1(VALU_DEP_2)
	s_or_b32 exec_lo, exec_lo, s7
	v_mbcnt_lo_u32_b32 v4, -1, 0
	v_and_b32_e32 v5, 0xffff, v1
	s_load_b64 s[0:1], s[0:1], 0x50
	s_barrier_signal -1
	v_lshl_or_b32 v6, v4, 2, 64
	v_cmp_gt_u32_e32 vcc_lo, 24, v4
	s_barrier_wait -1
	ds_bpermute_b32 v5, v6, v5
	v_cndmask_b32_e64 v6, 0, 8, vcc_lo
	v_cmp_gt_u32_e32 vcc_lo, 28, v4
	s_delay_alu instid0(VALU_DEP_2) | instskip(SKIP_2) | instid1(VALU_DEP_1)
	v_add_lshl_u32 v6, v6, v4, 2
	s_wait_dscnt 0x0
	v_add_f16_e32 v1, v1, v5
	v_and_b32_e32 v7, 0xffff, v1
	s_delay_alu instid0(VALU_DEP_1) | instskip(SKIP_3) | instid1(VALU_DEP_2)
	v_and_or_b32 v5, 0xffff0000, v5, v7
	ds_bpermute_b32 v5, v6, v5
	v_cndmask_b32_e64 v6, 0, 4, vcc_lo
	v_cmp_gt_u32_e32 vcc_lo, 30, v4
	v_add_lshl_u32 v6, v6, v4, 2
	s_wait_dscnt 0x0
	v_add_f16_e32 v1, v1, v5
	s_delay_alu instid0(VALU_DEP_1) | instskip(NEXT) | instid1(VALU_DEP_1)
	v_and_b32_e32 v7, 0xffff, v1
	v_and_or_b32 v5, 0xffff0000, v5, v7
	ds_bpermute_b32 v5, v6, v5
	v_cndmask_b32_e64 v6, 0, 2, vcc_lo
	v_cmp_ne_u32_e32 vcc_lo, 31, v4
	s_delay_alu instid0(VALU_DEP_2) | instskip(SKIP_2) | instid1(VALU_DEP_2)
	v_add_lshl_u32 v6, v6, v4, 2
	v_add_co_ci_u32_e64 v4, null, 0, v4, vcc_lo
	v_cmp_eq_u32_e32 vcc_lo, 0, v0
	v_lshlrev_b32_e32 v4, 2, v4
	s_wait_dscnt 0x0
	v_add_f16_e32 v1, v1, v5
	s_delay_alu instid0(VALU_DEP_1) | instskip(NEXT) | instid1(VALU_DEP_1)
	v_and_b32_e32 v7, 0xffff, v1
	v_and_or_b32 v5, 0xffff0000, v5, v7
	ds_bpermute_b32 v5, v6, v5
	s_wait_dscnt 0x0
	v_add_f16_e32 v1, v1, v5
	s_delay_alu instid0(VALU_DEP_1) | instskip(NEXT) | instid1(VALU_DEP_1)
	v_and_b32_e32 v6, 0xffff, v1
	v_and_or_b32 v5, 0xffff0000, v5, v6
	ds_bpermute_b32 v4, v4, v5
	s_and_b32 exec_lo, exec_lo, vcc_lo
	s_cbranch_execz .LBB172_7
; %bb.6:
	s_wait_kmcnt 0x0
	v_lshl_add_u64 v[2:3], v[2:3], 1, s[0:1]
	s_wait_dscnt 0x0
	v_add_f16_e32 v0, v1, v4
	global_store_b16 v[2:3], v0, off
.LBB172_7:
	s_endpgm
	.section	.rodata,"a",@progbits
	.p2align	6, 0x0
	.amdhsa_kernel _ZL28rocblas_dot_batched_4_kernelIiLi32ELi4ELb1EDF16_DF16_PKDF16_EviT5_lT_lS2_lS3_liPT4_
		.amdhsa_group_segment_fixed_size 0
		.amdhsa_private_segment_fixed_size 0
		.amdhsa_kernarg_size 88
		.amdhsa_user_sgpr_count 2
		.amdhsa_user_sgpr_dispatch_ptr 0
		.amdhsa_user_sgpr_queue_ptr 0
		.amdhsa_user_sgpr_kernarg_segment_ptr 1
		.amdhsa_user_sgpr_dispatch_id 0
		.amdhsa_user_sgpr_kernarg_preload_length 0
		.amdhsa_user_sgpr_kernarg_preload_offset 0
		.amdhsa_user_sgpr_private_segment_size 0
		.amdhsa_wavefront_size32 1
		.amdhsa_uses_dynamic_stack 0
		.amdhsa_enable_private_segment 0
		.amdhsa_system_sgpr_workgroup_id_x 1
		.amdhsa_system_sgpr_workgroup_id_y 0
		.amdhsa_system_sgpr_workgroup_id_z 0
		.amdhsa_system_sgpr_workgroup_info 0
		.amdhsa_system_vgpr_workitem_id 1
		.amdhsa_next_free_vgpr 12
		.amdhsa_next_free_sgpr 19
		.amdhsa_named_barrier_count 0
		.amdhsa_reserve_vcc 1
		.amdhsa_float_round_mode_32 0
		.amdhsa_float_round_mode_16_64 0
		.amdhsa_float_denorm_mode_32 3
		.amdhsa_float_denorm_mode_16_64 3
		.amdhsa_fp16_overflow 0
		.amdhsa_memory_ordered 1
		.amdhsa_forward_progress 1
		.amdhsa_inst_pref_size 6
		.amdhsa_round_robin_scheduling 0
		.amdhsa_exception_fp_ieee_invalid_op 0
		.amdhsa_exception_fp_denorm_src 0
		.amdhsa_exception_fp_ieee_div_zero 0
		.amdhsa_exception_fp_ieee_overflow 0
		.amdhsa_exception_fp_ieee_underflow 0
		.amdhsa_exception_fp_ieee_inexact 0
		.amdhsa_exception_int_div_zero 0
	.end_amdhsa_kernel
	.section	.text._ZL28rocblas_dot_batched_4_kernelIiLi32ELi4ELb1EDF16_DF16_PKDF16_EviT5_lT_lS2_lS3_liPT4_,"axG",@progbits,_ZL28rocblas_dot_batched_4_kernelIiLi32ELi4ELb1EDF16_DF16_PKDF16_EviT5_lT_lS2_lS3_liPT4_,comdat
.Lfunc_end172:
	.size	_ZL28rocblas_dot_batched_4_kernelIiLi32ELi4ELb1EDF16_DF16_PKDF16_EviT5_lT_lS2_lS3_liPT4_, .Lfunc_end172-_ZL28rocblas_dot_batched_4_kernelIiLi32ELi4ELb1EDF16_DF16_PKDF16_EviT5_lT_lS2_lS3_liPT4_
                                        ; -- End function
	.set _ZL28rocblas_dot_batched_4_kernelIiLi32ELi4ELb1EDF16_DF16_PKDF16_EviT5_lT_lS2_lS3_liPT4_.num_vgpr, 12
	.set _ZL28rocblas_dot_batched_4_kernelIiLi32ELi4ELb1EDF16_DF16_PKDF16_EviT5_lT_lS2_lS3_liPT4_.num_agpr, 0
	.set _ZL28rocblas_dot_batched_4_kernelIiLi32ELi4ELb1EDF16_DF16_PKDF16_EviT5_lT_lS2_lS3_liPT4_.numbered_sgpr, 19
	.set _ZL28rocblas_dot_batched_4_kernelIiLi32ELi4ELb1EDF16_DF16_PKDF16_EviT5_lT_lS2_lS3_liPT4_.num_named_barrier, 0
	.set _ZL28rocblas_dot_batched_4_kernelIiLi32ELi4ELb1EDF16_DF16_PKDF16_EviT5_lT_lS2_lS3_liPT4_.private_seg_size, 0
	.set _ZL28rocblas_dot_batched_4_kernelIiLi32ELi4ELb1EDF16_DF16_PKDF16_EviT5_lT_lS2_lS3_liPT4_.uses_vcc, 1
	.set _ZL28rocblas_dot_batched_4_kernelIiLi32ELi4ELb1EDF16_DF16_PKDF16_EviT5_lT_lS2_lS3_liPT4_.uses_flat_scratch, 0
	.set _ZL28rocblas_dot_batched_4_kernelIiLi32ELi4ELb1EDF16_DF16_PKDF16_EviT5_lT_lS2_lS3_liPT4_.has_dyn_sized_stack, 0
	.set _ZL28rocblas_dot_batched_4_kernelIiLi32ELi4ELb1EDF16_DF16_PKDF16_EviT5_lT_lS2_lS3_liPT4_.has_recursion, 0
	.set _ZL28rocblas_dot_batched_4_kernelIiLi32ELi4ELb1EDF16_DF16_PKDF16_EviT5_lT_lS2_lS3_liPT4_.has_indirect_call, 0
	.section	.AMDGPU.csdata,"",@progbits
; Kernel info:
; codeLenInByte = 708
; TotalNumSgprs: 21
; NumVgprs: 12
; ScratchSize: 0
; MemoryBound: 0
; FloatMode: 240
; IeeeMode: 1
; LDSByteSize: 0 bytes/workgroup (compile time only)
; SGPRBlocks: 0
; VGPRBlocks: 0
; NumSGPRsForWavesPerEU: 21
; NumVGPRsForWavesPerEU: 12
; NamedBarCnt: 0
; Occupancy: 16
; WaveLimiterHint : 0
; COMPUTE_PGM_RSRC2:SCRATCH_EN: 0
; COMPUTE_PGM_RSRC2:USER_SGPR: 2
; COMPUTE_PGM_RSRC2:TRAP_HANDLER: 0
; COMPUTE_PGM_RSRC2:TGID_X_EN: 1
; COMPUTE_PGM_RSRC2:TGID_Y_EN: 0
; COMPUTE_PGM_RSRC2:TGID_Z_EN: 0
; COMPUTE_PGM_RSRC2:TIDIG_COMP_CNT: 1
	.section	.text._ZL28rocblas_dot_batched_4_kernelIiLi64ELi4ELb1EDF16_DF16_PKDF16_EviT5_lT_lS2_lS3_liPT4_,"axG",@progbits,_ZL28rocblas_dot_batched_4_kernelIiLi64ELi4ELb1EDF16_DF16_PKDF16_EviT5_lT_lS2_lS3_liPT4_,comdat
	.globl	_ZL28rocblas_dot_batched_4_kernelIiLi64ELi4ELb1EDF16_DF16_PKDF16_EviT5_lT_lS2_lS3_liPT4_ ; -- Begin function _ZL28rocblas_dot_batched_4_kernelIiLi64ELi4ELb1EDF16_DF16_PKDF16_EviT5_lT_lS2_lS3_liPT4_
	.p2align	8
	.type	_ZL28rocblas_dot_batched_4_kernelIiLi64ELi4ELb1EDF16_DF16_PKDF16_EviT5_lT_lS2_lS3_liPT4_,@function
_ZL28rocblas_dot_batched_4_kernelIiLi64ELi4ELb1EDF16_DF16_PKDF16_EviT5_lT_lS2_lS3_liPT4_: ; @_ZL28rocblas_dot_batched_4_kernelIiLi64ELi4ELb1EDF16_DF16_PKDF16_EviT5_lT_lS2_lS3_liPT4_
; %bb.0:
	s_load_b32 s2, s[0:1], 0x48
	s_bfe_u32 s3, ttmp6, 0x4000c
	s_and_b32 s4, ttmp6, 15
	s_add_co_i32 s3, s3, 1
	v_bfe_u32 v1, v0, 10, 10
	s_mul_i32 s3, ttmp9, s3
	s_delay_alu instid0(SALU_CYCLE_1) | instskip(SKIP_1) | instid1(SALU_CYCLE_1)
	s_add_co_i32 s4, s4, s3
	s_getreg_b32 s3, hwreg(HW_REG_IB_STS2, 6, 4)
	s_cmp_eq_u32 s3, 0
	s_cselect_b32 s3, ttmp9, s4
	s_delay_alu instid0(SALU_CYCLE_1) | instskip(SKIP_1) | instid1(VALU_DEP_1)
	v_lshl_add_u32 v2, s3, 2, v1
	s_wait_kmcnt 0x0
	v_cmp_gt_u32_e32 vcc_lo, s2, v2
	s_and_saveexec_b32 s2, vcc_lo
	s_cbranch_execz .LBB173_7
; %bb.1:
	s_load_b32 s6, s[0:1], 0x0
	v_mov_b32_e32 v3, 0
	v_and_b32_e32 v0, 0x3ff, v0
	s_mov_b32 s7, exec_lo
	s_delay_alu instid0(VALU_DEP_2) | instskip(SKIP_1) | instid1(VALU_DEP_2)
	v_mov_b32_e32 v1, v3
	s_wait_kmcnt 0x0
	v_cmpx_gt_i32_e64 s6, v0
	s_cbranch_execz .LBB173_5
; %bb.2:
	s_clause 0x3
	s_load_b128 s[8:11], s[0:1], 0x20
	s_load_b64 s[2:3], s[0:1], 0x40
	s_load_b32 s4, s[0:1], 0x18
	s_load_b96 s[16:18], s[0:1], 0x30
	v_mov_b32_e32 v1, 0
	s_load_b128 s[12:15], s[0:1], 0x8
	s_wait_kmcnt 0x0
	v_mul_u64_e32 v[4:5], s[8:9], v[2:3]
	v_mul_u64_e32 v[6:7], s[2:3], v[2:3]
	s_ashr_i32 s5, s4, 31
	s_ashr_i32 s9, s18, 31
	v_mul_u64_e32 v[8:9], s[4:5], v[0:1]
	s_mov_b32 s8, s18
	s_lshl_b64 s[2:3], s[14:15], 1
	s_lshl_b64 s[14:15], s[16:17], 1
	s_add_nc_u64 s[2:3], s[12:13], s[2:3]
	s_add_nc_u64 s[10:11], s[10:11], s[14:15]
	s_delay_alu instid0(VALU_DEP_3) | instskip(NEXT) | instid1(VALU_DEP_3)
	v_lshlrev_b64_e32 v[4:5], 1, v[4:5]
	v_lshlrev_b64_e32 v[6:7], 1, v[6:7]
	s_delay_alu instid0(VALU_DEP_2) | instskip(SKIP_2) | instid1(VALU_DEP_3)
	v_lshl_add_u64 v[4:5], v[8:9], 1, v[4:5]
	v_mov_b32_e32 v8, v0
	v_mul_u64_e32 v[10:11], s[8:9], v[0:1]
	v_add_nc_u64_e32 v[4:5], s[2:3], v[4:5]
	s_lshl_b64 s[2:3], s[4:5], 7
	s_lshl_b64 s[4:5], s[8:9], 7
	s_mov_b32 s8, 0
	s_delay_alu instid0(VALU_DEP_2) | instskip(NEXT) | instid1(VALU_DEP_1)
	v_lshl_add_u64 v[6:7], v[10:11], 1, v[6:7]
	v_add_nc_u64_e32 v[6:7], s[10:11], v[6:7]
.LBB173_3:                              ; =>This Inner Loop Header: Depth=1
	global_load_u16 v9, v[4:5], off
	global_load_u16 v10, v[6:7], off
	v_add_nc_u32_e32 v8, 64, v8
	s_wait_xcnt 0x1
	v_add_nc_u64_e32 v[4:5], s[2:3], v[4:5]
	s_wait_xcnt 0x0
	v_add_nc_u64_e32 v[6:7], s[4:5], v[6:7]
	v_cmp_le_i32_e32 vcc_lo, s6, v8
	s_or_b32 s8, vcc_lo, s8
	s_wait_loadcnt 0x0
	v_fmac_f16_e32 v1, v9, v10
	s_and_not1_b32 exec_lo, exec_lo, s8
	s_cbranch_execnz .LBB173_3
; %bb.4:
	s_or_b32 exec_lo, exec_lo, s8
.LBB173_5:
	s_delay_alu instid0(SALU_CYCLE_1) | instskip(SKIP_4) | instid1(VALU_DEP_2)
	s_or_b32 exec_lo, exec_lo, s7
	v_mbcnt_lo_u32_b32 v4, -1, 0
	v_and_b32_e32 v5, 0xffff, v1
	s_load_b64 s[0:1], s[0:1], 0x50
	s_barrier_signal -1
	v_lshlrev_b32_e32 v6, 2, v4
	v_cmp_gt_u32_e32 vcc_lo, 24, v4
	s_barrier_wait -1
	ds_bpermute_b32 v5, v6, v5
	v_or_b32_e32 v6, 64, v6
	s_wait_dscnt 0x0
	v_add_f16_e32 v1, v1, v5
	s_delay_alu instid0(VALU_DEP_1) | instskip(NEXT) | instid1(VALU_DEP_1)
	v_and_b32_e32 v7, 0xffff, v1
	v_and_or_b32 v5, 0xffff0000, v5, v7
	ds_bpermute_b32 v5, v6, v5
	v_cndmask_b32_e64 v6, 0, 8, vcc_lo
	v_cmp_gt_u32_e32 vcc_lo, 28, v4
	s_delay_alu instid0(VALU_DEP_2) | instskip(SKIP_2) | instid1(VALU_DEP_1)
	v_add_lshl_u32 v6, v6, v4, 2
	s_wait_dscnt 0x0
	v_add_f16_e32 v1, v1, v5
	v_and_b32_e32 v7, 0xffff, v1
	s_delay_alu instid0(VALU_DEP_1) | instskip(SKIP_3) | instid1(VALU_DEP_2)
	v_and_or_b32 v5, 0xffff0000, v5, v7
	ds_bpermute_b32 v5, v6, v5
	v_cndmask_b32_e64 v6, 0, 4, vcc_lo
	v_cmp_gt_u32_e32 vcc_lo, 30, v4
	v_add_lshl_u32 v6, v6, v4, 2
	s_wait_dscnt 0x0
	v_add_f16_e32 v1, v1, v5
	s_delay_alu instid0(VALU_DEP_1) | instskip(NEXT) | instid1(VALU_DEP_1)
	v_and_b32_e32 v7, 0xffff, v1
	v_and_or_b32 v5, 0xffff0000, v5, v7
	ds_bpermute_b32 v5, v6, v5
	v_cndmask_b32_e64 v6, 0, 2, vcc_lo
	v_cmp_ne_u32_e32 vcc_lo, 31, v4
	s_delay_alu instid0(VALU_DEP_2) | instskip(SKIP_2) | instid1(VALU_DEP_2)
	v_add_lshl_u32 v6, v6, v4, 2
	v_add_co_ci_u32_e64 v4, null, 0, v4, vcc_lo
	v_cmp_eq_u32_e32 vcc_lo, 0, v0
	v_lshlrev_b32_e32 v4, 2, v4
	s_wait_dscnt 0x0
	v_add_f16_e32 v1, v1, v5
	s_delay_alu instid0(VALU_DEP_1) | instskip(NEXT) | instid1(VALU_DEP_1)
	v_and_b32_e32 v7, 0xffff, v1
	v_and_or_b32 v5, 0xffff0000, v5, v7
	ds_bpermute_b32 v5, v6, v5
	s_wait_dscnt 0x0
	v_add_f16_e32 v1, v1, v5
	s_delay_alu instid0(VALU_DEP_1) | instskip(NEXT) | instid1(VALU_DEP_1)
	v_and_b32_e32 v6, 0xffff, v1
	v_and_or_b32 v5, 0xffff0000, v5, v6
	ds_bpermute_b32 v4, v4, v5
	s_and_b32 exec_lo, exec_lo, vcc_lo
	s_cbranch_execz .LBB173_7
; %bb.6:
	s_wait_kmcnt 0x0
	v_lshl_add_u64 v[2:3], v[2:3], 1, s[0:1]
	s_wait_dscnt 0x0
	v_add_f16_e32 v0, v1, v4
	global_store_b16 v[2:3], v0, off
.LBB173_7:
	s_endpgm
	.section	.rodata,"a",@progbits
	.p2align	6, 0x0
	.amdhsa_kernel _ZL28rocblas_dot_batched_4_kernelIiLi64ELi4ELb1EDF16_DF16_PKDF16_EviT5_lT_lS2_lS3_liPT4_
		.amdhsa_group_segment_fixed_size 0
		.amdhsa_private_segment_fixed_size 0
		.amdhsa_kernarg_size 88
		.amdhsa_user_sgpr_count 2
		.amdhsa_user_sgpr_dispatch_ptr 0
		.amdhsa_user_sgpr_queue_ptr 0
		.amdhsa_user_sgpr_kernarg_segment_ptr 1
		.amdhsa_user_sgpr_dispatch_id 0
		.amdhsa_user_sgpr_kernarg_preload_length 0
		.amdhsa_user_sgpr_kernarg_preload_offset 0
		.amdhsa_user_sgpr_private_segment_size 0
		.amdhsa_wavefront_size32 1
		.amdhsa_uses_dynamic_stack 0
		.amdhsa_enable_private_segment 0
		.amdhsa_system_sgpr_workgroup_id_x 1
		.amdhsa_system_sgpr_workgroup_id_y 0
		.amdhsa_system_sgpr_workgroup_id_z 0
		.amdhsa_system_sgpr_workgroup_info 0
		.amdhsa_system_vgpr_workitem_id 1
		.amdhsa_next_free_vgpr 12
		.amdhsa_next_free_sgpr 19
		.amdhsa_named_barrier_count 0
		.amdhsa_reserve_vcc 1
		.amdhsa_float_round_mode_32 0
		.amdhsa_float_round_mode_16_64 0
		.amdhsa_float_denorm_mode_32 3
		.amdhsa_float_denorm_mode_16_64 3
		.amdhsa_fp16_overflow 0
		.amdhsa_memory_ordered 1
		.amdhsa_forward_progress 1
		.amdhsa_inst_pref_size 6
		.amdhsa_round_robin_scheduling 0
		.amdhsa_exception_fp_ieee_invalid_op 0
		.amdhsa_exception_fp_denorm_src 0
		.amdhsa_exception_fp_ieee_div_zero 0
		.amdhsa_exception_fp_ieee_overflow 0
		.amdhsa_exception_fp_ieee_underflow 0
		.amdhsa_exception_fp_ieee_inexact 0
		.amdhsa_exception_int_div_zero 0
	.end_amdhsa_kernel
	.section	.text._ZL28rocblas_dot_batched_4_kernelIiLi64ELi4ELb1EDF16_DF16_PKDF16_EviT5_lT_lS2_lS3_liPT4_,"axG",@progbits,_ZL28rocblas_dot_batched_4_kernelIiLi64ELi4ELb1EDF16_DF16_PKDF16_EviT5_lT_lS2_lS3_liPT4_,comdat
.Lfunc_end173:
	.size	_ZL28rocblas_dot_batched_4_kernelIiLi64ELi4ELb1EDF16_DF16_PKDF16_EviT5_lT_lS2_lS3_liPT4_, .Lfunc_end173-_ZL28rocblas_dot_batched_4_kernelIiLi64ELi4ELb1EDF16_DF16_PKDF16_EviT5_lT_lS2_lS3_liPT4_
                                        ; -- End function
	.set _ZL28rocblas_dot_batched_4_kernelIiLi64ELi4ELb1EDF16_DF16_PKDF16_EviT5_lT_lS2_lS3_liPT4_.num_vgpr, 12
	.set _ZL28rocblas_dot_batched_4_kernelIiLi64ELi4ELb1EDF16_DF16_PKDF16_EviT5_lT_lS2_lS3_liPT4_.num_agpr, 0
	.set _ZL28rocblas_dot_batched_4_kernelIiLi64ELi4ELb1EDF16_DF16_PKDF16_EviT5_lT_lS2_lS3_liPT4_.numbered_sgpr, 19
	.set _ZL28rocblas_dot_batched_4_kernelIiLi64ELi4ELb1EDF16_DF16_PKDF16_EviT5_lT_lS2_lS3_liPT4_.num_named_barrier, 0
	.set _ZL28rocblas_dot_batched_4_kernelIiLi64ELi4ELb1EDF16_DF16_PKDF16_EviT5_lT_lS2_lS3_liPT4_.private_seg_size, 0
	.set _ZL28rocblas_dot_batched_4_kernelIiLi64ELi4ELb1EDF16_DF16_PKDF16_EviT5_lT_lS2_lS3_liPT4_.uses_vcc, 1
	.set _ZL28rocblas_dot_batched_4_kernelIiLi64ELi4ELb1EDF16_DF16_PKDF16_EviT5_lT_lS2_lS3_liPT4_.uses_flat_scratch, 0
	.set _ZL28rocblas_dot_batched_4_kernelIiLi64ELi4ELb1EDF16_DF16_PKDF16_EviT5_lT_lS2_lS3_liPT4_.has_dyn_sized_stack, 0
	.set _ZL28rocblas_dot_batched_4_kernelIiLi64ELi4ELb1EDF16_DF16_PKDF16_EviT5_lT_lS2_lS3_liPT4_.has_recursion, 0
	.set _ZL28rocblas_dot_batched_4_kernelIiLi64ELi4ELb1EDF16_DF16_PKDF16_EviT5_lT_lS2_lS3_liPT4_.has_indirect_call, 0
	.section	.AMDGPU.csdata,"",@progbits
; Kernel info:
; codeLenInByte = 748
; TotalNumSgprs: 21
; NumVgprs: 12
; ScratchSize: 0
; MemoryBound: 0
; FloatMode: 240
; IeeeMode: 1
; LDSByteSize: 0 bytes/workgroup (compile time only)
; SGPRBlocks: 0
; VGPRBlocks: 0
; NumSGPRsForWavesPerEU: 21
; NumVGPRsForWavesPerEU: 12
; NamedBarCnt: 0
; Occupancy: 16
; WaveLimiterHint : 0
; COMPUTE_PGM_RSRC2:SCRATCH_EN: 0
; COMPUTE_PGM_RSRC2:USER_SGPR: 2
; COMPUTE_PGM_RSRC2:TRAP_HANDLER: 0
; COMPUTE_PGM_RSRC2:TGID_X_EN: 1
; COMPUTE_PGM_RSRC2:TGID_Y_EN: 0
; COMPUTE_PGM_RSRC2:TGID_Z_EN: 0
; COMPUTE_PGM_RSRC2:TIDIG_COMP_CNT: 1
	.section	.text._ZL26rocblas_dot_kernel_inc1by2ILb1ELi1024ELi32ELb1EDF16_PKDF16_DF16_EviT4_llS2_lliPT5_PT3_,"axG",@progbits,_ZL26rocblas_dot_kernel_inc1by2ILb1ELi1024ELi32ELb1EDF16_PKDF16_DF16_EviT4_llS2_lliPT5_PT3_,comdat
	.globl	_ZL26rocblas_dot_kernel_inc1by2ILb1ELi1024ELi32ELb1EDF16_PKDF16_DF16_EviT4_llS2_lliPT5_PT3_ ; -- Begin function _ZL26rocblas_dot_kernel_inc1by2ILb1ELi1024ELi32ELb1EDF16_PKDF16_DF16_EviT4_llS2_lliPT5_PT3_
	.p2align	8
	.type	_ZL26rocblas_dot_kernel_inc1by2ILb1ELi1024ELi32ELb1EDF16_PKDF16_DF16_EviT4_llS2_lliPT5_PT3_,@function
_ZL26rocblas_dot_kernel_inc1by2ILb1ELi1024ELi32ELb1EDF16_PKDF16_DF16_EviT4_llS2_lliPT5_PT3_: ; @_ZL26rocblas_dot_kernel_inc1by2ILb1ELi1024ELi32ELb1EDF16_PKDF16_DF16_EviT4_llS2_lliPT5_PT3_
; %bb.0:
	s_load_b32 s3, s[0:1], 0x38
	s_bfe_u32 s2, ttmp6, 0x40014
	s_lshr_b32 s4, ttmp7, 16
	s_add_co_i32 s2, s2, 1
	s_bfe_u32 s5, ttmp6, 0x40008
	s_mul_i32 s2, s4, s2
	s_getreg_b32 s6, hwreg(HW_REG_IB_STS2, 6, 4)
	s_add_co_i32 s5, s5, s2
	s_cmp_eq_u32 s6, 0
	s_mov_b32 s13, 0
	s_cselect_b32 s12, s4, s5
	s_wait_kmcnt 0x0
	s_cmp_ge_u32 s12, s3
	s_cbranch_scc1 .LBB174_19
; %bb.1:
	s_clause 0x4
	s_load_b32 s20, s[0:1], 0x0
	s_load_b128 s[4:7], s[0:1], 0x10
	s_load_b128 s[8:11], s[0:1], 0x28
	s_load_b64 s[16:17], s[0:1], 0x8
	s_load_b64 s[18:19], s[0:1], 0x20
	v_mbcnt_lo_u32_b32 v2, -1, 0
	s_load_b64 s[14:15], s[0:1], 0x48
	v_and_b32_e32 v1, 31, v0
	v_cmp_gt_u32_e32 vcc_lo, 32, v0
	v_mov_b32_e32 v13, 0
	s_wait_xcnt 0x0
	v_cmp_gt_u32_e64 s0, 24, v2
	v_lshl_or_b32 v7, v2, 2, 64
	s_delay_alu instid0(VALU_DEP_2) | instskip(SKIP_1) | instid1(VALU_DEP_2)
	v_cndmask_b32_e64 v3, 0, 8, s0
	v_cmp_gt_u32_e64 s0, 28, v2
	v_add_lshl_u32 v8, v3, v2, 2
	s_delay_alu instid0(VALU_DEP_2)
	v_cndmask_b32_e64 v4, 0, 4, s0
	s_wait_kmcnt 0x0
	s_lshl_b64 s[0:1], s[4:5], 1
	v_lshrrev_b32_e32 v3, 4, v0
	s_add_nc_u64 s[4:5], s[16:17], s[0:1]
	v_cmp_gt_u32_e64 s0, 30, v2
	s_ashr_i32 s21, s20, 31
	s_lshl_b64 s[8:9], s[8:9], 1
	s_add_co_i32 s22, s20, -1
	v_add_lshl_u32 v9, v4, v2, 2
	v_cndmask_b32_e64 v5, 0, 2, s0
	v_cmp_ne_u32_e64 s0, 31, v2
	v_and_b32_e32 v12, 62, v3
	v_cmp_eq_u32_e64 s1, 0, v0
	s_bitcmp1_b32 s20, 0
	v_add_lshl_u32 v10, v5, v2, 2
	v_add_co_ci_u32_e64 v11, null, 0, v2, s0
	v_lshlrev_b32_e32 v6, 1, v1
	v_cmp_eq_u32_e64 s0, 0, v1
	s_add_nc_u64 s[8:9], s[18:19], s[8:9]
	v_lshlrev_b32_e32 v11, 2, v11
	s_cselect_b32 s23, -1, 0
	s_lshl_b64 s[16:17], s[10:11], 1
	s_lshl_b64 s[18:19], s[6:7], 1
	s_lshl_b64 s[20:21], s[20:21], 1
	s_branch .LBB174_3
.LBB174_2:                              ;   in Loop: Header=BB174_3 Depth=1
	s_wait_xcnt 0x0
	s_or_b32 exec_lo, exec_lo, s2
	s_add_co_i32 s12, s12, 0x10000
	s_delay_alu instid0(SALU_CYCLE_1)
	s_cmp_lt_u32 s12, s3
	s_cbranch_scc0 .LBB174_19
.LBB174_3:                              ; =>This Loop Header: Depth=1
                                        ;     Child Loop BB174_5 Depth 2
	s_wait_dscnt 0x0
	v_dual_mov_b32 v1, 0 :: v_dual_lshlrev_b32 v0, 1, v0
	s_mov_b32 s24, exec_lo
	s_delay_alu instid0(VALU_DEP_1)
	v_cmpx_gt_i32_e64 s22, v0
	s_cbranch_execz .LBB174_7
; %bb.4:                                ;   in Loop: Header=BB174_3 Depth=1
	v_ashrrev_i32_e32 v1, 31, v0
	s_mul_u64 s[26:27], s[16:17], s[12:13]
	s_mul_u64 s[28:29], s[18:19], s[12:13]
	s_add_nc_u64 s[26:27], s[8:9], s[26:27]
	s_add_nc_u64 s[28:29], s[4:5], s[28:29]
	v_lshlrev_b64_e32 v[4:5], 1, v[0:1]
	v_mov_b32_e32 v1, 0
	s_mov_b32 s25, 0
	s_mov_b32 s2, 0
	s_delay_alu instid0(VALU_DEP_2)
	v_add_nc_u64_e32 v[2:3], s[26:27], v[4:5]
	v_add_nc_u64_e32 v[4:5], s[28:29], v[4:5]
.LBB174_5:                              ;   Parent Loop BB174_3 Depth=1
                                        ; =>  This Inner Loop Header: Depth=2
	global_load_b32 v14, v[2:3], off
	global_load_b32 v15, v[4:5], off
	v_add_nc_u32_e32 v0, 0x800, v0
	s_add_co_i32 s26, s2, 1
	s_cmp_gt_u32 s2, 30
	s_wait_xcnt 0x1
	v_add_nc_u64_e32 v[2:3], 0x1000, v[2:3]
	s_cselect_b32 s27, -1, 0
	v_cmp_le_i32_e64 s2, s22, v0
	s_wait_xcnt 0x0
	v_add_nc_u64_e32 v[4:5], 0x1000, v[4:5]
	s_or_b32 s2, s27, s2
	s_delay_alu instid0(SALU_CYCLE_1) | instskip(NEXT) | instid1(SALU_CYCLE_1)
	s_and_b32 s2, exec_lo, s2
	s_or_b32 s25, s2, s25
	s_mov_b32 s2, s26
	s_wait_loadcnt 0x0
	v_pk_mul_f16 v14, v14, v15
	s_delay_alu instid0(VALU_DEP_1) | instskip(SKIP_1) | instid1(VALU_DEP_1)
	v_add_f16_e32 v1, v1, v14
	v_lshrrev_b32_e32 v14, 16, v14
	v_add_f16_e32 v1, v1, v14
	s_and_not1_b32 exec_lo, exec_lo, s25
	s_cbranch_execnz .LBB174_5
; %bb.6:                                ;   in Loop: Header=BB174_3 Depth=1
	s_or_b32 exec_lo, exec_lo, s25
.LBB174_7:                              ;   in Loop: Header=BB174_3 Depth=1
	s_delay_alu instid0(SALU_CYCLE_1) | instskip(SKIP_2) | instid1(SALU_CYCLE_1)
	s_or_b32 exec_lo, exec_lo, s24
	v_cmp_eq_u32_e64 s2, s22, v0
	s_and_b32 s24, s23, s2
	s_and_saveexec_b32 s2, s24
	s_cbranch_execz .LBB174_9
; %bb.8:                                ;   in Loop: Header=BB174_3 Depth=1
	s_mul_u64 s[24:25], s[10:11], s[12:13]
	s_mul_u64 s[26:27], s[6:7], s[12:13]
	s_lshl_b64 s[24:25], s[24:25], 1
	s_lshl_b64 s[26:27], s[26:27], 1
	s_add_nc_u64 s[24:25], s[8:9], s[24:25]
	s_add_nc_u64 s[26:27], s[4:5], s[26:27]
	;; [unrolled: 1-line block ×4, first 2 shown]
	s_clause 0x1
	global_load_u16 v2, v13, s[24:25] offset:-2
	global_load_u16 v3, v13, s[26:27] offset:-2
	s_wait_loadcnt 0x0
	v_fmac_f16_e32 v1, v2, v3
.LBB174_9:                              ;   in Loop: Header=BB174_3 Depth=1
	s_wait_xcnt 0x0
	s_or_b32 exec_lo, exec_lo, s2
	s_and_saveexec_b32 s2, vcc_lo
; %bb.10:                               ;   in Loop: Header=BB174_3 Depth=1
	ds_store_b16 v6, v13
; %bb.11:                               ;   in Loop: Header=BB174_3 Depth=1
	s_or_b32 exec_lo, exec_lo, s2
	v_and_b32_e32 v2, 0xffff, v1
	s_wait_dscnt 0x0
	s_barrier_signal -1
	s_barrier_wait -1
	ds_bpermute_b32 v2, v7, v2
	s_wait_dscnt 0x0
	v_add_f16_e32 v1, v1, v2
	s_delay_alu instid0(VALU_DEP_1) | instskip(NEXT) | instid1(VALU_DEP_1)
	v_and_b32_e32 v3, 0xffff, v1
	v_and_or_b32 v2, 0xffff0000, v2, v3
	ds_bpermute_b32 v2, v8, v2
	s_wait_dscnt 0x0
	v_add_f16_e32 v1, v1, v2
	s_delay_alu instid0(VALU_DEP_1) | instskip(NEXT) | instid1(VALU_DEP_1)
	v_and_b32_e32 v3, 0xffff, v1
	v_and_or_b32 v2, 0xffff0000, v2, v3
	;; [unrolled: 6-line block ×4, first 2 shown]
	ds_bpermute_b32 v2, v11, v2
	s_and_saveexec_b32 s2, s0
	s_cbranch_execz .LBB174_13
; %bb.12:                               ;   in Loop: Header=BB174_3 Depth=1
	s_wait_dscnt 0x0
	v_add_f16_e32 v1, v1, v2
	ds_store_b16 v12, v1
.LBB174_13:                             ;   in Loop: Header=BB174_3 Depth=1
	s_or_b32 exec_lo, exec_lo, s2
	v_mov_b32_e32 v1, 0
	s_wait_dscnt 0x0
	s_barrier_signal -1
	s_barrier_wait -1
	s_and_saveexec_b32 s2, vcc_lo
	s_cbranch_execnz .LBB174_16
; %bb.14:                               ;   in Loop: Header=BB174_3 Depth=1
	s_or_b32 exec_lo, exec_lo, s2
	s_and_saveexec_b32 s2, vcc_lo
	s_cbranch_execnz .LBB174_17
.LBB174_15:                             ;   in Loop: Header=BB174_3 Depth=1
	s_or_b32 exec_lo, exec_lo, s2
	s_and_saveexec_b32 s2, s1
	s_cbranch_execz .LBB174_2
	s_branch .LBB174_18
.LBB174_16:                             ;   in Loop: Header=BB174_3 Depth=1
	ds_load_u16 v1, v6
	s_or_b32 exec_lo, exec_lo, s2
	s_and_saveexec_b32 s2, vcc_lo
	s_cbranch_execz .LBB174_15
.LBB174_17:                             ;   in Loop: Header=BB174_3 Depth=1
	s_wait_dscnt 0x0
	v_and_b32_e32 v2, 0xffff, v1
	ds_bpermute_b32 v2, v7, v2
	s_wait_dscnt 0x0
	v_add_f16_e32 v1, v1, v2
	s_delay_alu instid0(VALU_DEP_1) | instskip(NEXT) | instid1(VALU_DEP_1)
	v_and_b32_e32 v3, 0xffff, v1
	v_and_or_b32 v2, 0xffff0000, v2, v3
	ds_bpermute_b32 v2, v8, v2
	s_wait_dscnt 0x0
	v_add_f16_e32 v1, v1, v2
	s_delay_alu instid0(VALU_DEP_1) | instskip(NEXT) | instid1(VALU_DEP_1)
	v_and_b32_e32 v3, 0xffff, v1
	v_and_or_b32 v2, 0xffff0000, v2, v3
	ds_bpermute_b32 v2, v9, v2
	s_wait_dscnt 0x0
	v_add_f16_e32 v1, v1, v2
	s_delay_alu instid0(VALU_DEP_1) | instskip(NEXT) | instid1(VALU_DEP_1)
	v_and_b32_e32 v3, 0xffff, v1
	v_and_or_b32 v2, 0xffff0000, v2, v3
	ds_bpermute_b32 v2, v10, v2
	s_wait_dscnt 0x0
	v_add_f16_e32 v1, v1, v2
	s_delay_alu instid0(VALU_DEP_1) | instskip(NEXT) | instid1(VALU_DEP_1)
	v_and_b32_e32 v3, 0xffff, v1
	v_and_or_b32 v2, 0xffff0000, v2, v3
	ds_bpermute_b32 v2, v11, v2
	s_wait_dscnt 0x0
	v_add_f16_e32 v1, v1, v2
	s_or_b32 exec_lo, exec_lo, s2
	s_and_saveexec_b32 s2, s1
	s_cbranch_execz .LBB174_2
.LBB174_18:                             ;   in Loop: Header=BB174_3 Depth=1
	s_lshl_b64 s[24:25], s[12:13], 1
	s_delay_alu instid0(SALU_CYCLE_1)
	s_add_nc_u64 s[24:25], s[14:15], s[24:25]
	s_wait_dscnt 0x0
	global_store_b16 v13, v1, s[24:25]
	s_branch .LBB174_2
.LBB174_19:
	s_endpgm
	.section	.rodata,"a",@progbits
	.p2align	6, 0x0
	.amdhsa_kernel _ZL26rocblas_dot_kernel_inc1by2ILb1ELi1024ELi32ELb1EDF16_PKDF16_DF16_EviT4_llS2_lliPT5_PT3_
		.amdhsa_group_segment_fixed_size 64
		.amdhsa_private_segment_fixed_size 0
		.amdhsa_kernarg_size 80
		.amdhsa_user_sgpr_count 2
		.amdhsa_user_sgpr_dispatch_ptr 0
		.amdhsa_user_sgpr_queue_ptr 0
		.amdhsa_user_sgpr_kernarg_segment_ptr 1
		.amdhsa_user_sgpr_dispatch_id 0
		.amdhsa_user_sgpr_kernarg_preload_length 0
		.amdhsa_user_sgpr_kernarg_preload_offset 0
		.amdhsa_user_sgpr_private_segment_size 0
		.amdhsa_wavefront_size32 1
		.amdhsa_uses_dynamic_stack 0
		.amdhsa_enable_private_segment 0
		.amdhsa_system_sgpr_workgroup_id_x 1
		.amdhsa_system_sgpr_workgroup_id_y 0
		.amdhsa_system_sgpr_workgroup_id_z 1
		.amdhsa_system_sgpr_workgroup_info 0
		.amdhsa_system_vgpr_workitem_id 0
		.amdhsa_next_free_vgpr 16
		.amdhsa_next_free_sgpr 30
		.amdhsa_named_barrier_count 0
		.amdhsa_reserve_vcc 1
		.amdhsa_float_round_mode_32 0
		.amdhsa_float_round_mode_16_64 0
		.amdhsa_float_denorm_mode_32 3
		.amdhsa_float_denorm_mode_16_64 3
		.amdhsa_fp16_overflow 0
		.amdhsa_memory_ordered 1
		.amdhsa_forward_progress 1
		.amdhsa_inst_pref_size 10
		.amdhsa_round_robin_scheduling 0
		.amdhsa_exception_fp_ieee_invalid_op 0
		.amdhsa_exception_fp_denorm_src 0
		.amdhsa_exception_fp_ieee_div_zero 0
		.amdhsa_exception_fp_ieee_overflow 0
		.amdhsa_exception_fp_ieee_underflow 0
		.amdhsa_exception_fp_ieee_inexact 0
		.amdhsa_exception_int_div_zero 0
	.end_amdhsa_kernel
	.section	.text._ZL26rocblas_dot_kernel_inc1by2ILb1ELi1024ELi32ELb1EDF16_PKDF16_DF16_EviT4_llS2_lliPT5_PT3_,"axG",@progbits,_ZL26rocblas_dot_kernel_inc1by2ILb1ELi1024ELi32ELb1EDF16_PKDF16_DF16_EviT4_llS2_lliPT5_PT3_,comdat
.Lfunc_end174:
	.size	_ZL26rocblas_dot_kernel_inc1by2ILb1ELi1024ELi32ELb1EDF16_PKDF16_DF16_EviT4_llS2_lliPT5_PT3_, .Lfunc_end174-_ZL26rocblas_dot_kernel_inc1by2ILb1ELi1024ELi32ELb1EDF16_PKDF16_DF16_EviT4_llS2_lliPT5_PT3_
                                        ; -- End function
	.set _ZL26rocblas_dot_kernel_inc1by2ILb1ELi1024ELi32ELb1EDF16_PKDF16_DF16_EviT4_llS2_lliPT5_PT3_.num_vgpr, 16
	.set _ZL26rocblas_dot_kernel_inc1by2ILb1ELi1024ELi32ELb1EDF16_PKDF16_DF16_EviT4_llS2_lliPT5_PT3_.num_agpr, 0
	.set _ZL26rocblas_dot_kernel_inc1by2ILb1ELi1024ELi32ELb1EDF16_PKDF16_DF16_EviT4_llS2_lliPT5_PT3_.numbered_sgpr, 30
	.set _ZL26rocblas_dot_kernel_inc1by2ILb1ELi1024ELi32ELb1EDF16_PKDF16_DF16_EviT4_llS2_lliPT5_PT3_.num_named_barrier, 0
	.set _ZL26rocblas_dot_kernel_inc1by2ILb1ELi1024ELi32ELb1EDF16_PKDF16_DF16_EviT4_llS2_lliPT5_PT3_.private_seg_size, 0
	.set _ZL26rocblas_dot_kernel_inc1by2ILb1ELi1024ELi32ELb1EDF16_PKDF16_DF16_EviT4_llS2_lliPT5_PT3_.uses_vcc, 1
	.set _ZL26rocblas_dot_kernel_inc1by2ILb1ELi1024ELi32ELb1EDF16_PKDF16_DF16_EviT4_llS2_lliPT5_PT3_.uses_flat_scratch, 0
	.set _ZL26rocblas_dot_kernel_inc1by2ILb1ELi1024ELi32ELb1EDF16_PKDF16_DF16_EviT4_llS2_lliPT5_PT3_.has_dyn_sized_stack, 0
	.set _ZL26rocblas_dot_kernel_inc1by2ILb1ELi1024ELi32ELb1EDF16_PKDF16_DF16_EviT4_llS2_lliPT5_PT3_.has_recursion, 0
	.set _ZL26rocblas_dot_kernel_inc1by2ILb1ELi1024ELi32ELb1EDF16_PKDF16_DF16_EviT4_llS2_lliPT5_PT3_.has_indirect_call, 0
	.section	.AMDGPU.csdata,"",@progbits
; Kernel info:
; codeLenInByte = 1220
; TotalNumSgprs: 32
; NumVgprs: 16
; ScratchSize: 0
; MemoryBound: 0
; FloatMode: 240
; IeeeMode: 1
; LDSByteSize: 64 bytes/workgroup (compile time only)
; SGPRBlocks: 0
; VGPRBlocks: 0
; NumSGPRsForWavesPerEU: 32
; NumVGPRsForWavesPerEU: 16
; NamedBarCnt: 0
; Occupancy: 16
; WaveLimiterHint : 0
; COMPUTE_PGM_RSRC2:SCRATCH_EN: 0
; COMPUTE_PGM_RSRC2:USER_SGPR: 2
; COMPUTE_PGM_RSRC2:TRAP_HANDLER: 0
; COMPUTE_PGM_RSRC2:TGID_X_EN: 1
; COMPUTE_PGM_RSRC2:TGID_Y_EN: 0
; COMPUTE_PGM_RSRC2:TGID_Z_EN: 1
; COMPUTE_PGM_RSRC2:TIDIG_COMP_CNT: 0
	.section	.text._ZL18rocblas_dot_kernelIiLb1ELi1024ELi32ELb1EDF16_PKDF16_DF16_EviT5_lT_lS2_lS3_liPT6_PT4_,"axG",@progbits,_ZL18rocblas_dot_kernelIiLb1ELi1024ELi32ELb1EDF16_PKDF16_DF16_EviT5_lT_lS2_lS3_liPT6_PT4_,comdat
	.globl	_ZL18rocblas_dot_kernelIiLb1ELi1024ELi32ELb1EDF16_PKDF16_DF16_EviT5_lT_lS2_lS3_liPT6_PT4_ ; -- Begin function _ZL18rocblas_dot_kernelIiLb1ELi1024ELi32ELb1EDF16_PKDF16_DF16_EviT5_lT_lS2_lS3_liPT6_PT4_
	.p2align	8
	.type	_ZL18rocblas_dot_kernelIiLb1ELi1024ELi32ELb1EDF16_PKDF16_DF16_EviT5_lT_lS2_lS3_liPT6_PT4_,@function
_ZL18rocblas_dot_kernelIiLb1ELi1024ELi32ELb1EDF16_PKDF16_DF16_EviT5_lT_lS2_lS3_liPT6_PT4_: ; @_ZL18rocblas_dot_kernelIiLb1ELi1024ELi32ELb1EDF16_PKDF16_DF16_EviT5_lT_lS2_lS3_liPT6_PT4_
; %bb.0:
	s_load_b32 s3, s[0:1], 0x48
	s_bfe_u32 s2, ttmp6, 0x40014
	s_lshr_b32 s4, ttmp7, 16
	s_add_co_i32 s2, s2, 1
	s_bfe_u32 s5, ttmp6, 0x40008
	s_mul_i32 s2, s4, s2
	s_getreg_b32 s6, hwreg(HW_REG_IB_STS2, 6, 4)
	s_add_co_i32 s5, s5, s2
	s_cmp_eq_u32 s6, 0
	s_mov_b32 s17, 0
	s_cselect_b32 s16, s4, s5
	s_wait_kmcnt 0x0
	s_cmp_ge_u32 s16, s3
	s_cbranch_scc1 .LBB175_17
; %bb.1:
	v_mbcnt_lo_u32_b32 v3, -1, 0
	s_clause 0x6
	s_load_b32 s24, s[0:1], 0x18
	s_load_b96 s[12:14], s[0:1], 0x30
	s_load_b96 s[8:10], s[0:1], 0x58
	s_load_b128 s[4:7], s[0:1], 0x20
	s_load_b128 s[20:23], s[0:1], 0x8
	s_load_b32 s26, s[0:1], 0x0
	s_load_b64 s[28:29], s[0:1], 0x40
	v_and_b32_e32 v2, 31, v0
	s_wait_xcnt 0x0
	v_cmp_eq_u32_e64 s1, 0, v0
	v_cmp_gt_u32_e64 s0, 24, v3
	v_lshl_or_b32 v6, v3, 2, 64
	v_cmp_gt_u32_e32 vcc_lo, 32, v0
	v_mov_b32_e32 v12, 0
	s_delay_alu instid0(VALU_DEP_4) | instskip(SKIP_1) | instid1(VALU_DEP_2)
	v_cndmask_b32_e64 v4, 0, 8, s0
	v_cmp_gt_u32_e64 s0, 28, v3
	v_add_lshl_u32 v7, v4, v3, 2
	s_delay_alu instid0(VALU_DEP_2)
	v_cndmask_b32_e64 v5, 0, 4, s0
	v_cmp_gt_u32_e64 s0, 30, v3
	v_lshrrev_b32_e32 v4, 4, v0
	s_wait_kmcnt 0x0
	s_ashr_i32 s25, s24, 31
	s_lshl_b32 s10, s10, 10
	s_ashr_i32 s31, s14, 31
	v_cndmask_b32_e64 v9, 0, 2, s0
	v_cmp_ne_u32_e64 s0, 31, v3
	s_mov_b32 s30, s14
	s_lshl_b64 s[14:15], s[22:23], 1
	s_ashr_i32 s11, s10, 31
	v_dual_lshlrev_b32 v1, 1, v2 :: v_dual_bitop2_b32 v11, 62, v4 bitop3:0x40
	v_add_co_ci_u32_e64 v10, null, 0, v3, s0
	v_add_lshl_u32 v8, v5, v3, 2
	v_add_lshl_u32 v9, v9, v3, 2
	v_cmp_eq_u32_e64 s0, 0, v2
	s_delay_alu instid0(VALU_DEP_4)
	v_lshlrev_b32_e32 v10, 2, v10
	s_add_nc_u64 s[14:15], s[20:21], s[14:15]
	s_lshl_b64 s[18:19], s[24:25], 1
	s_mul_u64 s[20:21], s[24:25], s[10:11]
	s_lshl_b64 s[22:23], s[12:13], 1
	s_mul_u64 s[24:25], s[30:31], s[10:11]
	s_lshl_b64 s[4:5], s[4:5], 1
	s_lshl_b64 s[12:13], s[20:21], 1
	s_add_nc_u64 s[6:7], s[6:7], s[22:23]
	s_lshl_b64 s[20:21], s[30:31], 1
	s_lshl_b64 s[22:23], s[28:29], 1
	;; [unrolled: 1-line block ×3, first 2 shown]
	s_branch .LBB175_3
.LBB175_2:                              ;   in Loop: Header=BB175_3 Depth=1
	s_wait_xcnt 0x0
	s_or_b32 exec_lo, exec_lo, s2
	s_add_co_i32 s16, s16, 0x10000
	s_delay_alu instid0(SALU_CYCLE_1)
	s_cmp_lt_u32 s16, s3
	s_cbranch_scc0 .LBB175_17
.LBB175_3:                              ; =>This Loop Header: Depth=1
                                        ;     Child Loop BB175_5 Depth 2
	v_mov_b32_e32 v13, 0
	s_mov_b32 s11, exec_lo
	v_cmpx_gt_i32_e64 s26, v0
	s_cbranch_execz .LBB175_7
; %bb.4:                                ;   in Loop: Header=BB175_3 Depth=1
	s_mul_u64 s[28:29], s[4:5], s[16:17]
	s_mul_u64 s[30:31], s[22:23], s[16:17]
	s_add_nc_u64 s[28:29], s[14:15], s[28:29]
	s_add_nc_u64 s[30:31], s[6:7], s[30:31]
	s_wait_dscnt 0x0
	v_mad_nc_u64_u32 v[2:3], s18, v0, s[28:29]
	v_mad_nc_u64_u32 v[4:5], s20, v0, s[30:31]
	v_ashrrev_i32_e32 v13, 31, v0
	s_mov_b32 s27, 0
	s_mov_b32 s28, 0
	s_delay_alu instid0(VALU_DEP_3) | instskip(NEXT) | instid1(VALU_DEP_3)
	v_mad_u32 v3, s19, v0, v3
	v_mad_u32 v5, s21, v0, v5
	s_delay_alu instid0(VALU_DEP_2) | instskip(NEXT) | instid1(VALU_DEP_2)
	v_mad_u32 v3, s18, v13, v3
	v_mad_u32 v5, s20, v13, v5
	v_mov_b32_e32 v13, 0
.LBB175_5:                              ;   Parent Loop BB175_3 Depth=1
                                        ; =>  This Inner Loop Header: Depth=2
	global_load_u16 v14, v[4:5], off
	global_load_u16 v15, v[2:3], off
	v_add_nc_u32_e32 v0, s10, v0
	s_add_co_i32 s29, s28, 1
	s_cmp_gt_u32 s28, 30
	s_wait_xcnt 0x0
	v_add_nc_u64_e32 v[2:3], s[12:13], v[2:3]
	s_cselect_b32 s28, -1, 0
	v_cmp_le_i32_e64 s2, s26, v0
	v_add_nc_u64_e32 v[4:5], s[24:25], v[4:5]
	s_or_b32 s2, s28, s2
	s_mov_b32 s28, s29
	s_and_b32 s2, exec_lo, s2
	s_delay_alu instid0(SALU_CYCLE_1)
	s_or_b32 s27, s2, s27
	s_wait_loadcnt 0x0
	v_fmac_f16_e32 v13, v14, v15
	s_and_not1_b32 exec_lo, exec_lo, s27
	s_cbranch_execnz .LBB175_5
; %bb.6:                                ;   in Loop: Header=BB175_3 Depth=1
	s_or_b32 exec_lo, exec_lo, s27
.LBB175_7:                              ;   in Loop: Header=BB175_3 Depth=1
	s_delay_alu instid0(SALU_CYCLE_1)
	s_or_b32 exec_lo, exec_lo, s11
	s_and_saveexec_b32 s2, vcc_lo
; %bb.8:                                ;   in Loop: Header=BB175_3 Depth=1
	ds_store_b16 v1, v12
; %bb.9:                                ;   in Loop: Header=BB175_3 Depth=1
	s_or_b32 exec_lo, exec_lo, s2
	s_wait_dscnt 0x0
	v_and_b32_e32 v2, 0xffff, v13
	s_wait_dscnt 0x0
	s_barrier_signal -1
	s_barrier_wait -1
	ds_bpermute_b32 v2, v6, v2
	s_wait_dscnt 0x0
	v_add_f16_e32 v3, v13, v2
	s_delay_alu instid0(VALU_DEP_1) | instskip(NEXT) | instid1(VALU_DEP_1)
	v_and_b32_e32 v4, 0xffff, v3
	v_and_or_b32 v2, 0xffff0000, v2, v4
	ds_bpermute_b32 v2, v7, v2
	s_wait_dscnt 0x0
	v_add_f16_e32 v3, v3, v2
	s_delay_alu instid0(VALU_DEP_1) | instskip(NEXT) | instid1(VALU_DEP_1)
	v_and_b32_e32 v4, 0xffff, v3
	v_and_or_b32 v2, 0xffff0000, v2, v4
	;; [unrolled: 6-line block ×4, first 2 shown]
	ds_bpermute_b32 v3, v10, v3
	s_and_saveexec_b32 s2, s0
	s_cbranch_execz .LBB175_11
; %bb.10:                               ;   in Loop: Header=BB175_3 Depth=1
	s_wait_dscnt 0x0
	v_add_f16_e32 v2, v2, v3
	ds_store_b16 v11, v2
.LBB175_11:                             ;   in Loop: Header=BB175_3 Depth=1
	s_or_b32 exec_lo, exec_lo, s2
	v_mov_b32_e32 v2, 0
	s_wait_dscnt 0x0
	s_barrier_signal -1
	s_barrier_wait -1
	s_and_saveexec_b32 s2, vcc_lo
	s_cbranch_execnz .LBB175_14
; %bb.12:                               ;   in Loop: Header=BB175_3 Depth=1
	s_or_b32 exec_lo, exec_lo, s2
	s_and_saveexec_b32 s2, vcc_lo
	s_cbranch_execnz .LBB175_15
.LBB175_13:                             ;   in Loop: Header=BB175_3 Depth=1
	s_or_b32 exec_lo, exec_lo, s2
	s_and_saveexec_b32 s2, s1
	s_cbranch_execz .LBB175_2
	s_branch .LBB175_16
.LBB175_14:                             ;   in Loop: Header=BB175_3 Depth=1
	ds_load_u16 v2, v1
	s_or_b32 exec_lo, exec_lo, s2
	s_and_saveexec_b32 s2, vcc_lo
	s_cbranch_execz .LBB175_13
.LBB175_15:                             ;   in Loop: Header=BB175_3 Depth=1
	s_wait_dscnt 0x0
	v_and_b32_e32 v3, 0xffff, v2
	ds_bpermute_b32 v3, v6, v3
	s_wait_dscnt 0x0
	v_add_f16_e32 v2, v2, v3
	s_delay_alu instid0(VALU_DEP_1) | instskip(NEXT) | instid1(VALU_DEP_1)
	v_and_b32_e32 v4, 0xffff, v2
	v_and_or_b32 v3, 0xffff0000, v3, v4
	ds_bpermute_b32 v3, v7, v3
	s_wait_dscnt 0x0
	v_add_f16_e32 v2, v2, v3
	s_delay_alu instid0(VALU_DEP_1) | instskip(NEXT) | instid1(VALU_DEP_1)
	v_and_b32_e32 v4, 0xffff, v2
	v_and_or_b32 v3, 0xffff0000, v3, v4
	;; [unrolled: 6-line block ×4, first 2 shown]
	ds_bpermute_b32 v3, v10, v3
	s_wait_dscnt 0x0
	v_add_f16_e32 v2, v2, v3
	s_or_b32 exec_lo, exec_lo, s2
	s_and_saveexec_b32 s2, s1
	s_cbranch_execz .LBB175_2
.LBB175_16:                             ;   in Loop: Header=BB175_3 Depth=1
	s_lshl_b64 s[28:29], s[16:17], 1
	s_delay_alu instid0(SALU_CYCLE_1)
	s_add_nc_u64 s[28:29], s[8:9], s[28:29]
	s_wait_dscnt 0x0
	global_store_b16 v12, v2, s[28:29]
	s_branch .LBB175_2
.LBB175_17:
	s_endpgm
	.section	.rodata,"a",@progbits
	.p2align	6, 0x0
	.amdhsa_kernel _ZL18rocblas_dot_kernelIiLb1ELi1024ELi32ELb1EDF16_PKDF16_DF16_EviT5_lT_lS2_lS3_liPT6_PT4_
		.amdhsa_group_segment_fixed_size 64
		.amdhsa_private_segment_fixed_size 0
		.amdhsa_kernarg_size 352
		.amdhsa_user_sgpr_count 2
		.amdhsa_user_sgpr_dispatch_ptr 0
		.amdhsa_user_sgpr_queue_ptr 0
		.amdhsa_user_sgpr_kernarg_segment_ptr 1
		.amdhsa_user_sgpr_dispatch_id 0
		.amdhsa_user_sgpr_kernarg_preload_length 0
		.amdhsa_user_sgpr_kernarg_preload_offset 0
		.amdhsa_user_sgpr_private_segment_size 0
		.amdhsa_wavefront_size32 1
		.amdhsa_uses_dynamic_stack 0
		.amdhsa_enable_private_segment 0
		.amdhsa_system_sgpr_workgroup_id_x 1
		.amdhsa_system_sgpr_workgroup_id_y 0
		.amdhsa_system_sgpr_workgroup_id_z 1
		.amdhsa_system_sgpr_workgroup_info 0
		.amdhsa_system_vgpr_workitem_id 0
		.amdhsa_next_free_vgpr 16
		.amdhsa_next_free_sgpr 32
		.amdhsa_named_barrier_count 0
		.amdhsa_reserve_vcc 1
		.amdhsa_float_round_mode_32 0
		.amdhsa_float_round_mode_16_64 0
		.amdhsa_float_denorm_mode_32 3
		.amdhsa_float_denorm_mode_16_64 3
		.amdhsa_fp16_overflow 0
		.amdhsa_memory_ordered 1
		.amdhsa_forward_progress 1
		.amdhsa_inst_pref_size 10
		.amdhsa_round_robin_scheduling 0
		.amdhsa_exception_fp_ieee_invalid_op 0
		.amdhsa_exception_fp_denorm_src 0
		.amdhsa_exception_fp_ieee_div_zero 0
		.amdhsa_exception_fp_ieee_overflow 0
		.amdhsa_exception_fp_ieee_underflow 0
		.amdhsa_exception_fp_ieee_inexact 0
		.amdhsa_exception_int_div_zero 0
	.end_amdhsa_kernel
	.section	.text._ZL18rocblas_dot_kernelIiLb1ELi1024ELi32ELb1EDF16_PKDF16_DF16_EviT5_lT_lS2_lS3_liPT6_PT4_,"axG",@progbits,_ZL18rocblas_dot_kernelIiLb1ELi1024ELi32ELb1EDF16_PKDF16_DF16_EviT5_lT_lS2_lS3_liPT6_PT4_,comdat
.Lfunc_end175:
	.size	_ZL18rocblas_dot_kernelIiLb1ELi1024ELi32ELb1EDF16_PKDF16_DF16_EviT5_lT_lS2_lS3_liPT6_PT4_, .Lfunc_end175-_ZL18rocblas_dot_kernelIiLb1ELi1024ELi32ELb1EDF16_PKDF16_DF16_EviT5_lT_lS2_lS3_liPT6_PT4_
                                        ; -- End function
	.set _ZL18rocblas_dot_kernelIiLb1ELi1024ELi32ELb1EDF16_PKDF16_DF16_EviT5_lT_lS2_lS3_liPT6_PT4_.num_vgpr, 16
	.set _ZL18rocblas_dot_kernelIiLb1ELi1024ELi32ELb1EDF16_PKDF16_DF16_EviT5_lT_lS2_lS3_liPT6_PT4_.num_agpr, 0
	.set _ZL18rocblas_dot_kernelIiLb1ELi1024ELi32ELb1EDF16_PKDF16_DF16_EviT5_lT_lS2_lS3_liPT6_PT4_.numbered_sgpr, 32
	.set _ZL18rocblas_dot_kernelIiLb1ELi1024ELi32ELb1EDF16_PKDF16_DF16_EviT5_lT_lS2_lS3_liPT6_PT4_.num_named_barrier, 0
	.set _ZL18rocblas_dot_kernelIiLb1ELi1024ELi32ELb1EDF16_PKDF16_DF16_EviT5_lT_lS2_lS3_liPT6_PT4_.private_seg_size, 0
	.set _ZL18rocblas_dot_kernelIiLb1ELi1024ELi32ELb1EDF16_PKDF16_DF16_EviT5_lT_lS2_lS3_liPT6_PT4_.uses_vcc, 1
	.set _ZL18rocblas_dot_kernelIiLb1ELi1024ELi32ELb1EDF16_PKDF16_DF16_EviT5_lT_lS2_lS3_liPT6_PT4_.uses_flat_scratch, 0
	.set _ZL18rocblas_dot_kernelIiLb1ELi1024ELi32ELb1EDF16_PKDF16_DF16_EviT5_lT_lS2_lS3_liPT6_PT4_.has_dyn_sized_stack, 0
	.set _ZL18rocblas_dot_kernelIiLb1ELi1024ELi32ELb1EDF16_PKDF16_DF16_EviT5_lT_lS2_lS3_liPT6_PT4_.has_recursion, 0
	.set _ZL18rocblas_dot_kernelIiLb1ELi1024ELi32ELb1EDF16_PKDF16_DF16_EviT5_lT_lS2_lS3_liPT6_PT4_.has_indirect_call, 0
	.section	.AMDGPU.csdata,"",@progbits
; Kernel info:
; codeLenInByte = 1164
; TotalNumSgprs: 34
; NumVgprs: 16
; ScratchSize: 0
; MemoryBound: 0
; FloatMode: 240
; IeeeMode: 1
; LDSByteSize: 64 bytes/workgroup (compile time only)
; SGPRBlocks: 0
; VGPRBlocks: 0
; NumSGPRsForWavesPerEU: 34
; NumVGPRsForWavesPerEU: 16
; NamedBarCnt: 0
; Occupancy: 16
; WaveLimiterHint : 0
; COMPUTE_PGM_RSRC2:SCRATCH_EN: 0
; COMPUTE_PGM_RSRC2:USER_SGPR: 2
; COMPUTE_PGM_RSRC2:TRAP_HANDLER: 0
; COMPUTE_PGM_RSRC2:TGID_X_EN: 1
; COMPUTE_PGM_RSRC2:TGID_Y_EN: 0
; COMPUTE_PGM_RSRC2:TGID_Z_EN: 1
; COMPUTE_PGM_RSRC2:TIDIG_COMP_CNT: 0
	.section	.text._ZL24rocblas_dot_kernel_magsqIiLb1ELi1024ELi32ELb1EDF16_PKDF16_DF16_EviT5_lT_liPT6_PT4_,"axG",@progbits,_ZL24rocblas_dot_kernel_magsqIiLb1ELi1024ELi32ELb1EDF16_PKDF16_DF16_EviT5_lT_liPT6_PT4_,comdat
	.globl	_ZL24rocblas_dot_kernel_magsqIiLb1ELi1024ELi32ELb1EDF16_PKDF16_DF16_EviT5_lT_liPT6_PT4_ ; -- Begin function _ZL24rocblas_dot_kernel_magsqIiLb1ELi1024ELi32ELb1EDF16_PKDF16_DF16_EviT5_lT_liPT6_PT4_
	.p2align	8
	.type	_ZL24rocblas_dot_kernel_magsqIiLb1ELi1024ELi32ELb1EDF16_PKDF16_DF16_EviT5_lT_liPT6_PT4_,@function
_ZL24rocblas_dot_kernel_magsqIiLb1ELi1024ELi32ELb1EDF16_PKDF16_DF16_EviT5_lT_liPT6_PT4_: ; @_ZL24rocblas_dot_kernel_magsqIiLb1ELi1024ELi32ELb1EDF16_PKDF16_DF16_EviT5_lT_liPT6_PT4_
; %bb.0:
	s_load_b32 s3, s[0:1], 0x28
	s_bfe_u32 s2, ttmp6, 0x40014
	s_lshr_b32 s4, ttmp7, 16
	s_add_co_i32 s2, s2, 1
	s_bfe_u32 s5, ttmp6, 0x40008
	s_mul_i32 s2, s4, s2
	s_getreg_b32 s6, hwreg(HW_REG_IB_STS2, 6, 4)
	s_add_co_i32 s5, s5, s2
	s_cmp_eq_u32 s6, 0
	s_mov_b32 s9, 0
	s_cselect_b32 s8, s4, s5
	s_wait_kmcnt 0x0
	s_cmp_ge_u32 s8, s3
	s_cbranch_scc1 .LBB176_17
; %bb.1:
	v_mbcnt_lo_u32_b32 v3, -1, 0
	s_clause 0x4
	s_load_b32 s16, s[0:1], 0x18
	s_load_b96 s[4:6], s[0:1], 0x38
	s_load_b128 s[12:15], s[0:1], 0x8
	s_load_b64 s[20:21], s[0:1], 0x20
	s_load_b32 s18, s[0:1], 0x0
	v_dual_lshrrev_b32 v9, 4, v0 :: v_dual_bitop2_b32 v2, 31, v0 bitop3:0x40
	s_wait_xcnt 0x0
	v_cmp_gt_u32_e64 s0, 24, v3
	v_lshl_or_b32 v4, v3, 2, 64
	v_cmp_eq_u32_e64 s1, 0, v0
	v_dual_mov_b32 v10, 0 :: v_dual_bitop2_b32 v9, 62, v9 bitop3:0x40
	s_delay_alu instid0(VALU_DEP_4) | instskip(SKIP_2) | instid1(VALU_DEP_3)
	v_cndmask_b32_e64 v5, 0, 8, s0
	v_cmp_gt_u32_e64 s0, 28, v3
	v_cmp_gt_u32_e32 vcc_lo, 32, v0
	v_add_lshl_u32 v5, v5, v3, 2
	s_delay_alu instid0(VALU_DEP_3)
	v_cndmask_b32_e64 v6, 0, 4, s0
	v_cmp_gt_u32_e64 s0, 30, v3
	s_wait_kmcnt 0x0
	s_lshl_b64 s[10:11], s[14:15], 1
	s_lshl_b32 s6, s6, 10
	v_cndmask_b32_e64 v7, 0, 2, s0
	v_cmp_ne_u32_e64 s0, 31, v3
	s_ashr_i32 s17, s16, 31
	s_ashr_i32 s7, s6, 31
	v_add_lshl_u32 v6, v6, v3, 2
	v_add_lshl_u32 v7, v7, v3, 2
	v_add_co_ci_u32_e64 v8, null, 0, v3, s0
	v_lshlrev_b32_e32 v1, 1, v2
	v_cmp_eq_u32_e64 s0, 0, v2
	s_add_nc_u64 s[10:11], s[12:13], s[10:11]
	v_lshlrev_b32_e32 v8, 2, v8
	s_lshl_b64 s[12:13], s[16:17], 1
	s_mul_u64 s[16:17], s[16:17], s[6:7]
	s_lshl_b64 s[14:15], s[20:21], 1
	s_lshl_b64 s[16:17], s[16:17], 1
	s_branch .LBB176_3
.LBB176_2:                              ;   in Loop: Header=BB176_3 Depth=1
	s_wait_xcnt 0x0
	s_or_b32 exec_lo, exec_lo, s2
	s_add_co_i32 s8, s8, 0x10000
	s_delay_alu instid0(SALU_CYCLE_1)
	s_cmp_lt_u32 s8, s3
	s_cbranch_scc0 .LBB176_17
.LBB176_3:                              ; =>This Loop Header: Depth=1
                                        ;     Child Loop BB176_5 Depth 2
	v_mov_b32_e32 v11, 0
	s_mov_b32 s7, exec_lo
	v_cmpx_gt_i32_e64 s18, v0
	s_cbranch_execz .LBB176_7
; %bb.4:                                ;   in Loop: Header=BB176_3 Depth=1
	s_mul_u64 s[20:21], s[14:15], s[8:9]
	v_ashrrev_i32_e32 v11, 31, v0
	s_add_nc_u64 s[20:21], s[10:11], s[20:21]
	s_mov_b32 s19, 0
	s_wait_dscnt 0x0
	v_mad_nc_u64_u32 v[2:3], s12, v0, s[20:21]
	s_mov_b32 s20, 0
	s_delay_alu instid0(VALU_DEP_1) | instskip(NEXT) | instid1(VALU_DEP_1)
	v_mad_u32 v3, s13, v0, v3
	v_mad_u32 v3, s12, v11, v3
	v_mov_b32_e32 v11, 0
.LBB176_5:                              ;   Parent Loop BB176_3 Depth=1
                                        ; =>  This Inner Loop Header: Depth=2
	global_load_u16 v12, v[2:3], off
	v_add_nc_u32_e32 v0, s6, v0
	s_add_co_i32 s21, s20, 1
	s_cmp_gt_u32 s20, 30
	s_wait_xcnt 0x0
	v_add_nc_u64_e32 v[2:3], s[16:17], v[2:3]
	s_cselect_b32 s20, -1, 0
	v_cmp_le_i32_e64 s2, s18, v0
	s_or_b32 s2, s20, s2
	s_mov_b32 s20, s21
	s_and_b32 s2, exec_lo, s2
	s_delay_alu instid0(SALU_CYCLE_1)
	s_or_b32 s19, s2, s19
	s_wait_loadcnt 0x0
	v_fmac_f16_e32 v11, v12, v12
	s_and_not1_b32 exec_lo, exec_lo, s19
	s_cbranch_execnz .LBB176_5
; %bb.6:                                ;   in Loop: Header=BB176_3 Depth=1
	s_or_b32 exec_lo, exec_lo, s19
.LBB176_7:                              ;   in Loop: Header=BB176_3 Depth=1
	s_delay_alu instid0(SALU_CYCLE_1)
	s_or_b32 exec_lo, exec_lo, s7
	s_and_saveexec_b32 s2, vcc_lo
; %bb.8:                                ;   in Loop: Header=BB176_3 Depth=1
	ds_store_b16 v1, v10
; %bb.9:                                ;   in Loop: Header=BB176_3 Depth=1
	s_or_b32 exec_lo, exec_lo, s2
	s_wait_dscnt 0x0
	v_and_b32_e32 v2, 0xffff, v11
	s_wait_dscnt 0x0
	s_barrier_signal -1
	s_barrier_wait -1
	ds_bpermute_b32 v2, v4, v2
	s_wait_dscnt 0x0
	v_add_f16_e32 v3, v11, v2
	s_delay_alu instid0(VALU_DEP_1) | instskip(NEXT) | instid1(VALU_DEP_1)
	v_and_b32_e32 v11, 0xffff, v3
	v_and_or_b32 v2, 0xffff0000, v2, v11
	ds_bpermute_b32 v2, v5, v2
	s_wait_dscnt 0x0
	v_add_f16_e32 v3, v3, v2
	s_delay_alu instid0(VALU_DEP_1) | instskip(NEXT) | instid1(VALU_DEP_1)
	v_and_b32_e32 v11, 0xffff, v3
	v_and_or_b32 v2, 0xffff0000, v2, v11
	;; [unrolled: 6-line block ×4, first 2 shown]
	ds_bpermute_b32 v3, v8, v3
	s_and_saveexec_b32 s2, s0
	s_cbranch_execz .LBB176_11
; %bb.10:                               ;   in Loop: Header=BB176_3 Depth=1
	s_wait_dscnt 0x0
	v_add_f16_e32 v2, v2, v3
	ds_store_b16 v9, v2
.LBB176_11:                             ;   in Loop: Header=BB176_3 Depth=1
	s_or_b32 exec_lo, exec_lo, s2
	v_mov_b32_e32 v2, 0
	s_wait_dscnt 0x0
	s_barrier_signal -1
	s_barrier_wait -1
	s_and_saveexec_b32 s2, vcc_lo
	s_cbranch_execnz .LBB176_14
; %bb.12:                               ;   in Loop: Header=BB176_3 Depth=1
	s_or_b32 exec_lo, exec_lo, s2
	s_and_saveexec_b32 s2, vcc_lo
	s_cbranch_execnz .LBB176_15
.LBB176_13:                             ;   in Loop: Header=BB176_3 Depth=1
	s_or_b32 exec_lo, exec_lo, s2
	s_and_saveexec_b32 s2, s1
	s_cbranch_execz .LBB176_2
	s_branch .LBB176_16
.LBB176_14:                             ;   in Loop: Header=BB176_3 Depth=1
	ds_load_u16 v2, v1
	s_or_b32 exec_lo, exec_lo, s2
	s_and_saveexec_b32 s2, vcc_lo
	s_cbranch_execz .LBB176_13
.LBB176_15:                             ;   in Loop: Header=BB176_3 Depth=1
	s_wait_dscnt 0x0
	v_and_b32_e32 v3, 0xffff, v2
	ds_bpermute_b32 v3, v4, v3
	s_wait_dscnt 0x0
	v_add_f16_e32 v2, v2, v3
	s_delay_alu instid0(VALU_DEP_1) | instskip(NEXT) | instid1(VALU_DEP_1)
	v_and_b32_e32 v11, 0xffff, v2
	v_and_or_b32 v3, 0xffff0000, v3, v11
	ds_bpermute_b32 v3, v5, v3
	s_wait_dscnt 0x0
	v_add_f16_e32 v2, v2, v3
	s_delay_alu instid0(VALU_DEP_1) | instskip(NEXT) | instid1(VALU_DEP_1)
	v_and_b32_e32 v11, 0xffff, v2
	v_and_or_b32 v3, 0xffff0000, v3, v11
	;; [unrolled: 6-line block ×4, first 2 shown]
	ds_bpermute_b32 v3, v8, v3
	s_wait_dscnt 0x0
	v_add_f16_e32 v2, v2, v3
	s_or_b32 exec_lo, exec_lo, s2
	s_and_saveexec_b32 s2, s1
	s_cbranch_execz .LBB176_2
.LBB176_16:                             ;   in Loop: Header=BB176_3 Depth=1
	s_lshl_b64 s[20:21], s[8:9], 1
	s_delay_alu instid0(SALU_CYCLE_1)
	s_add_nc_u64 s[20:21], s[4:5], s[20:21]
	s_wait_dscnt 0x0
	global_store_b16 v10, v2, s[20:21]
	s_branch .LBB176_2
.LBB176_17:
	s_endpgm
	.section	.rodata,"a",@progbits
	.p2align	6, 0x0
	.amdhsa_kernel _ZL24rocblas_dot_kernel_magsqIiLb1ELi1024ELi32ELb1EDF16_PKDF16_DF16_EviT5_lT_liPT6_PT4_
		.amdhsa_group_segment_fixed_size 64
		.amdhsa_private_segment_fixed_size 0
		.amdhsa_kernarg_size 320
		.amdhsa_user_sgpr_count 2
		.amdhsa_user_sgpr_dispatch_ptr 0
		.amdhsa_user_sgpr_queue_ptr 0
		.amdhsa_user_sgpr_kernarg_segment_ptr 1
		.amdhsa_user_sgpr_dispatch_id 0
		.amdhsa_user_sgpr_kernarg_preload_length 0
		.amdhsa_user_sgpr_kernarg_preload_offset 0
		.amdhsa_user_sgpr_private_segment_size 0
		.amdhsa_wavefront_size32 1
		.amdhsa_uses_dynamic_stack 0
		.amdhsa_enable_private_segment 0
		.amdhsa_system_sgpr_workgroup_id_x 1
		.amdhsa_system_sgpr_workgroup_id_y 0
		.amdhsa_system_sgpr_workgroup_id_z 1
		.amdhsa_system_sgpr_workgroup_info 0
		.amdhsa_system_vgpr_workitem_id 0
		.amdhsa_next_free_vgpr 13
		.amdhsa_next_free_sgpr 22
		.amdhsa_named_barrier_count 0
		.amdhsa_reserve_vcc 1
		.amdhsa_float_round_mode_32 0
		.amdhsa_float_round_mode_16_64 0
		.amdhsa_float_denorm_mode_32 3
		.amdhsa_float_denorm_mode_16_64 3
		.amdhsa_fp16_overflow 0
		.amdhsa_memory_ordered 1
		.amdhsa_forward_progress 1
		.amdhsa_inst_pref_size 9
		.amdhsa_round_robin_scheduling 0
		.amdhsa_exception_fp_ieee_invalid_op 0
		.amdhsa_exception_fp_denorm_src 0
		.amdhsa_exception_fp_ieee_div_zero 0
		.amdhsa_exception_fp_ieee_overflow 0
		.amdhsa_exception_fp_ieee_underflow 0
		.amdhsa_exception_fp_ieee_inexact 0
		.amdhsa_exception_int_div_zero 0
	.end_amdhsa_kernel
	.section	.text._ZL24rocblas_dot_kernel_magsqIiLb1ELi1024ELi32ELb1EDF16_PKDF16_DF16_EviT5_lT_liPT6_PT4_,"axG",@progbits,_ZL24rocblas_dot_kernel_magsqIiLb1ELi1024ELi32ELb1EDF16_PKDF16_DF16_EviT5_lT_liPT6_PT4_,comdat
.Lfunc_end176:
	.size	_ZL24rocblas_dot_kernel_magsqIiLb1ELi1024ELi32ELb1EDF16_PKDF16_DF16_EviT5_lT_liPT6_PT4_, .Lfunc_end176-_ZL24rocblas_dot_kernel_magsqIiLb1ELi1024ELi32ELb1EDF16_PKDF16_DF16_EviT5_lT_liPT6_PT4_
                                        ; -- End function
	.set _ZL24rocblas_dot_kernel_magsqIiLb1ELi1024ELi32ELb1EDF16_PKDF16_DF16_EviT5_lT_liPT6_PT4_.num_vgpr, 13
	.set _ZL24rocblas_dot_kernel_magsqIiLb1ELi1024ELi32ELb1EDF16_PKDF16_DF16_EviT5_lT_liPT6_PT4_.num_agpr, 0
	.set _ZL24rocblas_dot_kernel_magsqIiLb1ELi1024ELi32ELb1EDF16_PKDF16_DF16_EviT5_lT_liPT6_PT4_.numbered_sgpr, 22
	.set _ZL24rocblas_dot_kernel_magsqIiLb1ELi1024ELi32ELb1EDF16_PKDF16_DF16_EviT5_lT_liPT6_PT4_.num_named_barrier, 0
	.set _ZL24rocblas_dot_kernel_magsqIiLb1ELi1024ELi32ELb1EDF16_PKDF16_DF16_EviT5_lT_liPT6_PT4_.private_seg_size, 0
	.set _ZL24rocblas_dot_kernel_magsqIiLb1ELi1024ELi32ELb1EDF16_PKDF16_DF16_EviT5_lT_liPT6_PT4_.uses_vcc, 1
	.set _ZL24rocblas_dot_kernel_magsqIiLb1ELi1024ELi32ELb1EDF16_PKDF16_DF16_EviT5_lT_liPT6_PT4_.uses_flat_scratch, 0
	.set _ZL24rocblas_dot_kernel_magsqIiLb1ELi1024ELi32ELb1EDF16_PKDF16_DF16_EviT5_lT_liPT6_PT4_.has_dyn_sized_stack, 0
	.set _ZL24rocblas_dot_kernel_magsqIiLb1ELi1024ELi32ELb1EDF16_PKDF16_DF16_EviT5_lT_liPT6_PT4_.has_recursion, 0
	.set _ZL24rocblas_dot_kernel_magsqIiLb1ELi1024ELi32ELb1EDF16_PKDF16_DF16_EviT5_lT_liPT6_PT4_.has_indirect_call, 0
	.section	.AMDGPU.csdata,"",@progbits
; Kernel info:
; codeLenInByte = 1064
; TotalNumSgprs: 24
; NumVgprs: 13
; ScratchSize: 0
; MemoryBound: 0
; FloatMode: 240
; IeeeMode: 1
; LDSByteSize: 64 bytes/workgroup (compile time only)
; SGPRBlocks: 0
; VGPRBlocks: 0
; NumSGPRsForWavesPerEU: 24
; NumVGPRsForWavesPerEU: 13
; NamedBarCnt: 0
; Occupancy: 16
; WaveLimiterHint : 0
; COMPUTE_PGM_RSRC2:SCRATCH_EN: 0
; COMPUTE_PGM_RSRC2:USER_SGPR: 2
; COMPUTE_PGM_RSRC2:TRAP_HANDLER: 0
; COMPUTE_PGM_RSRC2:TGID_X_EN: 1
; COMPUTE_PGM_RSRC2:TGID_Y_EN: 0
; COMPUTE_PGM_RSRC2:TGID_Z_EN: 1
; COMPUTE_PGM_RSRC2:TIDIG_COMP_CNT: 0
	.section	.text._ZL38rocblas_dot_kernel_gfx942_float_doubleIiLi1024EDF16_PKDF16_DF16_EviT2_lT_lS2_lS3_lPT3_PT1_,"axG",@progbits,_ZL38rocblas_dot_kernel_gfx942_float_doubleIiLi1024EDF16_PKDF16_DF16_EviT2_lT_lS2_lS3_lPT3_PT1_,comdat
	.globl	_ZL38rocblas_dot_kernel_gfx942_float_doubleIiLi1024EDF16_PKDF16_DF16_EviT2_lT_lS2_lS3_lPT3_PT1_ ; -- Begin function _ZL38rocblas_dot_kernel_gfx942_float_doubleIiLi1024EDF16_PKDF16_DF16_EviT2_lT_lS2_lS3_lPT3_PT1_
	.p2align	8
	.type	_ZL38rocblas_dot_kernel_gfx942_float_doubleIiLi1024EDF16_PKDF16_DF16_EviT2_lT_lS2_lS3_lPT3_PT1_,@function
_ZL38rocblas_dot_kernel_gfx942_float_doubleIiLi1024EDF16_PKDF16_DF16_EviT2_lT_lS2_lS3_lPT3_PT1_: ; @_ZL38rocblas_dot_kernel_gfx942_float_doubleIiLi1024EDF16_PKDF16_DF16_EviT2_lT_lS2_lS3_lPT3_PT1_
; %bb.0:
	s_endpgm
	.section	.rodata,"a",@progbits
	.p2align	6, 0x0
	.amdhsa_kernel _ZL38rocblas_dot_kernel_gfx942_float_doubleIiLi1024EDF16_PKDF16_DF16_EviT2_lT_lS2_lS3_lPT3_PT1_
		.amdhsa_group_segment_fixed_size 0
		.amdhsa_private_segment_fixed_size 0
		.amdhsa_kernarg_size 88
		.amdhsa_user_sgpr_count 2
		.amdhsa_user_sgpr_dispatch_ptr 0
		.amdhsa_user_sgpr_queue_ptr 0
		.amdhsa_user_sgpr_kernarg_segment_ptr 1
		.amdhsa_user_sgpr_dispatch_id 0
		.amdhsa_user_sgpr_kernarg_preload_length 0
		.amdhsa_user_sgpr_kernarg_preload_offset 0
		.amdhsa_user_sgpr_private_segment_size 0
		.amdhsa_wavefront_size32 1
		.amdhsa_uses_dynamic_stack 0
		.amdhsa_enable_private_segment 0
		.amdhsa_system_sgpr_workgroup_id_x 1
		.amdhsa_system_sgpr_workgroup_id_y 0
		.amdhsa_system_sgpr_workgroup_id_z 0
		.amdhsa_system_sgpr_workgroup_info 0
		.amdhsa_system_vgpr_workitem_id 0
		.amdhsa_next_free_vgpr 1
		.amdhsa_next_free_sgpr 1
		.amdhsa_named_barrier_count 0
		.amdhsa_reserve_vcc 0
		.amdhsa_float_round_mode_32 0
		.amdhsa_float_round_mode_16_64 0
		.amdhsa_float_denorm_mode_32 3
		.amdhsa_float_denorm_mode_16_64 3
		.amdhsa_fp16_overflow 0
		.amdhsa_memory_ordered 1
		.amdhsa_forward_progress 1
		.amdhsa_inst_pref_size 1
		.amdhsa_round_robin_scheduling 0
		.amdhsa_exception_fp_ieee_invalid_op 0
		.amdhsa_exception_fp_denorm_src 0
		.amdhsa_exception_fp_ieee_div_zero 0
		.amdhsa_exception_fp_ieee_overflow 0
		.amdhsa_exception_fp_ieee_underflow 0
		.amdhsa_exception_fp_ieee_inexact 0
		.amdhsa_exception_int_div_zero 0
	.end_amdhsa_kernel
	.section	.text._ZL38rocblas_dot_kernel_gfx942_float_doubleIiLi1024EDF16_PKDF16_DF16_EviT2_lT_lS2_lS3_lPT3_PT1_,"axG",@progbits,_ZL38rocblas_dot_kernel_gfx942_float_doubleIiLi1024EDF16_PKDF16_DF16_EviT2_lT_lS2_lS3_lPT3_PT1_,comdat
.Lfunc_end177:
	.size	_ZL38rocblas_dot_kernel_gfx942_float_doubleIiLi1024EDF16_PKDF16_DF16_EviT2_lT_lS2_lS3_lPT3_PT1_, .Lfunc_end177-_ZL38rocblas_dot_kernel_gfx942_float_doubleIiLi1024EDF16_PKDF16_DF16_EviT2_lT_lS2_lS3_lPT3_PT1_
                                        ; -- End function
	.set _ZL38rocblas_dot_kernel_gfx942_float_doubleIiLi1024EDF16_PKDF16_DF16_EviT2_lT_lS2_lS3_lPT3_PT1_.num_vgpr, 0
	.set _ZL38rocblas_dot_kernel_gfx942_float_doubleIiLi1024EDF16_PKDF16_DF16_EviT2_lT_lS2_lS3_lPT3_PT1_.num_agpr, 0
	.set _ZL38rocblas_dot_kernel_gfx942_float_doubleIiLi1024EDF16_PKDF16_DF16_EviT2_lT_lS2_lS3_lPT3_PT1_.numbered_sgpr, 0
	.set _ZL38rocblas_dot_kernel_gfx942_float_doubleIiLi1024EDF16_PKDF16_DF16_EviT2_lT_lS2_lS3_lPT3_PT1_.num_named_barrier, 0
	.set _ZL38rocblas_dot_kernel_gfx942_float_doubleIiLi1024EDF16_PKDF16_DF16_EviT2_lT_lS2_lS3_lPT3_PT1_.private_seg_size, 0
	.set _ZL38rocblas_dot_kernel_gfx942_float_doubleIiLi1024EDF16_PKDF16_DF16_EviT2_lT_lS2_lS3_lPT3_PT1_.uses_vcc, 0
	.set _ZL38rocblas_dot_kernel_gfx942_float_doubleIiLi1024EDF16_PKDF16_DF16_EviT2_lT_lS2_lS3_lPT3_PT1_.uses_flat_scratch, 0
	.set _ZL38rocblas_dot_kernel_gfx942_float_doubleIiLi1024EDF16_PKDF16_DF16_EviT2_lT_lS2_lS3_lPT3_PT1_.has_dyn_sized_stack, 0
	.set _ZL38rocblas_dot_kernel_gfx942_float_doubleIiLi1024EDF16_PKDF16_DF16_EviT2_lT_lS2_lS3_lPT3_PT1_.has_recursion, 0
	.set _ZL38rocblas_dot_kernel_gfx942_float_doubleIiLi1024EDF16_PKDF16_DF16_EviT2_lT_lS2_lS3_lPT3_PT1_.has_indirect_call, 0
	.section	.AMDGPU.csdata,"",@progbits
; Kernel info:
; codeLenInByte = 4
; TotalNumSgprs: 0
; NumVgprs: 0
; ScratchSize: 0
; MemoryBound: 0
; FloatMode: 240
; IeeeMode: 1
; LDSByteSize: 0 bytes/workgroup (compile time only)
; SGPRBlocks: 0
; VGPRBlocks: 0
; NumSGPRsForWavesPerEU: 1
; NumVGPRsForWavesPerEU: 1
; NamedBarCnt: 0
; Occupancy: 16
; WaveLimiterHint : 0
; COMPUTE_PGM_RSRC2:SCRATCH_EN: 0
; COMPUTE_PGM_RSRC2:USER_SGPR: 2
; COMPUTE_PGM_RSRC2:TRAP_HANDLER: 0
; COMPUTE_PGM_RSRC2:TGID_X_EN: 1
; COMPUTE_PGM_RSRC2:TGID_Y_EN: 0
; COMPUTE_PGM_RSRC2:TGID_Z_EN: 0
; COMPUTE_PGM_RSRC2:TIDIG_COMP_CNT: 0
	.section	.text._ZL30rocblas_reduction_kernel_part2ILi1024ELi4E25rocblas_finalize_identityDF16_DF16_EviPT2_PT3_,"axG",@progbits,_ZL30rocblas_reduction_kernel_part2ILi1024ELi4E25rocblas_finalize_identityDF16_DF16_EviPT2_PT3_,comdat
	.globl	_ZL30rocblas_reduction_kernel_part2ILi1024ELi4E25rocblas_finalize_identityDF16_DF16_EviPT2_PT3_ ; -- Begin function _ZL30rocblas_reduction_kernel_part2ILi1024ELi4E25rocblas_finalize_identityDF16_DF16_EviPT2_PT3_
	.p2align	8
	.type	_ZL30rocblas_reduction_kernel_part2ILi1024ELi4E25rocblas_finalize_identityDF16_DF16_EviPT2_PT3_,@function
_ZL30rocblas_reduction_kernel_part2ILi1024ELi4E25rocblas_finalize_identityDF16_DF16_EviPT2_PT3_: ; @_ZL30rocblas_reduction_kernel_part2ILi1024ELi4E25rocblas_finalize_identityDF16_DF16_EviPT2_PT3_
; %bb.0:
	s_clause 0x1
	s_load_b32 s6, s[0:1], 0x0
	s_load_b64 s[8:9], s[0:1], 0x8
	s_bfe_u32 s2, ttmp6, 0x4000c
	s_and_b32 s3, ttmp6, 15
	s_add_co_i32 s2, s2, 1
	s_getreg_b32 s4, hwreg(HW_REG_IB_STS2, 6, 4)
	s_mul_i32 s2, ttmp9, s2
	v_dual_lshlrev_b32 v1, 2, v0 :: v_dual_mov_b32 v3, 0
	s_add_co_i32 s3, s3, s2
	s_wait_kmcnt 0x0
	s_ashr_i32 s7, s6, 31
	s_cmp_eq_u32 s4, 0
	s_mov_b32 s4, exec_lo
	s_cselect_b32 s2, ttmp9, s3
	s_lshr_b32 s3, s7, 30
	s_delay_alu instid0(SALU_CYCLE_1) | instskip(NEXT) | instid1(SALU_CYCLE_1)
	s_add_co_i32 s3, s6, s3
	s_and_b32 s12, s3, -4
	s_mov_b32 s3, 0
	s_delay_alu instid0(SALU_CYCLE_1)
	s_mul_u64 s[10:11], s[6:7], s[2:3]
	v_cmpx_gt_i32_e64 s12, v1
	s_cbranch_execz .LBB178_4
; %bb.1:
	v_dual_mov_b32 v3, 0 :: v_dual_lshlrev_b32 v2, 3, v0
	s_lshl_b64 s[14:15], s[10:11], 1
	s_mov_b32 s5, s3
	s_add_nc_u64 s[14:15], s[8:9], s[14:15]
	s_delay_alu instid0(VALU_DEP_1) | instid1(SALU_CYCLE_1)
	v_add_nc_u64_e32 v[4:5], s[14:15], v[2:3]
	s_delay_alu instid0(VALU_DEP_1)
	v_add_nc_u64_e32 v[4:5], 4, v[4:5]
.LBB178_2:                              ; =>This Inner Loop Header: Depth=1
	global_load_b64 v[6:7], v[4:5], off offset:-4
	v_add_nc_u32_e32 v1, 0x1000, v1
	s_wait_xcnt 0x0
	v_add_nc_u64_e32 v[4:5], 0x2000, v[4:5]
	s_delay_alu instid0(VALU_DEP_2) | instskip(SKIP_4) | instid1(VALU_DEP_1)
	v_cmp_le_i32_e32 vcc_lo, s12, v1
	s_or_b32 s5, vcc_lo, s5
	s_wait_loadcnt 0x0
	v_lshrrev_b32_e32 v2, 16, v6
	v_add_f16_e32 v3, v3, v6
	v_add_f16_e32 v2, v3, v2
	v_lshrrev_b32_e32 v3, 16, v7
	s_delay_alu instid0(VALU_DEP_2) | instskip(NEXT) | instid1(VALU_DEP_1)
	v_add_f16_e32 v2, v2, v7
	v_add_f16_e32 v3, v2, v3
	s_and_not1_b32 exec_lo, exec_lo, s5
	s_cbranch_execnz .LBB178_2
; %bb.3:
	s_or_b32 exec_lo, exec_lo, s5
.LBB178_4:
	s_delay_alu instid0(SALU_CYCLE_1) | instskip(SKIP_3) | instid1(SALU_CYCLE_1)
	s_or_b32 exec_lo, exec_lo, s4
	s_load_b64 s[4:5], s[0:1], 0x10
	s_wait_xcnt 0x0
	s_sub_co_i32 s0, s6, s12
	v_cmp_gt_u32_e32 vcc_lo, s0, v0
	s_and_saveexec_b32 s0, vcc_lo
	s_cbranch_execz .LBB178_6
; %bb.5:
	v_xad_u32 v1, v0, -1, s6
	s_lshl_b64 s[6:7], s[10:11], 1
	s_delay_alu instid0(SALU_CYCLE_1)
	s_add_nc_u64 s[6:7], s[8:9], s[6:7]
	global_load_u16 v1, v1, s[6:7] scale_offset
	s_wait_loadcnt 0x0
	v_add_f16_e32 v3, v3, v1
.LBB178_6:
	s_or_b32 exec_lo, exec_lo, s0
	v_and_b32_e32 v7, 31, v0
	v_cmp_gt_u32_e32 vcc_lo, 32, v0
	s_delay_alu instid0(VALU_DEP_2)
	v_lshlrev_b32_e32 v1, 1, v7
	s_and_saveexec_b32 s0, vcc_lo
; %bb.7:
	v_mov_b32_e32 v2, 0
	ds_store_b16 v1, v2
; %bb.8:
	s_or_b32 exec_lo, exec_lo, s0
	v_mbcnt_lo_u32_b32 v6, -1, 0
	v_and_b32_e32 v4, 0xffff, v3
	s_mov_b32 s1, exec_lo
	s_wait_dscnt 0x0
	s_barrier_signal -1
	v_lshl_or_b32 v2, v6, 2, 64
	v_cmp_gt_u32_e64 s0, 24, v6
	s_barrier_wait -1
	ds_bpermute_b32 v4, v2, v4
	s_wait_dscnt 0x0
	v_add_f16_e32 v5, v3, v4
	v_cndmask_b32_e64 v3, 0, 8, s0
	v_cmp_gt_u32_e64 s0, 28, v6
	s_delay_alu instid0(VALU_DEP_3) | instskip(NEXT) | instid1(VALU_DEP_3)
	v_and_b32_e32 v8, 0xffff, v5
	v_add_lshl_u32 v3, v3, v6, 2
	s_delay_alu instid0(VALU_DEP_2) | instskip(SKIP_3) | instid1(VALU_DEP_2)
	v_and_or_b32 v4, 0xffff0000, v4, v8
	ds_bpermute_b32 v8, v3, v4
	v_cndmask_b32_e64 v4, 0, 4, s0
	v_cmp_gt_u32_e64 s0, 30, v6
	v_add_lshl_u32 v4, v4, v6, 2
	s_wait_dscnt 0x0
	v_add_f16_e32 v5, v5, v8
	s_delay_alu instid0(VALU_DEP_1) | instskip(NEXT) | instid1(VALU_DEP_1)
	v_and_b32_e32 v9, 0xffff, v5
	v_and_or_b32 v8, 0xffff0000, v8, v9
	ds_bpermute_b32 v8, v4, v8
	s_wait_dscnt 0x0
	v_add_f16_e32 v9, v5, v8
	v_cndmask_b32_e64 v5, 0, 2, s0
	v_cmp_ne_u32_e64 s0, 31, v6
	s_delay_alu instid0(VALU_DEP_3) | instskip(NEXT) | instid1(VALU_DEP_3)
	v_and_b32_e32 v10, 0xffff, v9
	v_add_lshl_u32 v5, v5, v6, 2
	s_delay_alu instid0(VALU_DEP_3) | instskip(NEXT) | instid1(VALU_DEP_3)
	v_add_co_ci_u32_e64 v6, null, 0, v6, s0
	v_and_or_b32 v8, 0xffff0000, v8, v10
	s_delay_alu instid0(VALU_DEP_2) | instskip(SKIP_3) | instid1(VALU_DEP_1)
	v_lshlrev_b32_e32 v6, 2, v6
	ds_bpermute_b32 v10, v5, v8
	s_wait_dscnt 0x0
	v_add_f16_e32 v8, v9, v10
	v_and_b32_e32 v9, 0xffff, v8
	s_delay_alu instid0(VALU_DEP_1)
	v_and_or_b32 v9, 0xffff0000, v10, v9
	ds_bpermute_b32 v9, v6, v9
	v_cmpx_eq_u32_e32 0, v7
	s_cbranch_execz .LBB178_10
; %bb.9:
	v_lshrrev_b32_e32 v7, 4, v0
	s_wait_dscnt 0x0
	v_add_f16_e32 v8, v8, v9
	s_delay_alu instid0(VALU_DEP_2)
	v_and_b32_e32 v7, 62, v7
	ds_store_b16 v7, v8
.LBB178_10:
	s_or_b32 exec_lo, exec_lo, s1
	v_mov_b32_e32 v7, 0
	s_wait_dscnt 0x0
	s_barrier_signal -1
	s_barrier_wait -1
	s_and_saveexec_b32 s0, vcc_lo
; %bb.11:
	ds_load_u16 v7, v1
; %bb.12:
	s_or_b32 exec_lo, exec_lo, s0
	s_and_saveexec_b32 s0, vcc_lo
	s_cbranch_execz .LBB178_14
; %bb.13:
	s_wait_dscnt 0x0
	v_and_b32_e32 v1, 0xffff, v7
	ds_bpermute_b32 v1, v2, v1
	s_wait_dscnt 0x0
	v_add_f16_e32 v2, v7, v1
	s_delay_alu instid0(VALU_DEP_1) | instskip(NEXT) | instid1(VALU_DEP_1)
	v_and_b32_e32 v7, 0xffff, v2
	v_and_or_b32 v1, 0xffff0000, v1, v7
	ds_bpermute_b32 v1, v3, v1
	s_wait_dscnt 0x0
	v_add_f16_e32 v2, v2, v1
	s_delay_alu instid0(VALU_DEP_1) | instskip(NEXT) | instid1(VALU_DEP_1)
	v_and_b32_e32 v3, 0xffff, v2
	v_and_or_b32 v1, 0xffff0000, v1, v3
	;; [unrolled: 6-line block ×4, first 2 shown]
	ds_bpermute_b32 v1, v6, v1
	s_wait_dscnt 0x0
	v_add_f16_e32 v7, v2, v1
.LBB178_14:
	s_or_b32 exec_lo, exec_lo, s0
	s_delay_alu instid0(SALU_CYCLE_1)
	s_mov_b32 s0, exec_lo
	v_cmpx_eq_u32_e32 0, v0
	s_cbranch_execz .LBB178_16
; %bb.15:
	v_mov_b32_e32 v0, 0
	s_lshl_b64 s[0:1], s[2:3], 1
	s_wait_kmcnt 0x0
	s_add_nc_u64 s[0:1], s[4:5], s[0:1]
	s_wait_dscnt 0x0
	global_store_b16 v0, v7, s[0:1]
.LBB178_16:
	s_endpgm
	.section	.rodata,"a",@progbits
	.p2align	6, 0x0
	.amdhsa_kernel _ZL30rocblas_reduction_kernel_part2ILi1024ELi4E25rocblas_finalize_identityDF16_DF16_EviPT2_PT3_
		.amdhsa_group_segment_fixed_size 64
		.amdhsa_private_segment_fixed_size 0
		.amdhsa_kernarg_size 24
		.amdhsa_user_sgpr_count 2
		.amdhsa_user_sgpr_dispatch_ptr 0
		.amdhsa_user_sgpr_queue_ptr 0
		.amdhsa_user_sgpr_kernarg_segment_ptr 1
		.amdhsa_user_sgpr_dispatch_id 0
		.amdhsa_user_sgpr_kernarg_preload_length 0
		.amdhsa_user_sgpr_kernarg_preload_offset 0
		.amdhsa_user_sgpr_private_segment_size 0
		.amdhsa_wavefront_size32 1
		.amdhsa_uses_dynamic_stack 0
		.amdhsa_enable_private_segment 0
		.amdhsa_system_sgpr_workgroup_id_x 1
		.amdhsa_system_sgpr_workgroup_id_y 0
		.amdhsa_system_sgpr_workgroup_id_z 0
		.amdhsa_system_sgpr_workgroup_info 0
		.amdhsa_system_vgpr_workitem_id 0
		.amdhsa_next_free_vgpr 11
		.amdhsa_next_free_sgpr 16
		.amdhsa_named_barrier_count 0
		.amdhsa_reserve_vcc 1
		.amdhsa_float_round_mode_32 0
		.amdhsa_float_round_mode_16_64 0
		.amdhsa_float_denorm_mode_32 3
		.amdhsa_float_denorm_mode_16_64 3
		.amdhsa_fp16_overflow 0
		.amdhsa_memory_ordered 1
		.amdhsa_forward_progress 1
		.amdhsa_inst_pref_size 8
		.amdhsa_round_robin_scheduling 0
		.amdhsa_exception_fp_ieee_invalid_op 0
		.amdhsa_exception_fp_denorm_src 0
		.amdhsa_exception_fp_ieee_div_zero 0
		.amdhsa_exception_fp_ieee_overflow 0
		.amdhsa_exception_fp_ieee_underflow 0
		.amdhsa_exception_fp_ieee_inexact 0
		.amdhsa_exception_int_div_zero 0
	.end_amdhsa_kernel
	.section	.text._ZL30rocblas_reduction_kernel_part2ILi1024ELi4E25rocblas_finalize_identityDF16_DF16_EviPT2_PT3_,"axG",@progbits,_ZL30rocblas_reduction_kernel_part2ILi1024ELi4E25rocblas_finalize_identityDF16_DF16_EviPT2_PT3_,comdat
.Lfunc_end178:
	.size	_ZL30rocblas_reduction_kernel_part2ILi1024ELi4E25rocblas_finalize_identityDF16_DF16_EviPT2_PT3_, .Lfunc_end178-_ZL30rocblas_reduction_kernel_part2ILi1024ELi4E25rocblas_finalize_identityDF16_DF16_EviPT2_PT3_
                                        ; -- End function
	.set _ZL30rocblas_reduction_kernel_part2ILi1024ELi4E25rocblas_finalize_identityDF16_DF16_EviPT2_PT3_.num_vgpr, 11
	.set _ZL30rocblas_reduction_kernel_part2ILi1024ELi4E25rocblas_finalize_identityDF16_DF16_EviPT2_PT3_.num_agpr, 0
	.set _ZL30rocblas_reduction_kernel_part2ILi1024ELi4E25rocblas_finalize_identityDF16_DF16_EviPT2_PT3_.numbered_sgpr, 16
	.set _ZL30rocblas_reduction_kernel_part2ILi1024ELi4E25rocblas_finalize_identityDF16_DF16_EviPT2_PT3_.num_named_barrier, 0
	.set _ZL30rocblas_reduction_kernel_part2ILi1024ELi4E25rocblas_finalize_identityDF16_DF16_EviPT2_PT3_.private_seg_size, 0
	.set _ZL30rocblas_reduction_kernel_part2ILi1024ELi4E25rocblas_finalize_identityDF16_DF16_EviPT2_PT3_.uses_vcc, 1
	.set _ZL30rocblas_reduction_kernel_part2ILi1024ELi4E25rocblas_finalize_identityDF16_DF16_EviPT2_PT3_.uses_flat_scratch, 0
	.set _ZL30rocblas_reduction_kernel_part2ILi1024ELi4E25rocblas_finalize_identityDF16_DF16_EviPT2_PT3_.has_dyn_sized_stack, 0
	.set _ZL30rocblas_reduction_kernel_part2ILi1024ELi4E25rocblas_finalize_identityDF16_DF16_EviPT2_PT3_.has_recursion, 0
	.set _ZL30rocblas_reduction_kernel_part2ILi1024ELi4E25rocblas_finalize_identityDF16_DF16_EviPT2_PT3_.has_indirect_call, 0
	.section	.AMDGPU.csdata,"",@progbits
; Kernel info:
; codeLenInByte = 996
; TotalNumSgprs: 18
; NumVgprs: 11
; ScratchSize: 0
; MemoryBound: 0
; FloatMode: 240
; IeeeMode: 1
; LDSByteSize: 64 bytes/workgroup (compile time only)
; SGPRBlocks: 0
; VGPRBlocks: 0
; NumSGPRsForWavesPerEU: 18
; NumVGPRsForWavesPerEU: 11
; NamedBarCnt: 0
; Occupancy: 16
; WaveLimiterHint : 0
; COMPUTE_PGM_RSRC2:SCRATCH_EN: 0
; COMPUTE_PGM_RSRC2:USER_SGPR: 2
; COMPUTE_PGM_RSRC2:TRAP_HANDLER: 0
; COMPUTE_PGM_RSRC2:TGID_X_EN: 1
; COMPUTE_PGM_RSRC2:TGID_Y_EN: 0
; COMPUTE_PGM_RSRC2:TGID_Z_EN: 0
; COMPUTE_PGM_RSRC2:TIDIG_COMP_CNT: 0
	.section	.text._ZL23rocblas_dot_kernel_inc1ILb0ELi512ELi8ELb1EDF16_PKDF16_DF16_EviT4_llS2_lliPT5_PT3_,"axG",@progbits,_ZL23rocblas_dot_kernel_inc1ILb0ELi512ELi8ELb1EDF16_PKDF16_DF16_EviT4_llS2_lliPT5_PT3_,comdat
	.globl	_ZL23rocblas_dot_kernel_inc1ILb0ELi512ELi8ELb1EDF16_PKDF16_DF16_EviT4_llS2_lliPT5_PT3_ ; -- Begin function _ZL23rocblas_dot_kernel_inc1ILb0ELi512ELi8ELb1EDF16_PKDF16_DF16_EviT4_llS2_lliPT5_PT3_
	.p2align	8
	.type	_ZL23rocblas_dot_kernel_inc1ILb0ELi512ELi8ELb1EDF16_PKDF16_DF16_EviT4_llS2_lliPT5_PT3_,@function
_ZL23rocblas_dot_kernel_inc1ILb0ELi512ELi8ELb1EDF16_PKDF16_DF16_EviT4_llS2_lliPT5_PT3_: ; @_ZL23rocblas_dot_kernel_inc1ILb0ELi512ELi8ELb1EDF16_PKDF16_DF16_EviT4_llS2_lliPT5_PT3_
; %bb.0:
	s_load_b32 s28, s[0:1], 0x38
	s_bfe_u32 s2, ttmp6, 0x40014
	s_lshr_b32 s3, ttmp7, 16
	s_add_co_i32 s2, s2, 1
	s_bfe_u32 s5, ttmp6, 0x40008
	s_mul_i32 s4, s3, s2
	s_getreg_b32 s2, hwreg(HW_REG_IB_STS2, 6, 4)
	s_add_co_i32 s5, s5, s4
	s_cmp_eq_u32 s2, 0
	s_mov_b32 s17, 0
	s_cselect_b32 s16, s3, s5
	s_wait_kmcnt 0x0
	s_cmp_ge_u32 s16, s28
	s_cbranch_scc1 .LBB179_20
; %bb.1:
	v_mbcnt_lo_u32_b32 v3, -1, 0
	s_clause 0x6
	s_load_b32 s18, s[0:1], 0x50
	s_load_b64 s[22:23], s[0:1], 0x8
	s_load_b32 s29, s[0:1], 0x0
	s_load_b64 s[24:25], s[0:1], 0x20
	s_load_b128 s[8:11], s[0:1], 0x10
	s_load_b128 s[4:7], s[0:1], 0x40
	;; [unrolled: 1-line block ×3, first 2 shown]
	s_wait_xcnt 0x0
	s_bfe_u32 s0, ttmp6, 0x4000c
	s_and_b32 s1, ttmp6, 15
	s_add_co_i32 s3, s0, 1
	v_cmp_gt_u32_e32 vcc_lo, 24, v3
	s_mul_i32 s3, ttmp9, s3
	v_dual_lshrrev_b32 v10, 4, v0 :: v_dual_bitop2_b32 v1, 31, v0 bitop3:0x40
	s_add_co_i32 s1, s1, s3
	v_cndmask_b32_e64 v6, 0, 8, vcc_lo
	v_cmp_gt_u32_e32 vcc_lo, 28, v3
	s_cmp_eq_u32 s2, 0
	s_mov_b32 s27, s17
	s_cselect_b32 s26, ttmp9, s1
	s_wait_kmcnt 0x0
	s_cmp_lg_u32 s18, 1
	v_cndmask_b32_e64 v7, 0, 4, vcc_lo
	v_cmp_gt_u32_e32 vcc_lo, 30, v3
	s_cselect_b32 s30, -1, 0
	s_lshl_b32 s20, s18, 9
	v_cmp_gt_u32_e64 s0, 32, v0
	s_lshl_b64 s[12:13], s[12:13], 1
	v_cndmask_b32_e64 v8, 0, 2, vcc_lo
	v_cmp_ne_u32_e32 vcc_lo, 31, v3
	v_dual_lshlrev_b32 v4, 1, v1 :: v_dual_bitop2_b32 v10, 30, v10 bitop3:0x40
	v_lshl_or_b32 v2, s26, 9, v0
	v_lshl_or_b32 v5, v3, 2, 64
	v_add_co_ci_u32_e64 v9, null, 0, v3, vcc_lo
	v_add_lshl_u32 v6, v6, v3, 2
	v_add_lshl_u32 v7, v7, v3, 2
	;; [unrolled: 1-line block ×3, first 2 shown]
	s_delay_alu instid0(VALU_DEP_4)
	v_dual_lshlrev_b32 v9, 2, v9 :: v_dual_mov_b32 v11, 0
	v_cmp_eq_u32_e64 s1, 0, v1
	v_cmp_gt_u32_e64 s2, 16, v0
	v_cmp_eq_u32_e64 s3, 0, v0
	s_lshl_b64 s[26:27], s[26:27], 1
	s_add_nc_u64 s[12:13], s[24:25], s[12:13]
	s_ashr_i32 s21, s20, 31
	s_lshl_b64 s[24:25], s[8:9], 1
	s_mov_b32 s19, s17
	s_add_nc_u64 s[4:5], s[4:5], s[26:27]
	s_lshl_b64 s[14:15], s[14:15], 1
	s_lshl_b64 s[8:9], s[20:21], 1
	s_add_nc_u64 s[22:23], s[22:23], s[24:25]
	s_lshl_b64 s[10:11], s[10:11], 1
	s_branch .LBB179_3
.LBB179_2:                              ;   in Loop: Header=BB179_3 Depth=1
	s_wait_xcnt 0x0
	s_or_b32 exec_lo, exec_lo, s21
	s_add_co_i32 s16, s16, 0x10000
	s_delay_alu instid0(SALU_CYCLE_1)
	s_cmp_lt_u32 s16, s28
	s_cbranch_scc0 .LBB179_20
.LBB179_3:                              ; =>This Loop Header: Depth=1
                                        ;     Child Loop BB179_5 Depth 2
	v_mov_b32_e32 v3, 0
	s_mov_b32 s21, exec_lo
	v_cmpx_gt_i32_e64 s29, v2
	s_cbranch_execz .LBB179_7
; %bb.4:                                ;   in Loop: Header=BB179_3 Depth=1
	v_ashrrev_i32_e32 v3, 31, v2
	s_mul_u64 s[24:25], s[14:15], s[16:17]
	s_mul_u64 s[26:27], s[10:11], s[16:17]
	s_add_nc_u64 s[24:25], s[12:13], s[24:25]
	s_add_nc_u64 s[26:27], s[22:23], s[26:27]
	s_wait_dscnt 0x0
	v_lshlrev_b64_e32 v[0:1], 1, v[2:3]
	v_mov_b32_e32 v3, 0
	s_mov_b32 s31, 0
	s_mov_b32 s33, 0
.LBB179_5:                              ;   Parent Loop BB179_3 Depth=1
                                        ; =>  This Inner Loop Header: Depth=2
	s_delay_alu instid0(VALU_DEP_2)
	v_add_nc_u64_e32 v[12:13], s[24:25], v[0:1]
	v_add_nc_u64_e32 v[14:15], s[26:27], v[0:1]
	v_add_nc_u32_e32 v2, s20, v2
	s_add_co_i32 s34, s33, 1
	s_cmp_gt_u32 s33, 6
	v_add_nc_u64_e32 v[0:1], s[8:9], v[0:1]
	s_cselect_b32 s33, -1, 0
	global_load_u16 v16, v[12:13], off
	global_load_u16 v17, v[14:15], off
	v_cmp_le_i32_e32 vcc_lo, s29, v2
	s_or_b32 s33, s33, vcc_lo
	s_delay_alu instid0(SALU_CYCLE_1) | instskip(NEXT) | instid1(SALU_CYCLE_1)
	s_and_b32 s33, exec_lo, s33
	s_or_b32 s31, s33, s31
	s_mov_b32 s33, s34
	s_wait_loadcnt 0x0
	v_fmac_f16_e32 v3, v16, v17
	s_wait_xcnt 0x0
	s_and_not1_b32 exec_lo, exec_lo, s31
	s_cbranch_execnz .LBB179_5
; %bb.6:                                ;   in Loop: Header=BB179_3 Depth=1
	s_or_b32 exec_lo, exec_lo, s31
.LBB179_7:                              ;   in Loop: Header=BB179_3 Depth=1
	s_delay_alu instid0(SALU_CYCLE_1)
	s_or_b32 exec_lo, exec_lo, s21
	s_and_saveexec_b32 s21, s0
; %bb.8:                                ;   in Loop: Header=BB179_3 Depth=1
	ds_store_b16 v4, v11
; %bb.9:                                ;   in Loop: Header=BB179_3 Depth=1
	s_or_b32 exec_lo, exec_lo, s21
	s_wait_dscnt 0x0
	v_and_b32_e32 v0, 0xffff, v3
	s_wait_dscnt 0x0
	s_barrier_signal -1
	s_barrier_wait -1
	ds_bpermute_b32 v0, v5, v0
	s_wait_dscnt 0x0
	v_add_f16_e32 v1, v3, v0
	s_delay_alu instid0(VALU_DEP_1) | instskip(NEXT) | instid1(VALU_DEP_1)
	v_and_b32_e32 v3, 0xffff, v1
	v_and_or_b32 v0, 0xffff0000, v0, v3
	ds_bpermute_b32 v0, v6, v0
	s_wait_dscnt 0x0
	v_add_f16_e32 v1, v1, v0
	s_delay_alu instid0(VALU_DEP_1) | instskip(NEXT) | instid1(VALU_DEP_1)
	v_and_b32_e32 v3, 0xffff, v1
	v_and_or_b32 v0, 0xffff0000, v0, v3
	;; [unrolled: 6-line block ×4, first 2 shown]
	ds_bpermute_b32 v1, v9, v1
	s_and_saveexec_b32 s21, s1
	s_cbranch_execz .LBB179_11
; %bb.10:                               ;   in Loop: Header=BB179_3 Depth=1
	s_wait_dscnt 0x0
	v_add_f16_e32 v0, v0, v1
	ds_store_b16 v10, v0
.LBB179_11:                             ;   in Loop: Header=BB179_3 Depth=1
	s_or_b32 exec_lo, exec_lo, s21
	v_mov_b32_e32 v0, 0
	s_wait_dscnt 0x0
	s_barrier_signal -1
	s_barrier_wait -1
	s_and_saveexec_b32 s21, s2
	s_cbranch_execnz .LBB179_14
; %bb.12:                               ;   in Loop: Header=BB179_3 Depth=1
	s_or_b32 exec_lo, exec_lo, s21
	s_and_saveexec_b32 s21, s0
	s_cbranch_execnz .LBB179_15
.LBB179_13:                             ;   in Loop: Header=BB179_3 Depth=1
	s_or_b32 exec_lo, exec_lo, s21
	s_and_saveexec_b32 s21, s3
	s_cbranch_execz .LBB179_2
	s_branch .LBB179_16
.LBB179_14:                             ;   in Loop: Header=BB179_3 Depth=1
	ds_load_u16 v0, v4
	s_or_b32 exec_lo, exec_lo, s21
	s_and_saveexec_b32 s21, s0
	s_cbranch_execz .LBB179_13
.LBB179_15:                             ;   in Loop: Header=BB179_3 Depth=1
	s_wait_dscnt 0x0
	v_and_b32_e32 v1, 0xffff, v0
	ds_bpermute_b32 v1, v6, v1
	s_wait_dscnt 0x0
	v_add_f16_e32 v0, v0, v1
	s_delay_alu instid0(VALU_DEP_1) | instskip(NEXT) | instid1(VALU_DEP_1)
	v_and_b32_e32 v3, 0xffff, v0
	v_and_or_b32 v1, 0xffff0000, v1, v3
	ds_bpermute_b32 v1, v7, v1
	s_wait_dscnt 0x0
	v_add_f16_e32 v0, v0, v1
	s_delay_alu instid0(VALU_DEP_1) | instskip(NEXT) | instid1(VALU_DEP_1)
	v_and_b32_e32 v3, 0xffff, v0
	v_and_or_b32 v1, 0xffff0000, v1, v3
	ds_bpermute_b32 v1, v8, v1
	s_wait_dscnt 0x0
	v_add_f16_e32 v0, v0, v1
	s_delay_alu instid0(VALU_DEP_1) | instskip(NEXT) | instid1(VALU_DEP_1)
	v_and_b32_e32 v3, 0xffff, v0
	v_and_or_b32 v1, 0xffff0000, v1, v3
	ds_bpermute_b32 v1, v9, v1
	s_wait_dscnt 0x0
	v_add_f16_e32 v0, v0, v1
	s_or_b32 exec_lo, exec_lo, s21
	s_and_saveexec_b32 s21, s3
	s_cbranch_execz .LBB179_2
.LBB179_16:                             ;   in Loop: Header=BB179_3 Depth=1
	s_and_b32 vcc_lo, exec_lo, s30
	s_mov_b32 s24, -1
	s_cbranch_vccz .LBB179_18
; %bb.17:                               ;   in Loop: Header=BB179_3 Depth=1
	s_mul_u64 s[24:25], s[18:19], s[16:17]
	s_delay_alu instid0(SALU_CYCLE_1) | instskip(NEXT) | instid1(SALU_CYCLE_1)
	s_lshl_b64 s[24:25], s[24:25], 1
	s_add_nc_u64 s[26:27], s[4:5], s[24:25]
	s_mov_b32 s24, 0
	s_wait_dscnt 0x0
	global_store_b16 v11, v0, s[26:27]
.LBB179_18:                             ;   in Loop: Header=BB179_3 Depth=1
	s_and_not1_b32 vcc_lo, exec_lo, s24
	s_cbranch_vccnz .LBB179_2
; %bb.19:                               ;   in Loop: Header=BB179_3 Depth=1
	s_lshl_b64 s[24:25], s[16:17], 1
	s_delay_alu instid0(SALU_CYCLE_1)
	s_add_nc_u64 s[24:25], s[6:7], s[24:25]
	s_wait_dscnt 0x0
	global_store_b16 v11, v0, s[24:25]
	s_branch .LBB179_2
.LBB179_20:
	s_endpgm
	.section	.rodata,"a",@progbits
	.p2align	6, 0x0
	.amdhsa_kernel _ZL23rocblas_dot_kernel_inc1ILb0ELi512ELi8ELb1EDF16_PKDF16_DF16_EviT4_llS2_lliPT5_PT3_
		.amdhsa_group_segment_fixed_size 64
		.amdhsa_private_segment_fixed_size 0
		.amdhsa_kernarg_size 336
		.amdhsa_user_sgpr_count 2
		.amdhsa_user_sgpr_dispatch_ptr 0
		.amdhsa_user_sgpr_queue_ptr 0
		.amdhsa_user_sgpr_kernarg_segment_ptr 1
		.amdhsa_user_sgpr_dispatch_id 0
		.amdhsa_user_sgpr_kernarg_preload_length 0
		.amdhsa_user_sgpr_kernarg_preload_offset 0
		.amdhsa_user_sgpr_private_segment_size 0
		.amdhsa_wavefront_size32 1
		.amdhsa_uses_dynamic_stack 0
		.amdhsa_enable_private_segment 0
		.amdhsa_system_sgpr_workgroup_id_x 1
		.amdhsa_system_sgpr_workgroup_id_y 0
		.amdhsa_system_sgpr_workgroup_id_z 1
		.amdhsa_system_sgpr_workgroup_info 0
		.amdhsa_system_vgpr_workitem_id 0
		.amdhsa_next_free_vgpr 18
		.amdhsa_next_free_sgpr 35
		.amdhsa_named_barrier_count 0
		.amdhsa_reserve_vcc 1
		.amdhsa_float_round_mode_32 0
		.amdhsa_float_round_mode_16_64 0
		.amdhsa_float_denorm_mode_32 3
		.amdhsa_float_denorm_mode_16_64 3
		.amdhsa_fp16_overflow 0
		.amdhsa_memory_ordered 1
		.amdhsa_forward_progress 1
		.amdhsa_inst_pref_size 10
		.amdhsa_round_robin_scheduling 0
		.amdhsa_exception_fp_ieee_invalid_op 0
		.amdhsa_exception_fp_denorm_src 0
		.amdhsa_exception_fp_ieee_div_zero 0
		.amdhsa_exception_fp_ieee_overflow 0
		.amdhsa_exception_fp_ieee_underflow 0
		.amdhsa_exception_fp_ieee_inexact 0
		.amdhsa_exception_int_div_zero 0
	.end_amdhsa_kernel
	.section	.text._ZL23rocblas_dot_kernel_inc1ILb0ELi512ELi8ELb1EDF16_PKDF16_DF16_EviT4_llS2_lliPT5_PT3_,"axG",@progbits,_ZL23rocblas_dot_kernel_inc1ILb0ELi512ELi8ELb1EDF16_PKDF16_DF16_EviT4_llS2_lliPT5_PT3_,comdat
.Lfunc_end179:
	.size	_ZL23rocblas_dot_kernel_inc1ILb0ELi512ELi8ELb1EDF16_PKDF16_DF16_EviT4_llS2_lliPT5_PT3_, .Lfunc_end179-_ZL23rocblas_dot_kernel_inc1ILb0ELi512ELi8ELb1EDF16_PKDF16_DF16_EviT4_llS2_lliPT5_PT3_
                                        ; -- End function
	.set _ZL23rocblas_dot_kernel_inc1ILb0ELi512ELi8ELb1EDF16_PKDF16_DF16_EviT4_llS2_lliPT5_PT3_.num_vgpr, 18
	.set _ZL23rocblas_dot_kernel_inc1ILb0ELi512ELi8ELb1EDF16_PKDF16_DF16_EviT4_llS2_lliPT5_PT3_.num_agpr, 0
	.set _ZL23rocblas_dot_kernel_inc1ILb0ELi512ELi8ELb1EDF16_PKDF16_DF16_EviT4_llS2_lliPT5_PT3_.numbered_sgpr, 35
	.set _ZL23rocblas_dot_kernel_inc1ILb0ELi512ELi8ELb1EDF16_PKDF16_DF16_EviT4_llS2_lliPT5_PT3_.num_named_barrier, 0
	.set _ZL23rocblas_dot_kernel_inc1ILb0ELi512ELi8ELb1EDF16_PKDF16_DF16_EviT4_llS2_lliPT5_PT3_.private_seg_size, 0
	.set _ZL23rocblas_dot_kernel_inc1ILb0ELi512ELi8ELb1EDF16_PKDF16_DF16_EviT4_llS2_lliPT5_PT3_.uses_vcc, 1
	.set _ZL23rocblas_dot_kernel_inc1ILb0ELi512ELi8ELb1EDF16_PKDF16_DF16_EviT4_llS2_lliPT5_PT3_.uses_flat_scratch, 0
	.set _ZL23rocblas_dot_kernel_inc1ILb0ELi512ELi8ELb1EDF16_PKDF16_DF16_EviT4_llS2_lliPT5_PT3_.has_dyn_sized_stack, 0
	.set _ZL23rocblas_dot_kernel_inc1ILb0ELi512ELi8ELb1EDF16_PKDF16_DF16_EviT4_llS2_lliPT5_PT3_.has_recursion, 0
	.set _ZL23rocblas_dot_kernel_inc1ILb0ELi512ELi8ELb1EDF16_PKDF16_DF16_EviT4_llS2_lliPT5_PT3_.has_indirect_call, 0
	.section	.AMDGPU.csdata,"",@progbits
; Kernel info:
; codeLenInByte = 1160
; TotalNumSgprs: 37
; NumVgprs: 18
; ScratchSize: 0
; MemoryBound: 0
; FloatMode: 240
; IeeeMode: 1
; LDSByteSize: 64 bytes/workgroup (compile time only)
; SGPRBlocks: 0
; VGPRBlocks: 1
; NumSGPRsForWavesPerEU: 37
; NumVGPRsForWavesPerEU: 18
; NamedBarCnt: 0
; Occupancy: 16
; WaveLimiterHint : 0
; COMPUTE_PGM_RSRC2:SCRATCH_EN: 0
; COMPUTE_PGM_RSRC2:USER_SGPR: 2
; COMPUTE_PGM_RSRC2:TRAP_HANDLER: 0
; COMPUTE_PGM_RSRC2:TGID_X_EN: 1
; COMPUTE_PGM_RSRC2:TGID_Y_EN: 0
; COMPUTE_PGM_RSRC2:TGID_Z_EN: 1
; COMPUTE_PGM_RSRC2:TIDIG_COMP_CNT: 0
	.section	.text._ZL18rocblas_dot_kernelIiLb0ELi512ELi8ELb1EDF16_PKDF16_DF16_EviT5_lT_lS2_lS3_liPT6_PT4_,"axG",@progbits,_ZL18rocblas_dot_kernelIiLb0ELi512ELi8ELb1EDF16_PKDF16_DF16_EviT5_lT_lS2_lS3_liPT6_PT4_,comdat
	.globl	_ZL18rocblas_dot_kernelIiLb0ELi512ELi8ELb1EDF16_PKDF16_DF16_EviT5_lT_lS2_lS3_liPT6_PT4_ ; -- Begin function _ZL18rocblas_dot_kernelIiLb0ELi512ELi8ELb1EDF16_PKDF16_DF16_EviT5_lT_lS2_lS3_liPT6_PT4_
	.p2align	8
	.type	_ZL18rocblas_dot_kernelIiLb0ELi512ELi8ELb1EDF16_PKDF16_DF16_EviT5_lT_lS2_lS3_liPT6_PT4_,@function
_ZL18rocblas_dot_kernelIiLb0ELi512ELi8ELb1EDF16_PKDF16_DF16_EviT5_lT_lS2_lS3_liPT6_PT4_: ; @_ZL18rocblas_dot_kernelIiLb0ELi512ELi8ELb1EDF16_PKDF16_DF16_EviT5_lT_lS2_lS3_liPT6_PT4_
; %bb.0:
	s_load_b32 s30, s[0:1], 0x48
	s_bfe_u32 s2, ttmp6, 0x40014
	s_lshr_b32 s3, ttmp7, 16
	s_add_co_i32 s2, s2, 1
	s_bfe_u32 s5, ttmp6, 0x40008
	s_mul_i32 s4, s3, s2
	s_getreg_b32 s2, hwreg(HW_REG_IB_STS2, 6, 4)
	s_add_co_i32 s5, s5, s4
	s_cmp_eq_u32 s2, 0
	s_mov_b32 s21, 0
	s_cselect_b32 s20, s3, s5
	s_wait_kmcnt 0x0
	s_cmp_ge_u32 s20, s30
	s_cbranch_scc1 .LBB180_20
; %bb.1:
	v_mbcnt_lo_u32_b32 v2, -1, 0
	s_clause 0x7
	s_load_b32 s24, s[0:1], 0x18
	s_load_b96 s[16:18], s[0:1], 0x30
	s_load_b32 s22, s[0:1], 0x60
	s_load_b128 s[8:11], s[0:1], 0x20
	s_load_b128 s[12:15], s[0:1], 0x8
	s_load_b32 s31, s[0:1], 0x0
	s_load_b128 s[4:7], s[0:1], 0x50
	s_load_b64 s[26:27], s[0:1], 0x40
	s_wait_xcnt 0x0
	s_bfe_u32 s0, ttmp6, 0x4000c
	s_and_b32 s1, ttmp6, 15
	s_add_co_i32 s3, s0, 1
	v_cmp_gt_u32_e32 vcc_lo, 24, v2
	s_mul_i32 s3, ttmp9, s3
	v_and_b32_e32 v1, 31, v0
	s_add_co_i32 s1, s1, s3
	s_mov_b32 s35, s21
	v_cndmask_b32_e64 v3, 0, 8, vcc_lo
	v_cmp_gt_u32_e32 vcc_lo, 28, v2
	v_cmp_gt_u32_e64 s0, 32, v0
	v_lshl_or_b32 v6, v2, 2, 64
	s_wait_kmcnt 0x0
	s_ashr_i32 s25, s24, 31
	s_ashr_i32 s29, s18, 31
	v_cndmask_b32_e64 v8, 0, 4, vcc_lo
	v_cmp_gt_u32_e32 vcc_lo, 30, v2
	s_cmp_eq_u32 s2, 0
	s_mov_b32 s28, s18
	s_cselect_b32 s34, ttmp9, s1
	s_cmp_lg_u32 s22, 1
	v_cndmask_b32_e64 v9, 0, 2, vcc_lo
	v_cmp_ne_u32_e32 vcc_lo, 31, v2
	s_cselect_b32 s33, -1, 0
	s_lshl_b32 s18, s22, 9
	v_add_lshl_u32 v7, v3, v2, 2
	v_lshrrev_b32_e32 v3, 4, v0
	v_add_co_ci_u32_e64 v10, null, 0, v2, vcc_lo
	s_lshl_b64 s[14:15], s[14:15], 1
	s_ashr_i32 s19, s18, 31
	v_lshl_or_b32 v4, s34, 9, v0
	s_lshl_b64 s[34:35], s[34:35], 1
	s_add_nc_u64 s[12:13], s[12:13], s[14:15]
	s_lshl_b64 s[14:15], s[24:25], 1
	s_mul_u64 s[24:25], s[24:25], s[18:19]
	v_dual_lshlrev_b32 v5, 1, v1 :: v_dual_lshlrev_b32 v10, 2, v10
	v_add_lshl_u32 v8, v8, v2, 2
	v_add_lshl_u32 v9, v9, v2, 2
	v_cmp_eq_u32_e64 s1, 0, v1
	v_dual_mov_b32 v12, 0 :: v_dual_bitop2_b32 v11, 30, v3 bitop3:0x40
	v_cmp_gt_u32_e64 s2, 16, v0
	v_cmp_eq_u32_e64 s3, 0, v0
	s_add_nc_u64 s[4:5], s[4:5], s[34:35]
	s_lshl_b64 s[34:35], s[16:17], 1
	s_lshl_b64 s[16:17], s[24:25], 1
	;; [unrolled: 1-line block ×3, first 2 shown]
	s_mul_u64 s[28:29], s[28:29], s[18:19]
	s_mov_b32 s23, s21
	s_lshl_b64 s[8:9], s[8:9], 1
	s_add_nc_u64 s[10:11], s[10:11], s[34:35]
	s_lshl_b64 s[26:27], s[26:27], 1
	s_lshl_b64 s[28:29], s[28:29], 1
	s_branch .LBB180_3
.LBB180_2:                              ;   in Loop: Header=BB180_3 Depth=1
	s_wait_xcnt 0x0
	s_or_b32 exec_lo, exec_lo, s19
	s_add_co_i32 s20, s20, 0x10000
	s_delay_alu instid0(SALU_CYCLE_1)
	s_cmp_lt_u32 s20, s30
	s_cbranch_scc0 .LBB180_20
.LBB180_3:                              ; =>This Loop Header: Depth=1
                                        ;     Child Loop BB180_5 Depth 2
	v_mov_b32_e32 v13, 0
	s_mov_b32 s19, exec_lo
	v_cmpx_gt_i32_e64 s31, v4
	s_cbranch_execz .LBB180_7
; %bb.4:                                ;   in Loop: Header=BB180_3 Depth=1
	s_mul_u64 s[34:35], s[8:9], s[20:21]
	s_mul_u64 s[36:37], s[26:27], s[20:21]
	s_add_nc_u64 s[34:35], s[12:13], s[34:35]
	s_add_nc_u64 s[36:37], s[10:11], s[36:37]
	s_wait_dscnt 0x0
	v_mad_nc_u64_u32 v[0:1], s14, v4, s[34:35]
	v_mad_nc_u64_u32 v[2:3], s24, v4, s[36:37]
	v_ashrrev_i32_e32 v13, 31, v4
	s_mov_b32 s34, 0
	s_mov_b32 s35, 0
	s_delay_alu instid0(VALU_DEP_3) | instskip(NEXT) | instid1(VALU_DEP_3)
	v_mad_u32 v1, s15, v4, v1
	v_mad_u32 v3, s25, v4, v3
	s_delay_alu instid0(VALU_DEP_2) | instskip(NEXT) | instid1(VALU_DEP_2)
	v_mad_u32 v1, s14, v13, v1
	v_mad_u32 v3, s24, v13, v3
	v_mov_b32_e32 v13, 0
.LBB180_5:                              ;   Parent Loop BB180_3 Depth=1
                                        ; =>  This Inner Loop Header: Depth=2
	global_load_u16 v14, v[2:3], off
	global_load_u16 v15, v[0:1], off
	v_add_nc_u32_e32 v4, s18, v4
	s_add_co_i32 s36, s35, 1
	s_cmp_gt_u32 s35, 6
	s_wait_xcnt 0x0
	v_add_nc_u64_e32 v[0:1], s[16:17], v[0:1]
	s_cselect_b32 s35, -1, 0
	v_cmp_le_i32_e32 vcc_lo, s31, v4
	v_add_nc_u64_e32 v[2:3], s[28:29], v[2:3]
	s_or_b32 s35, s35, vcc_lo
	s_delay_alu instid0(SALU_CYCLE_1) | instskip(NEXT) | instid1(SALU_CYCLE_1)
	s_and_b32 s35, exec_lo, s35
	s_or_b32 s34, s35, s34
	s_mov_b32 s35, s36
	s_wait_loadcnt 0x0
	v_fmac_f16_e32 v13, v14, v15
	s_and_not1_b32 exec_lo, exec_lo, s34
	s_cbranch_execnz .LBB180_5
; %bb.6:                                ;   in Loop: Header=BB180_3 Depth=1
	s_or_b32 exec_lo, exec_lo, s34
.LBB180_7:                              ;   in Loop: Header=BB180_3 Depth=1
	s_delay_alu instid0(SALU_CYCLE_1)
	s_or_b32 exec_lo, exec_lo, s19
	s_and_saveexec_b32 s19, s0
; %bb.8:                                ;   in Loop: Header=BB180_3 Depth=1
	ds_store_b16 v5, v12
; %bb.9:                                ;   in Loop: Header=BB180_3 Depth=1
	s_or_b32 exec_lo, exec_lo, s19
	s_wait_dscnt 0x0
	v_and_b32_e32 v0, 0xffff, v13
	s_wait_dscnt 0x0
	s_barrier_signal -1
	s_barrier_wait -1
	ds_bpermute_b32 v0, v6, v0
	s_wait_dscnt 0x0
	v_add_f16_e32 v1, v13, v0
	s_delay_alu instid0(VALU_DEP_1) | instskip(NEXT) | instid1(VALU_DEP_1)
	v_and_b32_e32 v2, 0xffff, v1
	v_and_or_b32 v0, 0xffff0000, v0, v2
	ds_bpermute_b32 v0, v7, v0
	s_wait_dscnt 0x0
	v_add_f16_e32 v1, v1, v0
	s_delay_alu instid0(VALU_DEP_1) | instskip(NEXT) | instid1(VALU_DEP_1)
	v_and_b32_e32 v2, 0xffff, v1
	v_and_or_b32 v0, 0xffff0000, v0, v2
	;; [unrolled: 6-line block ×4, first 2 shown]
	ds_bpermute_b32 v1, v10, v1
	s_and_saveexec_b32 s19, s1
	s_cbranch_execz .LBB180_11
; %bb.10:                               ;   in Loop: Header=BB180_3 Depth=1
	s_wait_dscnt 0x0
	v_add_f16_e32 v0, v0, v1
	ds_store_b16 v11, v0
.LBB180_11:                             ;   in Loop: Header=BB180_3 Depth=1
	s_or_b32 exec_lo, exec_lo, s19
	v_mov_b32_e32 v0, 0
	s_wait_dscnt 0x0
	s_barrier_signal -1
	s_barrier_wait -1
	s_and_saveexec_b32 s19, s2
	s_cbranch_execnz .LBB180_14
; %bb.12:                               ;   in Loop: Header=BB180_3 Depth=1
	s_or_b32 exec_lo, exec_lo, s19
	s_and_saveexec_b32 s19, s0
	s_cbranch_execnz .LBB180_15
.LBB180_13:                             ;   in Loop: Header=BB180_3 Depth=1
	s_or_b32 exec_lo, exec_lo, s19
	s_and_saveexec_b32 s19, s3
	s_cbranch_execz .LBB180_2
	s_branch .LBB180_16
.LBB180_14:                             ;   in Loop: Header=BB180_3 Depth=1
	ds_load_u16 v0, v5
	s_or_b32 exec_lo, exec_lo, s19
	s_and_saveexec_b32 s19, s0
	s_cbranch_execz .LBB180_13
.LBB180_15:                             ;   in Loop: Header=BB180_3 Depth=1
	s_wait_dscnt 0x0
	v_and_b32_e32 v1, 0xffff, v0
	ds_bpermute_b32 v1, v7, v1
	s_wait_dscnt 0x0
	v_add_f16_e32 v0, v0, v1
	s_delay_alu instid0(VALU_DEP_1) | instskip(NEXT) | instid1(VALU_DEP_1)
	v_and_b32_e32 v2, 0xffff, v0
	v_and_or_b32 v1, 0xffff0000, v1, v2
	ds_bpermute_b32 v1, v8, v1
	s_wait_dscnt 0x0
	v_add_f16_e32 v0, v0, v1
	s_delay_alu instid0(VALU_DEP_1) | instskip(NEXT) | instid1(VALU_DEP_1)
	v_and_b32_e32 v2, 0xffff, v0
	v_and_or_b32 v1, 0xffff0000, v1, v2
	;; [unrolled: 6-line block ×3, first 2 shown]
	ds_bpermute_b32 v1, v10, v1
	s_wait_dscnt 0x0
	v_add_f16_e32 v0, v0, v1
	s_or_b32 exec_lo, exec_lo, s19
	s_and_saveexec_b32 s19, s3
	s_cbranch_execz .LBB180_2
.LBB180_16:                             ;   in Loop: Header=BB180_3 Depth=1
	s_and_b32 vcc_lo, exec_lo, s33
	s_mov_b32 s34, -1
	s_cbranch_vccz .LBB180_18
; %bb.17:                               ;   in Loop: Header=BB180_3 Depth=1
	s_mul_u64 s[34:35], s[22:23], s[20:21]
	s_delay_alu instid0(SALU_CYCLE_1) | instskip(NEXT) | instid1(SALU_CYCLE_1)
	s_lshl_b64 s[34:35], s[34:35], 1
	s_add_nc_u64 s[36:37], s[4:5], s[34:35]
	s_mov_b32 s34, 0
	s_wait_dscnt 0x0
	global_store_b16 v12, v0, s[36:37]
.LBB180_18:                             ;   in Loop: Header=BB180_3 Depth=1
	s_and_not1_b32 vcc_lo, exec_lo, s34
	s_cbranch_vccnz .LBB180_2
; %bb.19:                               ;   in Loop: Header=BB180_3 Depth=1
	s_lshl_b64 s[34:35], s[20:21], 1
	s_delay_alu instid0(SALU_CYCLE_1)
	s_add_nc_u64 s[34:35], s[6:7], s[34:35]
	s_wait_dscnt 0x0
	global_store_b16 v12, v0, s[34:35]
	s_branch .LBB180_2
.LBB180_20:
	s_endpgm
	.section	.rodata,"a",@progbits
	.p2align	6, 0x0
	.amdhsa_kernel _ZL18rocblas_dot_kernelIiLb0ELi512ELi8ELb1EDF16_PKDF16_DF16_EviT5_lT_lS2_lS3_liPT6_PT4_
		.amdhsa_group_segment_fixed_size 64
		.amdhsa_private_segment_fixed_size 0
		.amdhsa_kernarg_size 352
		.amdhsa_user_sgpr_count 2
		.amdhsa_user_sgpr_dispatch_ptr 0
		.amdhsa_user_sgpr_queue_ptr 0
		.amdhsa_user_sgpr_kernarg_segment_ptr 1
		.amdhsa_user_sgpr_dispatch_id 0
		.amdhsa_user_sgpr_kernarg_preload_length 0
		.amdhsa_user_sgpr_kernarg_preload_offset 0
		.amdhsa_user_sgpr_private_segment_size 0
		.amdhsa_wavefront_size32 1
		.amdhsa_uses_dynamic_stack 0
		.amdhsa_enable_private_segment 0
		.amdhsa_system_sgpr_workgroup_id_x 1
		.amdhsa_system_sgpr_workgroup_id_y 0
		.amdhsa_system_sgpr_workgroup_id_z 1
		.amdhsa_system_sgpr_workgroup_info 0
		.amdhsa_system_vgpr_workitem_id 0
		.amdhsa_next_free_vgpr 16
		.amdhsa_next_free_sgpr 38
		.amdhsa_named_barrier_count 0
		.amdhsa_reserve_vcc 1
		.amdhsa_float_round_mode_32 0
		.amdhsa_float_round_mode_16_64 0
		.amdhsa_float_denorm_mode_32 3
		.amdhsa_float_denorm_mode_16_64 3
		.amdhsa_fp16_overflow 0
		.amdhsa_memory_ordered 1
		.amdhsa_forward_progress 1
		.amdhsa_inst_pref_size 10
		.amdhsa_round_robin_scheduling 0
		.amdhsa_exception_fp_ieee_invalid_op 0
		.amdhsa_exception_fp_denorm_src 0
		.amdhsa_exception_fp_ieee_div_zero 0
		.amdhsa_exception_fp_ieee_overflow 0
		.amdhsa_exception_fp_ieee_underflow 0
		.amdhsa_exception_fp_ieee_inexact 0
		.amdhsa_exception_int_div_zero 0
	.end_amdhsa_kernel
	.section	.text._ZL18rocblas_dot_kernelIiLb0ELi512ELi8ELb1EDF16_PKDF16_DF16_EviT5_lT_lS2_lS3_liPT6_PT4_,"axG",@progbits,_ZL18rocblas_dot_kernelIiLb0ELi512ELi8ELb1EDF16_PKDF16_DF16_EviT5_lT_lS2_lS3_liPT6_PT4_,comdat
.Lfunc_end180:
	.size	_ZL18rocblas_dot_kernelIiLb0ELi512ELi8ELb1EDF16_PKDF16_DF16_EviT5_lT_lS2_lS3_liPT6_PT4_, .Lfunc_end180-_ZL18rocblas_dot_kernelIiLb0ELi512ELi8ELb1EDF16_PKDF16_DF16_EviT5_lT_lS2_lS3_liPT6_PT4_
                                        ; -- End function
	.set _ZL18rocblas_dot_kernelIiLb0ELi512ELi8ELb1EDF16_PKDF16_DF16_EviT5_lT_lS2_lS3_liPT6_PT4_.num_vgpr, 16
	.set _ZL18rocblas_dot_kernelIiLb0ELi512ELi8ELb1EDF16_PKDF16_DF16_EviT5_lT_lS2_lS3_liPT6_PT4_.num_agpr, 0
	.set _ZL18rocblas_dot_kernelIiLb0ELi512ELi8ELb1EDF16_PKDF16_DF16_EviT5_lT_lS2_lS3_liPT6_PT4_.numbered_sgpr, 38
	.set _ZL18rocblas_dot_kernelIiLb0ELi512ELi8ELb1EDF16_PKDF16_DF16_EviT5_lT_lS2_lS3_liPT6_PT4_.num_named_barrier, 0
	.set _ZL18rocblas_dot_kernelIiLb0ELi512ELi8ELb1EDF16_PKDF16_DF16_EviT5_lT_lS2_lS3_liPT6_PT4_.private_seg_size, 0
	.set _ZL18rocblas_dot_kernelIiLb0ELi512ELi8ELb1EDF16_PKDF16_DF16_EviT5_lT_lS2_lS3_liPT6_PT4_.uses_vcc, 1
	.set _ZL18rocblas_dot_kernelIiLb0ELi512ELi8ELb1EDF16_PKDF16_DF16_EviT5_lT_lS2_lS3_liPT6_PT4_.uses_flat_scratch, 0
	.set _ZL18rocblas_dot_kernelIiLb0ELi512ELi8ELb1EDF16_PKDF16_DF16_EviT5_lT_lS2_lS3_liPT6_PT4_.has_dyn_sized_stack, 0
	.set _ZL18rocblas_dot_kernelIiLb0ELi512ELi8ELb1EDF16_PKDF16_DF16_EviT5_lT_lS2_lS3_liPT6_PT4_.has_recursion, 0
	.set _ZL18rocblas_dot_kernelIiLb0ELi512ELi8ELb1EDF16_PKDF16_DF16_EviT5_lT_lS2_lS3_liPT6_PT4_.has_indirect_call, 0
	.section	.AMDGPU.csdata,"",@progbits
; Kernel info:
; codeLenInByte = 1236
; TotalNumSgprs: 40
; NumVgprs: 16
; ScratchSize: 0
; MemoryBound: 0
; FloatMode: 240
; IeeeMode: 1
; LDSByteSize: 64 bytes/workgroup (compile time only)
; SGPRBlocks: 0
; VGPRBlocks: 0
; NumSGPRsForWavesPerEU: 40
; NumVGPRsForWavesPerEU: 16
; NamedBarCnt: 0
; Occupancy: 16
; WaveLimiterHint : 0
; COMPUTE_PGM_RSRC2:SCRATCH_EN: 0
; COMPUTE_PGM_RSRC2:USER_SGPR: 2
; COMPUTE_PGM_RSRC2:TRAP_HANDLER: 0
; COMPUTE_PGM_RSRC2:TGID_X_EN: 1
; COMPUTE_PGM_RSRC2:TGID_Y_EN: 0
; COMPUTE_PGM_RSRC2:TGID_Z_EN: 1
; COMPUTE_PGM_RSRC2:TIDIG_COMP_CNT: 0
	.section	.text._ZL24rocblas_dot_kernel_magsqIiLb0ELi512ELi8ELb1EDF16_PKDF16_DF16_EviT5_lT_liPT6_PT4_,"axG",@progbits,_ZL24rocblas_dot_kernel_magsqIiLb0ELi512ELi8ELb1EDF16_PKDF16_DF16_EviT5_lT_liPT6_PT4_,comdat
	.globl	_ZL24rocblas_dot_kernel_magsqIiLb0ELi512ELi8ELb1EDF16_PKDF16_DF16_EviT5_lT_liPT6_PT4_ ; -- Begin function _ZL24rocblas_dot_kernel_magsqIiLb0ELi512ELi8ELb1EDF16_PKDF16_DF16_EviT5_lT_liPT6_PT4_
	.p2align	8
	.type	_ZL24rocblas_dot_kernel_magsqIiLb0ELi512ELi8ELb1EDF16_PKDF16_DF16_EviT5_lT_liPT6_PT4_,@function
_ZL24rocblas_dot_kernel_magsqIiLb0ELi512ELi8ELb1EDF16_PKDF16_DF16_EviT5_lT_liPT6_PT4_: ; @_ZL24rocblas_dot_kernel_magsqIiLb0ELi512ELi8ELb1EDF16_PKDF16_DF16_EviT5_lT_liPT6_PT4_
; %bb.0:
	s_load_b32 s22, s[0:1], 0x28
	s_bfe_u32 s2, ttmp6, 0x40014
	s_lshr_b32 s3, ttmp7, 16
	s_add_co_i32 s2, s2, 1
	s_bfe_u32 s5, ttmp6, 0x40008
	s_mul_i32 s4, s3, s2
	s_getreg_b32 s2, hwreg(HW_REG_IB_STS2, 6, 4)
	s_add_co_i32 s5, s5, s4
	s_cmp_eq_u32 s2, 0
	s_mov_b32 s13, 0
	s_cselect_b32 s12, s3, s5
	s_wait_kmcnt 0x0
	s_cmp_ge_u32 s12, s22
	s_cbranch_scc1 .LBB181_20
; %bb.1:
	v_mbcnt_lo_u32_b32 v7, -1, 0
	s_clause 0x5
	s_load_b32 s18, s[0:1], 0x18
	s_load_b128 s[4:7], s[0:1], 0x30
	s_load_b32 s14, s[0:1], 0x40
	s_load_b128 s[8:11], s[0:1], 0x8
	s_load_b64 s[20:21], s[0:1], 0x20
	s_load_b32 s23, s[0:1], 0x0
	s_wait_xcnt 0x0
	s_bfe_u32 s0, ttmp6, 0x4000c
	s_and_b32 s1, ttmp6, 15
	s_add_co_i32 s3, s0, 1
	v_cmp_gt_u32_e32 vcc_lo, 24, v7
	s_mul_i32 s3, ttmp9, s3
	v_dual_lshrrev_b32 v10, 4, v0 :: v_dual_bitop2_b32 v1, 31, v0 bitop3:0x40
	s_add_co_i32 s1, s1, s3
	v_cndmask_b32_e64 v5, 0, 8, vcc_lo
	v_cmp_gt_u32_e32 vcc_lo, 28, v7
	s_mov_b32 s27, s13
	v_cmp_gt_u32_e64 s0, 32, v0
	v_lshlrev_b32_e32 v2, 1, v1
	v_lshl_or_b32 v3, v7, 2, 64
	v_cndmask_b32_e64 v6, 0, 4, vcc_lo
	v_cmp_gt_u32_e32 vcc_lo, 30, v7
	s_wait_kmcnt 0x0
	s_ashr_i32 s19, s18, 31
	s_cmp_eq_u32 s2, 0
	v_add_lshl_u32 v5, v5, v7, 2
	s_cselect_b32 s26, ttmp9, s1
	v_cndmask_b32_e64 v8, 0, 2, vcc_lo
	v_cmp_ne_u32_e32 vcc_lo, 31, v7
	s_cmp_lg_u32 s14, 1
	v_lshl_or_b32 v4, s26, 9, v0
	s_cselect_b32 s24, -1, 0
	s_lshl_b32 s16, s14, 9
	v_add_co_ci_u32_e64 v9, null, 0, v7, vcc_lo
	s_lshl_b64 s[26:27], s[26:27], 1
	s_ashr_i32 s17, s16, 31
	v_add_lshl_u32 v6, v6, v7, 2
	v_add_lshl_u32 v7, v8, v7, 2
	v_lshlrev_b32_e32 v8, 2, v9
	v_cmp_eq_u32_e64 s1, 0, v1
	v_and_b32_e32 v9, 30, v10
	v_cmp_gt_u32_e64 s2, 16, v0
	v_cmp_eq_u32_e64 s3, 0, v0
	v_mov_b32_e32 v10, 0
	s_lshl_b64 s[10:11], s[10:11], 1
	s_add_nc_u64 s[4:5], s[4:5], s[26:27]
	s_mul_u64 s[26:27], s[18:19], s[16:17]
	s_mov_b32 s15, s13
	s_add_nc_u64 s[8:9], s[8:9], s[10:11]
	s_lshl_b64 s[10:11], s[18:19], 1
	s_lshl_b64 s[18:19], s[20:21], 1
	;; [unrolled: 1-line block ×3, first 2 shown]
	s_branch .LBB181_3
.LBB181_2:                              ;   in Loop: Header=BB181_3 Depth=1
	s_wait_xcnt 0x0
	s_or_b32 exec_lo, exec_lo, s17
	s_add_co_i32 s12, s12, 0x10000
	s_delay_alu instid0(SALU_CYCLE_1)
	s_cmp_lt_u32 s12, s22
	s_cbranch_scc0 .LBB181_20
.LBB181_3:                              ; =>This Loop Header: Depth=1
                                        ;     Child Loop BB181_5 Depth 2
	v_mov_b32_e32 v11, 0
	s_mov_b32 s17, exec_lo
	v_cmpx_gt_i32_e64 s23, v4
	s_cbranch_execz .LBB181_7
; %bb.4:                                ;   in Loop: Header=BB181_3 Depth=1
	s_mul_u64 s[26:27], s[18:19], s[12:13]
	v_ashrrev_i32_e32 v11, 31, v4
	s_add_nc_u64 s[26:27], s[8:9], s[26:27]
	s_mov_b32 s25, 0
	s_wait_dscnt 0x0
	v_mad_nc_u64_u32 v[0:1], s10, v4, s[26:27]
	s_mov_b32 s26, 0
	s_delay_alu instid0(VALU_DEP_1) | instskip(NEXT) | instid1(VALU_DEP_1)
	v_mad_u32 v1, s11, v4, v1
	v_mad_u32 v1, s10, v11, v1
	v_mov_b32_e32 v11, 0
.LBB181_5:                              ;   Parent Loop BB181_3 Depth=1
                                        ; =>  This Inner Loop Header: Depth=2
	global_load_u16 v12, v[0:1], off
	v_add_nc_u32_e32 v4, s16, v4
	s_add_co_i32 s27, s26, 1
	s_cmp_gt_u32 s26, 6
	s_wait_xcnt 0x0
	v_add_nc_u64_e32 v[0:1], s[20:21], v[0:1]
	s_cselect_b32 s26, -1, 0
	v_cmp_le_i32_e32 vcc_lo, s23, v4
	s_or_b32 s26, s26, vcc_lo
	s_delay_alu instid0(SALU_CYCLE_1) | instskip(NEXT) | instid1(SALU_CYCLE_1)
	s_and_b32 s26, exec_lo, s26
	s_or_b32 s25, s26, s25
	s_mov_b32 s26, s27
	s_wait_loadcnt 0x0
	v_fmac_f16_e32 v11, v12, v12
	s_and_not1_b32 exec_lo, exec_lo, s25
	s_cbranch_execnz .LBB181_5
; %bb.6:                                ;   in Loop: Header=BB181_3 Depth=1
	s_or_b32 exec_lo, exec_lo, s25
.LBB181_7:                              ;   in Loop: Header=BB181_3 Depth=1
	s_delay_alu instid0(SALU_CYCLE_1)
	s_or_b32 exec_lo, exec_lo, s17
	s_and_saveexec_b32 s17, s0
; %bb.8:                                ;   in Loop: Header=BB181_3 Depth=1
	ds_store_b16 v2, v10
; %bb.9:                                ;   in Loop: Header=BB181_3 Depth=1
	s_or_b32 exec_lo, exec_lo, s17
	s_wait_dscnt 0x0
	v_and_b32_e32 v0, 0xffff, v11
	s_wait_dscnt 0x0
	s_barrier_signal -1
	s_barrier_wait -1
	ds_bpermute_b32 v0, v3, v0
	s_wait_dscnt 0x0
	v_add_f16_e32 v1, v11, v0
	s_delay_alu instid0(VALU_DEP_1) | instskip(NEXT) | instid1(VALU_DEP_1)
	v_and_b32_e32 v11, 0xffff, v1
	v_and_or_b32 v0, 0xffff0000, v0, v11
	ds_bpermute_b32 v0, v5, v0
	s_wait_dscnt 0x0
	v_add_f16_e32 v1, v1, v0
	s_delay_alu instid0(VALU_DEP_1) | instskip(NEXT) | instid1(VALU_DEP_1)
	v_and_b32_e32 v11, 0xffff, v1
	v_and_or_b32 v0, 0xffff0000, v0, v11
	;; [unrolled: 6-line block ×4, first 2 shown]
	ds_bpermute_b32 v1, v8, v1
	s_and_saveexec_b32 s17, s1
	s_cbranch_execz .LBB181_11
; %bb.10:                               ;   in Loop: Header=BB181_3 Depth=1
	s_wait_dscnt 0x0
	v_add_f16_e32 v0, v0, v1
	ds_store_b16 v9, v0
.LBB181_11:                             ;   in Loop: Header=BB181_3 Depth=1
	s_or_b32 exec_lo, exec_lo, s17
	v_mov_b32_e32 v0, 0
	s_wait_dscnt 0x0
	s_barrier_signal -1
	s_barrier_wait -1
	s_and_saveexec_b32 s17, s2
	s_cbranch_execnz .LBB181_14
; %bb.12:                               ;   in Loop: Header=BB181_3 Depth=1
	s_or_b32 exec_lo, exec_lo, s17
	s_and_saveexec_b32 s17, s0
	s_cbranch_execnz .LBB181_15
.LBB181_13:                             ;   in Loop: Header=BB181_3 Depth=1
	s_or_b32 exec_lo, exec_lo, s17
	s_and_saveexec_b32 s17, s3
	s_cbranch_execz .LBB181_2
	s_branch .LBB181_16
.LBB181_14:                             ;   in Loop: Header=BB181_3 Depth=1
	ds_load_u16 v0, v2
	s_or_b32 exec_lo, exec_lo, s17
	s_and_saveexec_b32 s17, s0
	s_cbranch_execz .LBB181_13
.LBB181_15:                             ;   in Loop: Header=BB181_3 Depth=1
	s_wait_dscnt 0x0
	v_and_b32_e32 v1, 0xffff, v0
	ds_bpermute_b32 v1, v5, v1
	s_wait_dscnt 0x0
	v_add_f16_e32 v0, v0, v1
	s_delay_alu instid0(VALU_DEP_1) | instskip(NEXT) | instid1(VALU_DEP_1)
	v_and_b32_e32 v11, 0xffff, v0
	v_and_or_b32 v1, 0xffff0000, v1, v11
	ds_bpermute_b32 v1, v6, v1
	s_wait_dscnt 0x0
	v_add_f16_e32 v0, v0, v1
	s_delay_alu instid0(VALU_DEP_1) | instskip(NEXT) | instid1(VALU_DEP_1)
	v_and_b32_e32 v11, 0xffff, v0
	v_and_or_b32 v1, 0xffff0000, v1, v11
	;; [unrolled: 6-line block ×3, first 2 shown]
	ds_bpermute_b32 v1, v8, v1
	s_wait_dscnt 0x0
	v_add_f16_e32 v0, v0, v1
	s_or_b32 exec_lo, exec_lo, s17
	s_and_saveexec_b32 s17, s3
	s_cbranch_execz .LBB181_2
.LBB181_16:                             ;   in Loop: Header=BB181_3 Depth=1
	s_and_b32 vcc_lo, exec_lo, s24
	s_mov_b32 s25, -1
	s_cbranch_vccz .LBB181_18
; %bb.17:                               ;   in Loop: Header=BB181_3 Depth=1
	s_mul_u64 s[26:27], s[14:15], s[12:13]
	s_mov_b32 s25, 0
	s_lshl_b64 s[26:27], s[26:27], 1
	s_delay_alu instid0(SALU_CYCLE_1)
	s_add_nc_u64 s[26:27], s[4:5], s[26:27]
	s_wait_dscnt 0x0
	global_store_b16 v10, v0, s[26:27]
.LBB181_18:                             ;   in Loop: Header=BB181_3 Depth=1
	s_and_not1_b32 vcc_lo, exec_lo, s25
	s_cbranch_vccnz .LBB181_2
; %bb.19:                               ;   in Loop: Header=BB181_3 Depth=1
	s_wait_xcnt 0x0
	s_lshl_b64 s[26:27], s[12:13], 1
	s_delay_alu instid0(SALU_CYCLE_1)
	s_add_nc_u64 s[26:27], s[6:7], s[26:27]
	s_wait_dscnt 0x0
	global_store_b16 v10, v0, s[26:27]
	s_branch .LBB181_2
.LBB181_20:
	s_endpgm
	.section	.rodata,"a",@progbits
	.p2align	6, 0x0
	.amdhsa_kernel _ZL24rocblas_dot_kernel_magsqIiLb0ELi512ELi8ELb1EDF16_PKDF16_DF16_EviT5_lT_liPT6_PT4_
		.amdhsa_group_segment_fixed_size 64
		.amdhsa_private_segment_fixed_size 0
		.amdhsa_kernarg_size 320
		.amdhsa_user_sgpr_count 2
		.amdhsa_user_sgpr_dispatch_ptr 0
		.amdhsa_user_sgpr_queue_ptr 0
		.amdhsa_user_sgpr_kernarg_segment_ptr 1
		.amdhsa_user_sgpr_dispatch_id 0
		.amdhsa_user_sgpr_kernarg_preload_length 0
		.amdhsa_user_sgpr_kernarg_preload_offset 0
		.amdhsa_user_sgpr_private_segment_size 0
		.amdhsa_wavefront_size32 1
		.amdhsa_uses_dynamic_stack 0
		.amdhsa_enable_private_segment 0
		.amdhsa_system_sgpr_workgroup_id_x 1
		.amdhsa_system_sgpr_workgroup_id_y 0
		.amdhsa_system_sgpr_workgroup_id_z 1
		.amdhsa_system_sgpr_workgroup_info 0
		.amdhsa_system_vgpr_workitem_id 0
		.amdhsa_next_free_vgpr 13
		.amdhsa_next_free_sgpr 28
		.amdhsa_named_barrier_count 0
		.amdhsa_reserve_vcc 1
		.amdhsa_float_round_mode_32 0
		.amdhsa_float_round_mode_16_64 0
		.amdhsa_float_denorm_mode_32 3
		.amdhsa_float_denorm_mode_16_64 3
		.amdhsa_fp16_overflow 0
		.amdhsa_memory_ordered 1
		.amdhsa_forward_progress 1
		.amdhsa_inst_pref_size 9
		.amdhsa_round_robin_scheduling 0
		.amdhsa_exception_fp_ieee_invalid_op 0
		.amdhsa_exception_fp_denorm_src 0
		.amdhsa_exception_fp_ieee_div_zero 0
		.amdhsa_exception_fp_ieee_overflow 0
		.amdhsa_exception_fp_ieee_underflow 0
		.amdhsa_exception_fp_ieee_inexact 0
		.amdhsa_exception_int_div_zero 0
	.end_amdhsa_kernel
	.section	.text._ZL24rocblas_dot_kernel_magsqIiLb0ELi512ELi8ELb1EDF16_PKDF16_DF16_EviT5_lT_liPT6_PT4_,"axG",@progbits,_ZL24rocblas_dot_kernel_magsqIiLb0ELi512ELi8ELb1EDF16_PKDF16_DF16_EviT5_lT_liPT6_PT4_,comdat
.Lfunc_end181:
	.size	_ZL24rocblas_dot_kernel_magsqIiLb0ELi512ELi8ELb1EDF16_PKDF16_DF16_EviT5_lT_liPT6_PT4_, .Lfunc_end181-_ZL24rocblas_dot_kernel_magsqIiLb0ELi512ELi8ELb1EDF16_PKDF16_DF16_EviT5_lT_liPT6_PT4_
                                        ; -- End function
	.set _ZL24rocblas_dot_kernel_magsqIiLb0ELi512ELi8ELb1EDF16_PKDF16_DF16_EviT5_lT_liPT6_PT4_.num_vgpr, 13
	.set _ZL24rocblas_dot_kernel_magsqIiLb0ELi512ELi8ELb1EDF16_PKDF16_DF16_EviT5_lT_liPT6_PT4_.num_agpr, 0
	.set _ZL24rocblas_dot_kernel_magsqIiLb0ELi512ELi8ELb1EDF16_PKDF16_DF16_EviT5_lT_liPT6_PT4_.numbered_sgpr, 28
	.set _ZL24rocblas_dot_kernel_magsqIiLb0ELi512ELi8ELb1EDF16_PKDF16_DF16_EviT5_lT_liPT6_PT4_.num_named_barrier, 0
	.set _ZL24rocblas_dot_kernel_magsqIiLb0ELi512ELi8ELb1EDF16_PKDF16_DF16_EviT5_lT_liPT6_PT4_.private_seg_size, 0
	.set _ZL24rocblas_dot_kernel_magsqIiLb0ELi512ELi8ELb1EDF16_PKDF16_DF16_EviT5_lT_liPT6_PT4_.uses_vcc, 1
	.set _ZL24rocblas_dot_kernel_magsqIiLb0ELi512ELi8ELb1EDF16_PKDF16_DF16_EviT5_lT_liPT6_PT4_.uses_flat_scratch, 0
	.set _ZL24rocblas_dot_kernel_magsqIiLb0ELi512ELi8ELb1EDF16_PKDF16_DF16_EviT5_lT_liPT6_PT4_.has_dyn_sized_stack, 0
	.set _ZL24rocblas_dot_kernel_magsqIiLb0ELi512ELi8ELb1EDF16_PKDF16_DF16_EviT5_lT_liPT6_PT4_.has_recursion, 0
	.set _ZL24rocblas_dot_kernel_magsqIiLb0ELi512ELi8ELb1EDF16_PKDF16_DF16_EviT5_lT_liPT6_PT4_.has_indirect_call, 0
	.section	.AMDGPU.csdata,"",@progbits
; Kernel info:
; codeLenInByte = 1136
; TotalNumSgprs: 30
; NumVgprs: 13
; ScratchSize: 0
; MemoryBound: 0
; FloatMode: 240
; IeeeMode: 1
; LDSByteSize: 64 bytes/workgroup (compile time only)
; SGPRBlocks: 0
; VGPRBlocks: 0
; NumSGPRsForWavesPerEU: 30
; NumVGPRsForWavesPerEU: 13
; NamedBarCnt: 0
; Occupancy: 16
; WaveLimiterHint : 0
; COMPUTE_PGM_RSRC2:SCRATCH_EN: 0
; COMPUTE_PGM_RSRC2:USER_SGPR: 2
; COMPUTE_PGM_RSRC2:TRAP_HANDLER: 0
; COMPUTE_PGM_RSRC2:TGID_X_EN: 1
; COMPUTE_PGM_RSRC2:TGID_Y_EN: 0
; COMPUTE_PGM_RSRC2:TGID_Z_EN: 1
; COMPUTE_PGM_RSRC2:TIDIG_COMP_CNT: 0
	.section	.text._ZL30rocblas_reduction_kernel_part2ILi512ELi8E25rocblas_finalize_identityDF16_DF16_EviPT2_PT3_,"axG",@progbits,_ZL30rocblas_reduction_kernel_part2ILi512ELi8E25rocblas_finalize_identityDF16_DF16_EviPT2_PT3_,comdat
	.globl	_ZL30rocblas_reduction_kernel_part2ILi512ELi8E25rocblas_finalize_identityDF16_DF16_EviPT2_PT3_ ; -- Begin function _ZL30rocblas_reduction_kernel_part2ILi512ELi8E25rocblas_finalize_identityDF16_DF16_EviPT2_PT3_
	.p2align	8
	.type	_ZL30rocblas_reduction_kernel_part2ILi512ELi8E25rocblas_finalize_identityDF16_DF16_EviPT2_PT3_,@function
_ZL30rocblas_reduction_kernel_part2ILi512ELi8E25rocblas_finalize_identityDF16_DF16_EviPT2_PT3_: ; @_ZL30rocblas_reduction_kernel_part2ILi512ELi8E25rocblas_finalize_identityDF16_DF16_EviPT2_PT3_
; %bb.0:
	s_clause 0x1
	s_load_b32 s6, s[0:1], 0x0
	s_load_b64 s[8:9], s[0:1], 0x8
	s_bfe_u32 s2, ttmp6, 0x4000c
	s_and_b32 s3, ttmp6, 15
	s_add_co_i32 s2, s2, 1
	s_getreg_b32 s4, hwreg(HW_REG_IB_STS2, 6, 4)
	s_mul_i32 s2, ttmp9, s2
	v_dual_lshlrev_b32 v1, 3, v0 :: v_dual_mov_b32 v3, 0
	s_add_co_i32 s3, s3, s2
	s_wait_kmcnt 0x0
	s_ashr_i32 s7, s6, 31
	s_cmp_eq_u32 s4, 0
	s_mov_b32 s4, exec_lo
	s_cselect_b32 s2, ttmp9, s3
	s_lshr_b32 s3, s7, 29
	s_delay_alu instid0(SALU_CYCLE_1) | instskip(NEXT) | instid1(SALU_CYCLE_1)
	s_add_co_i32 s3, s6, s3
	s_and_b32 s12, s3, -8
	s_mov_b32 s3, 0
	s_delay_alu instid0(SALU_CYCLE_1)
	s_mul_u64 s[10:11], s[6:7], s[2:3]
	v_cmpx_gt_i32_e64 s12, v1
	s_cbranch_execz .LBB182_4
; %bb.1:
	v_dual_mov_b32 v3, 0 :: v_dual_lshlrev_b32 v2, 4, v0
	s_lshl_b64 s[14:15], s[10:11], 1
	s_mov_b32 s5, s3
	s_add_nc_u64 s[14:15], s[8:9], s[14:15]
	s_delay_alu instid0(VALU_DEP_1) | instid1(SALU_CYCLE_1)
	v_add_nc_u64_e32 v[4:5], s[14:15], v[2:3]
	s_delay_alu instid0(VALU_DEP_1)
	v_add_nc_u64_e32 v[4:5], 14, v[4:5]
.LBB182_2:                              ; =>This Inner Loop Header: Depth=1
	global_load_b128 v[6:9], v[4:5], off offset:-14
	v_add_nc_u32_e32 v1, 0x1000, v1
	s_wait_xcnt 0x0
	v_add_nc_u64_e32 v[4:5], 0x2000, v[4:5]
	s_delay_alu instid0(VALU_DEP_2) | instskip(SKIP_4) | instid1(VALU_DEP_1)
	v_cmp_le_i32_e32 vcc_lo, s12, v1
	s_or_b32 s5, vcc_lo, s5
	s_wait_loadcnt 0x0
	v_lshrrev_b32_e32 v2, 16, v6
	v_add_f16_e32 v3, v3, v6
	v_add_f16_e32 v2, v3, v2
	v_lshrrev_b32_e32 v3, 16, v7
	s_delay_alu instid0(VALU_DEP_2) | instskip(NEXT) | instid1(VALU_DEP_1)
	v_add_f16_e32 v2, v2, v7
	v_add_f16_e32 v2, v2, v3
	v_lshrrev_b32_e32 v3, 16, v8
	s_delay_alu instid0(VALU_DEP_2) | instskip(NEXT) | instid1(VALU_DEP_1)
	;; [unrolled: 4-line block ×3, first 2 shown]
	v_add_f16_e32 v2, v2, v9
	v_add_f16_e32 v3, v2, v3
	s_and_not1_b32 exec_lo, exec_lo, s5
	s_cbranch_execnz .LBB182_2
; %bb.3:
	s_or_b32 exec_lo, exec_lo, s5
.LBB182_4:
	s_delay_alu instid0(SALU_CYCLE_1) | instskip(SKIP_3) | instid1(SALU_CYCLE_1)
	s_or_b32 exec_lo, exec_lo, s4
	s_load_b64 s[4:5], s[0:1], 0x10
	s_wait_xcnt 0x0
	s_sub_co_i32 s0, s6, s12
	v_cmp_gt_u32_e32 vcc_lo, s0, v0
	s_and_saveexec_b32 s0, vcc_lo
	s_cbranch_execz .LBB182_6
; %bb.5:
	v_xad_u32 v1, v0, -1, s6
	s_lshl_b64 s[6:7], s[10:11], 1
	s_delay_alu instid0(SALU_CYCLE_1)
	s_add_nc_u64 s[6:7], s[8:9], s[6:7]
	global_load_u16 v1, v1, s[6:7] scale_offset
	s_wait_loadcnt 0x0
	v_add_f16_e32 v3, v3, v1
.LBB182_6:
	s_or_b32 exec_lo, exec_lo, s0
	v_and_b32_e32 v6, 31, v0
	v_cmp_gt_u32_e32 vcc_lo, 32, v0
	s_delay_alu instid0(VALU_DEP_2)
	v_lshlrev_b32_e32 v1, 1, v6
	s_and_saveexec_b32 s0, vcc_lo
; %bb.7:
	v_mov_b32_e32 v2, 0
	ds_store_b16 v1, v2
; %bb.8:
	s_or_b32 exec_lo, exec_lo, s0
	v_mbcnt_lo_u32_b32 v5, -1, 0
	v_and_b32_e32 v2, 0xffff, v3
	s_mov_b32 s1, exec_lo
	s_wait_dscnt 0x0
	s_barrier_signal -1
	v_lshl_or_b32 v4, v5, 2, 64
	v_cmp_gt_u32_e64 s0, 24, v5
	s_barrier_wait -1
	ds_bpermute_b32 v4, v4, v2
	v_cndmask_b32_e64 v2, 0, 8, s0
	v_cmp_gt_u32_e64 s0, 28, v5
	s_delay_alu instid0(VALU_DEP_2) | instskip(SKIP_2) | instid1(VALU_DEP_1)
	v_add_lshl_u32 v2, v2, v5, 2
	s_wait_dscnt 0x0
	v_add_f16_e32 v3, v3, v4
	v_and_b32_e32 v7, 0xffff, v3
	s_delay_alu instid0(VALU_DEP_1)
	v_and_or_b32 v4, 0xffff0000, v4, v7
	ds_bpermute_b32 v4, v2, v4
	s_wait_dscnt 0x0
	v_add_f16_e32 v7, v3, v4
	v_cndmask_b32_e64 v3, 0, 4, s0
	v_cmp_gt_u32_e64 s0, 30, v5
	s_delay_alu instid0(VALU_DEP_3) | instskip(NEXT) | instid1(VALU_DEP_3)
	v_and_b32_e32 v8, 0xffff, v7
	v_add_lshl_u32 v3, v3, v5, 2
	s_delay_alu instid0(VALU_DEP_2) | instskip(SKIP_3) | instid1(VALU_DEP_2)
	v_and_or_b32 v4, 0xffff0000, v4, v8
	ds_bpermute_b32 v8, v3, v4
	v_cndmask_b32_e64 v4, 0, 2, s0
	v_cmp_ne_u32_e64 s0, 31, v5
	v_add_lshl_u32 v4, v4, v5, 2
	s_delay_alu instid0(VALU_DEP_2) | instskip(NEXT) | instid1(VALU_DEP_1)
	v_add_co_ci_u32_e64 v5, null, 0, v5, s0
	v_lshlrev_b32_e32 v5, 2, v5
	s_wait_dscnt 0x0
	v_add_f16_e32 v7, v7, v8
	s_delay_alu instid0(VALU_DEP_1) | instskip(NEXT) | instid1(VALU_DEP_1)
	v_and_b32_e32 v9, 0xffff, v7
	v_and_or_b32 v8, 0xffff0000, v8, v9
	ds_bpermute_b32 v8, v4, v8
	s_wait_dscnt 0x0
	v_add_f16_e32 v7, v7, v8
	s_delay_alu instid0(VALU_DEP_1) | instskip(NEXT) | instid1(VALU_DEP_1)
	v_and_b32_e32 v9, 0xffff, v7
	v_and_or_b32 v8, 0xffff0000, v8, v9
	ds_bpermute_b32 v8, v5, v8
	v_cmpx_eq_u32_e32 0, v6
	s_cbranch_execz .LBB182_10
; %bb.9:
	v_lshrrev_b32_e32 v6, 4, v0
	s_wait_dscnt 0x0
	v_add_f16_e32 v7, v7, v8
	s_delay_alu instid0(VALU_DEP_2)
	v_and_b32_e32 v6, 30, v6
	ds_store_b16 v6, v7
.LBB182_10:
	s_or_b32 exec_lo, exec_lo, s1
	v_mov_b32_e32 v6, 0
	s_mov_b32 s1, exec_lo
	s_wait_dscnt 0x0
	s_barrier_signal -1
	s_barrier_wait -1
	v_cmpx_gt_u32_e32 16, v0
; %bb.11:
	ds_load_u16 v6, v1
; %bb.12:
	s_or_b32 exec_lo, exec_lo, s1
	s_and_saveexec_b32 s0, vcc_lo
	s_cbranch_execz .LBB182_14
; %bb.13:
	s_wait_dscnt 0x0
	v_and_b32_e32 v1, 0xffff, v6
	ds_bpermute_b32 v1, v2, v1
	s_wait_dscnt 0x0
	v_add_f16_e32 v2, v6, v1
	s_delay_alu instid0(VALU_DEP_1) | instskip(NEXT) | instid1(VALU_DEP_1)
	v_and_b32_e32 v6, 0xffff, v2
	v_and_or_b32 v1, 0xffff0000, v1, v6
	ds_bpermute_b32 v1, v3, v1
	s_wait_dscnt 0x0
	v_add_f16_e32 v2, v2, v1
	s_delay_alu instid0(VALU_DEP_1) | instskip(NEXT) | instid1(VALU_DEP_1)
	v_and_b32_e32 v3, 0xffff, v2
	v_and_or_b32 v1, 0xffff0000, v1, v3
	;; [unrolled: 6-line block ×3, first 2 shown]
	ds_bpermute_b32 v1, v5, v1
	s_wait_dscnt 0x0
	v_add_f16_e32 v6, v2, v1
.LBB182_14:
	s_or_b32 exec_lo, exec_lo, s0
	s_delay_alu instid0(SALU_CYCLE_1)
	s_mov_b32 s0, exec_lo
	v_cmpx_eq_u32_e32 0, v0
	s_cbranch_execz .LBB182_16
; %bb.15:
	v_mov_b32_e32 v0, 0
	s_lshl_b64 s[0:1], s[2:3], 1
	s_wait_kmcnt 0x0
	s_add_nc_u64 s[0:1], s[4:5], s[0:1]
	s_wait_dscnt 0x0
	global_store_b16 v0, v6, s[0:1]
.LBB182_16:
	s_endpgm
	.section	.rodata,"a",@progbits
	.p2align	6, 0x0
	.amdhsa_kernel _ZL30rocblas_reduction_kernel_part2ILi512ELi8E25rocblas_finalize_identityDF16_DF16_EviPT2_PT3_
		.amdhsa_group_segment_fixed_size 64
		.amdhsa_private_segment_fixed_size 0
		.amdhsa_kernarg_size 24
		.amdhsa_user_sgpr_count 2
		.amdhsa_user_sgpr_dispatch_ptr 0
		.amdhsa_user_sgpr_queue_ptr 0
		.amdhsa_user_sgpr_kernarg_segment_ptr 1
		.amdhsa_user_sgpr_dispatch_id 0
		.amdhsa_user_sgpr_kernarg_preload_length 0
		.amdhsa_user_sgpr_kernarg_preload_offset 0
		.amdhsa_user_sgpr_private_segment_size 0
		.amdhsa_wavefront_size32 1
		.amdhsa_uses_dynamic_stack 0
		.amdhsa_enable_private_segment 0
		.amdhsa_system_sgpr_workgroup_id_x 1
		.amdhsa_system_sgpr_workgroup_id_y 0
		.amdhsa_system_sgpr_workgroup_id_z 0
		.amdhsa_system_sgpr_workgroup_info 0
		.amdhsa_system_vgpr_workitem_id 0
		.amdhsa_next_free_vgpr 10
		.amdhsa_next_free_sgpr 16
		.amdhsa_named_barrier_count 0
		.amdhsa_reserve_vcc 1
		.amdhsa_float_round_mode_32 0
		.amdhsa_float_round_mode_16_64 0
		.amdhsa_float_denorm_mode_32 3
		.amdhsa_float_denorm_mode_16_64 3
		.amdhsa_fp16_overflow 0
		.amdhsa_memory_ordered 1
		.amdhsa_forward_progress 1
		.amdhsa_inst_pref_size 8
		.amdhsa_round_robin_scheduling 0
		.amdhsa_exception_fp_ieee_invalid_op 0
		.amdhsa_exception_fp_denorm_src 0
		.amdhsa_exception_fp_ieee_div_zero 0
		.amdhsa_exception_fp_ieee_overflow 0
		.amdhsa_exception_fp_ieee_underflow 0
		.amdhsa_exception_fp_ieee_inexact 0
		.amdhsa_exception_int_div_zero 0
	.end_amdhsa_kernel
	.section	.text._ZL30rocblas_reduction_kernel_part2ILi512ELi8E25rocblas_finalize_identityDF16_DF16_EviPT2_PT3_,"axG",@progbits,_ZL30rocblas_reduction_kernel_part2ILi512ELi8E25rocblas_finalize_identityDF16_DF16_EviPT2_PT3_,comdat
.Lfunc_end182:
	.size	_ZL30rocblas_reduction_kernel_part2ILi512ELi8E25rocblas_finalize_identityDF16_DF16_EviPT2_PT3_, .Lfunc_end182-_ZL30rocblas_reduction_kernel_part2ILi512ELi8E25rocblas_finalize_identityDF16_DF16_EviPT2_PT3_
                                        ; -- End function
	.set _ZL30rocblas_reduction_kernel_part2ILi512ELi8E25rocblas_finalize_identityDF16_DF16_EviPT2_PT3_.num_vgpr, 10
	.set _ZL30rocblas_reduction_kernel_part2ILi512ELi8E25rocblas_finalize_identityDF16_DF16_EviPT2_PT3_.num_agpr, 0
	.set _ZL30rocblas_reduction_kernel_part2ILi512ELi8E25rocblas_finalize_identityDF16_DF16_EviPT2_PT3_.numbered_sgpr, 16
	.set _ZL30rocblas_reduction_kernel_part2ILi512ELi8E25rocblas_finalize_identityDF16_DF16_EviPT2_PT3_.num_named_barrier, 0
	.set _ZL30rocblas_reduction_kernel_part2ILi512ELi8E25rocblas_finalize_identityDF16_DF16_EviPT2_PT3_.private_seg_size, 0
	.set _ZL30rocblas_reduction_kernel_part2ILi512ELi8E25rocblas_finalize_identityDF16_DF16_EviPT2_PT3_.uses_vcc, 1
	.set _ZL30rocblas_reduction_kernel_part2ILi512ELi8E25rocblas_finalize_identityDF16_DF16_EviPT2_PT3_.uses_flat_scratch, 0
	.set _ZL30rocblas_reduction_kernel_part2ILi512ELi8E25rocblas_finalize_identityDF16_DF16_EviPT2_PT3_.has_dyn_sized_stack, 0
	.set _ZL30rocblas_reduction_kernel_part2ILi512ELi8E25rocblas_finalize_identityDF16_DF16_EviPT2_PT3_.has_recursion, 0
	.set _ZL30rocblas_reduction_kernel_part2ILi512ELi8E25rocblas_finalize_identityDF16_DF16_EviPT2_PT3_.has_indirect_call, 0
	.section	.AMDGPU.csdata,"",@progbits
; Kernel info:
; codeLenInByte = 992
; TotalNumSgprs: 18
; NumVgprs: 10
; ScratchSize: 0
; MemoryBound: 0
; FloatMode: 240
; IeeeMode: 1
; LDSByteSize: 64 bytes/workgroup (compile time only)
; SGPRBlocks: 0
; VGPRBlocks: 0
; NumSGPRsForWavesPerEU: 18
; NumVGPRsForWavesPerEU: 10
; NamedBarCnt: 0
; Occupancy: 16
; WaveLimiterHint : 0
; COMPUTE_PGM_RSRC2:SCRATCH_EN: 0
; COMPUTE_PGM_RSRC2:USER_SGPR: 2
; COMPUTE_PGM_RSRC2:TRAP_HANDLER: 0
; COMPUTE_PGM_RSRC2:TGID_X_EN: 1
; COMPUTE_PGM_RSRC2:TGID_Y_EN: 0
; COMPUTE_PGM_RSRC2:TGID_Z_EN: 0
; COMPUTE_PGM_RSRC2:TIDIG_COMP_CNT: 0
	.section	.text._ZL28rocblas_dot_batched_4_kernelIiLi32ELi4ELb1EDF16_DF16_PKPKDF16_EviT5_lT_lS4_lS5_liPT4_,"axG",@progbits,_ZL28rocblas_dot_batched_4_kernelIiLi32ELi4ELb1EDF16_DF16_PKPKDF16_EviT5_lT_lS4_lS5_liPT4_,comdat
	.globl	_ZL28rocblas_dot_batched_4_kernelIiLi32ELi4ELb1EDF16_DF16_PKPKDF16_EviT5_lT_lS4_lS5_liPT4_ ; -- Begin function _ZL28rocblas_dot_batched_4_kernelIiLi32ELi4ELb1EDF16_DF16_PKPKDF16_EviT5_lT_lS4_lS5_liPT4_
	.p2align	8
	.type	_ZL28rocblas_dot_batched_4_kernelIiLi32ELi4ELb1EDF16_DF16_PKPKDF16_EviT5_lT_lS4_lS5_liPT4_,@function
_ZL28rocblas_dot_batched_4_kernelIiLi32ELi4ELb1EDF16_DF16_PKPKDF16_EviT5_lT_lS4_lS5_liPT4_: ; @_ZL28rocblas_dot_batched_4_kernelIiLi32ELi4ELb1EDF16_DF16_PKPKDF16_EviT5_lT_lS4_lS5_liPT4_
; %bb.0:
	s_load_b32 s2, s[0:1], 0x48
	s_bfe_u32 s3, ttmp6, 0x4000c
	s_and_b32 s4, ttmp6, 15
	s_add_co_i32 s3, s3, 1
	v_bfe_u32 v1, v0, 10, 10
	s_mul_i32 s3, ttmp9, s3
	s_delay_alu instid0(SALU_CYCLE_1) | instskip(SKIP_1) | instid1(SALU_CYCLE_1)
	s_add_co_i32 s4, s4, s3
	s_getreg_b32 s3, hwreg(HW_REG_IB_STS2, 6, 4)
	s_cmp_eq_u32 s3, 0
	s_cselect_b32 s3, ttmp9, s4
	s_delay_alu instid0(SALU_CYCLE_1) | instskip(SKIP_1) | instid1(VALU_DEP_1)
	v_lshl_add_u32 v2, s3, 2, v1
	s_wait_kmcnt 0x0
	v_cmp_gt_u32_e32 vcc_lo, s2, v2
	s_and_saveexec_b32 s2, vcc_lo
	s_cbranch_execz .LBB183_7
; %bb.1:
	s_load_b32 s6, s[0:1], 0x0
	v_mov_b32_e32 v3, 0
	v_and_b32_e32 v0, 0x3ff, v0
	s_mov_b32 s7, exec_lo
	s_delay_alu instid0(VALU_DEP_2) | instskip(SKIP_1) | instid1(VALU_DEP_2)
	v_mov_b32_e32 v1, v3
	s_wait_kmcnt 0x0
	v_cmpx_gt_i32_e64 s6, v0
	s_cbranch_execz .LBB183_5
; %bb.2:
	s_clause 0x1
	s_load_b128 s[8:11], s[0:1], 0x8
	s_load_b128 s[12:15], s[0:1], 0x28
	v_lshlrev_b64_e32 v[4:5], 3, v[2:3]
	s_clause 0x1
	s_load_b32 s2, s[0:1], 0x18
	s_load_b32 s4, s[0:1], 0x38
	v_mov_b32_e32 v1, 0
	s_wait_kmcnt 0x0
	s_delay_alu instid0(VALU_DEP_2)
	v_add_nc_u64_e32 v[6:7], s[8:9], v[4:5]
	v_add_nc_u64_e32 v[4:5], s[12:13], v[4:5]
	s_ashr_i32 s3, s2, 31
	s_lshl_b64 s[8:9], s[10:11], 1
	s_ashr_i32 s5, s4, 31
	s_lshl_b64 s[10:11], s[14:15], 1
	global_load_b64 v[8:9], v[6:7], off
	global_load_b64 v[10:11], v[4:5], off
	s_wait_xcnt 0x0
	v_mul_u64_e32 v[4:5], s[2:3], v[0:1]
	s_lshl_b64 s[2:3], s[2:3], 6
	s_delay_alu instid0(VALU_DEP_1) | instskip(SKIP_2) | instid1(VALU_DEP_1)
	v_lshl_add_u64 v[4:5], v[4:5], 1, s[8:9]
	s_mov_b32 s8, 0
	s_wait_loadcnt 0x1
	v_add_nc_u64_e32 v[4:5], v[8:9], v[4:5]
	v_mov_b32_e32 v8, v0
	v_mul_u64_e32 v[6:7], s[4:5], v[0:1]
	s_lshl_b64 s[4:5], s[4:5], 6
	s_delay_alu instid0(VALU_DEP_1) | instskip(SKIP_1) | instid1(VALU_DEP_1)
	v_lshl_add_u64 v[6:7], v[6:7], 1, s[10:11]
	s_wait_loadcnt 0x0
	v_add_nc_u64_e32 v[6:7], v[10:11], v[6:7]
.LBB183_3:                              ; =>This Inner Loop Header: Depth=1
	flat_load_u16 v9, v[4:5]
	flat_load_u16 v10, v[6:7]
	v_add_nc_u32_e32 v8, 32, v8
	s_wait_xcnt 0x1
	v_add_nc_u64_e32 v[4:5], s[2:3], v[4:5]
	s_wait_xcnt 0x0
	v_add_nc_u64_e32 v[6:7], s[4:5], v[6:7]
	v_cmp_le_i32_e32 vcc_lo, s6, v8
	s_or_b32 s8, vcc_lo, s8
	s_wait_loadcnt_dscnt 0x0
	v_fmac_f16_e32 v1, v9, v10
	s_and_not1_b32 exec_lo, exec_lo, s8
	s_cbranch_execnz .LBB183_3
; %bb.4:
	s_or_b32 exec_lo, exec_lo, s8
.LBB183_5:
	s_delay_alu instid0(SALU_CYCLE_1) | instskip(SKIP_4) | instid1(VALU_DEP_2)
	s_or_b32 exec_lo, exec_lo, s7
	v_mbcnt_lo_u32_b32 v4, -1, 0
	v_and_b32_e32 v5, 0xffff, v1
	s_load_b64 s[0:1], s[0:1], 0x50
	s_barrier_signal -1
	v_lshl_or_b32 v6, v4, 2, 64
	v_cmp_gt_u32_e32 vcc_lo, 24, v4
	s_barrier_wait -1
	ds_bpermute_b32 v5, v6, v5
	v_cndmask_b32_e64 v6, 0, 8, vcc_lo
	v_cmp_gt_u32_e32 vcc_lo, 28, v4
	s_delay_alu instid0(VALU_DEP_2) | instskip(SKIP_2) | instid1(VALU_DEP_1)
	v_add_lshl_u32 v6, v6, v4, 2
	s_wait_dscnt 0x0
	v_add_f16_e32 v1, v1, v5
	v_and_b32_e32 v7, 0xffff, v1
	s_delay_alu instid0(VALU_DEP_1) | instskip(SKIP_3) | instid1(VALU_DEP_2)
	v_and_or_b32 v5, 0xffff0000, v5, v7
	ds_bpermute_b32 v5, v6, v5
	v_cndmask_b32_e64 v6, 0, 4, vcc_lo
	v_cmp_gt_u32_e32 vcc_lo, 30, v4
	v_add_lshl_u32 v6, v6, v4, 2
	s_wait_dscnt 0x0
	v_add_f16_e32 v1, v1, v5
	s_delay_alu instid0(VALU_DEP_1) | instskip(NEXT) | instid1(VALU_DEP_1)
	v_and_b32_e32 v7, 0xffff, v1
	v_and_or_b32 v5, 0xffff0000, v5, v7
	ds_bpermute_b32 v5, v6, v5
	v_cndmask_b32_e64 v6, 0, 2, vcc_lo
	v_cmp_ne_u32_e32 vcc_lo, 31, v4
	s_delay_alu instid0(VALU_DEP_2) | instskip(SKIP_2) | instid1(VALU_DEP_2)
	v_add_lshl_u32 v6, v6, v4, 2
	v_add_co_ci_u32_e64 v4, null, 0, v4, vcc_lo
	v_cmp_eq_u32_e32 vcc_lo, 0, v0
	v_lshlrev_b32_e32 v4, 2, v4
	s_wait_dscnt 0x0
	v_add_f16_e32 v1, v1, v5
	s_delay_alu instid0(VALU_DEP_1) | instskip(NEXT) | instid1(VALU_DEP_1)
	v_and_b32_e32 v7, 0xffff, v1
	v_and_or_b32 v5, 0xffff0000, v5, v7
	ds_bpermute_b32 v5, v6, v5
	s_wait_dscnt 0x0
	v_add_f16_e32 v1, v1, v5
	s_delay_alu instid0(VALU_DEP_1) | instskip(NEXT) | instid1(VALU_DEP_1)
	v_and_b32_e32 v6, 0xffff, v1
	v_and_or_b32 v5, 0xffff0000, v5, v6
	ds_bpermute_b32 v4, v4, v5
	s_and_b32 exec_lo, exec_lo, vcc_lo
	s_cbranch_execz .LBB183_7
; %bb.6:
	s_wait_kmcnt 0x0
	v_lshl_add_u64 v[2:3], v[2:3], 1, s[0:1]
	s_wait_dscnt 0x0
	v_add_f16_e32 v0, v1, v4
	global_store_b16 v[2:3], v0, off
.LBB183_7:
	s_endpgm
	.section	.rodata,"a",@progbits
	.p2align	6, 0x0
	.amdhsa_kernel _ZL28rocblas_dot_batched_4_kernelIiLi32ELi4ELb1EDF16_DF16_PKPKDF16_EviT5_lT_lS4_lS5_liPT4_
		.amdhsa_group_segment_fixed_size 0
		.amdhsa_private_segment_fixed_size 0
		.amdhsa_kernarg_size 88
		.amdhsa_user_sgpr_count 2
		.amdhsa_user_sgpr_dispatch_ptr 0
		.amdhsa_user_sgpr_queue_ptr 0
		.amdhsa_user_sgpr_kernarg_segment_ptr 1
		.amdhsa_user_sgpr_dispatch_id 0
		.amdhsa_user_sgpr_kernarg_preload_length 0
		.amdhsa_user_sgpr_kernarg_preload_offset 0
		.amdhsa_user_sgpr_private_segment_size 0
		.amdhsa_wavefront_size32 1
		.amdhsa_uses_dynamic_stack 0
		.amdhsa_enable_private_segment 0
		.amdhsa_system_sgpr_workgroup_id_x 1
		.amdhsa_system_sgpr_workgroup_id_y 0
		.amdhsa_system_sgpr_workgroup_id_z 0
		.amdhsa_system_sgpr_workgroup_info 0
		.amdhsa_system_vgpr_workitem_id 1
		.amdhsa_next_free_vgpr 12
		.amdhsa_next_free_sgpr 16
		.amdhsa_named_barrier_count 0
		.amdhsa_reserve_vcc 1
		.amdhsa_float_round_mode_32 0
		.amdhsa_float_round_mode_16_64 0
		.amdhsa_float_denorm_mode_32 3
		.amdhsa_float_denorm_mode_16_64 3
		.amdhsa_fp16_overflow 0
		.amdhsa_memory_ordered 1
		.amdhsa_forward_progress 1
		.amdhsa_inst_pref_size 6
		.amdhsa_round_robin_scheduling 0
		.amdhsa_exception_fp_ieee_invalid_op 0
		.amdhsa_exception_fp_denorm_src 0
		.amdhsa_exception_fp_ieee_div_zero 0
		.amdhsa_exception_fp_ieee_overflow 0
		.amdhsa_exception_fp_ieee_underflow 0
		.amdhsa_exception_fp_ieee_inexact 0
		.amdhsa_exception_int_div_zero 0
	.end_amdhsa_kernel
	.section	.text._ZL28rocblas_dot_batched_4_kernelIiLi32ELi4ELb1EDF16_DF16_PKPKDF16_EviT5_lT_lS4_lS5_liPT4_,"axG",@progbits,_ZL28rocblas_dot_batched_4_kernelIiLi32ELi4ELb1EDF16_DF16_PKPKDF16_EviT5_lT_lS4_lS5_liPT4_,comdat
.Lfunc_end183:
	.size	_ZL28rocblas_dot_batched_4_kernelIiLi32ELi4ELb1EDF16_DF16_PKPKDF16_EviT5_lT_lS4_lS5_liPT4_, .Lfunc_end183-_ZL28rocblas_dot_batched_4_kernelIiLi32ELi4ELb1EDF16_DF16_PKPKDF16_EviT5_lT_lS4_lS5_liPT4_
                                        ; -- End function
	.set _ZL28rocblas_dot_batched_4_kernelIiLi32ELi4ELb1EDF16_DF16_PKPKDF16_EviT5_lT_lS4_lS5_liPT4_.num_vgpr, 12
	.set _ZL28rocblas_dot_batched_4_kernelIiLi32ELi4ELb1EDF16_DF16_PKPKDF16_EviT5_lT_lS4_lS5_liPT4_.num_agpr, 0
	.set _ZL28rocblas_dot_batched_4_kernelIiLi32ELi4ELb1EDF16_DF16_PKPKDF16_EviT5_lT_lS4_lS5_liPT4_.numbered_sgpr, 16
	.set _ZL28rocblas_dot_batched_4_kernelIiLi32ELi4ELb1EDF16_DF16_PKPKDF16_EviT5_lT_lS4_lS5_liPT4_.num_named_barrier, 0
	.set _ZL28rocblas_dot_batched_4_kernelIiLi32ELi4ELb1EDF16_DF16_PKPKDF16_EviT5_lT_lS4_lS5_liPT4_.private_seg_size, 0
	.set _ZL28rocblas_dot_batched_4_kernelIiLi32ELi4ELb1EDF16_DF16_PKPKDF16_EviT5_lT_lS4_lS5_liPT4_.uses_vcc, 1
	.set _ZL28rocblas_dot_batched_4_kernelIiLi32ELi4ELb1EDF16_DF16_PKPKDF16_EviT5_lT_lS4_lS5_liPT4_.uses_flat_scratch, 0
	.set _ZL28rocblas_dot_batched_4_kernelIiLi32ELi4ELb1EDF16_DF16_PKPKDF16_EviT5_lT_lS4_lS5_liPT4_.has_dyn_sized_stack, 0
	.set _ZL28rocblas_dot_batched_4_kernelIiLi32ELi4ELb1EDF16_DF16_PKPKDF16_EviT5_lT_lS4_lS5_liPT4_.has_recursion, 0
	.set _ZL28rocblas_dot_batched_4_kernelIiLi32ELi4ELb1EDF16_DF16_PKPKDF16_EviT5_lT_lS4_lS5_liPT4_.has_indirect_call, 0
	.section	.AMDGPU.csdata,"",@progbits
; Kernel info:
; codeLenInByte = 724
; TotalNumSgprs: 18
; NumVgprs: 12
; ScratchSize: 0
; MemoryBound: 0
; FloatMode: 240
; IeeeMode: 1
; LDSByteSize: 0 bytes/workgroup (compile time only)
; SGPRBlocks: 0
; VGPRBlocks: 0
; NumSGPRsForWavesPerEU: 18
; NumVGPRsForWavesPerEU: 12
; NamedBarCnt: 0
; Occupancy: 16
; WaveLimiterHint : 0
; COMPUTE_PGM_RSRC2:SCRATCH_EN: 0
; COMPUTE_PGM_RSRC2:USER_SGPR: 2
; COMPUTE_PGM_RSRC2:TRAP_HANDLER: 0
; COMPUTE_PGM_RSRC2:TGID_X_EN: 1
; COMPUTE_PGM_RSRC2:TGID_Y_EN: 0
; COMPUTE_PGM_RSRC2:TGID_Z_EN: 0
; COMPUTE_PGM_RSRC2:TIDIG_COMP_CNT: 1
	.section	.text._ZL28rocblas_dot_batched_4_kernelIiLi64ELi4ELb1EDF16_DF16_PKPKDF16_EviT5_lT_lS4_lS5_liPT4_,"axG",@progbits,_ZL28rocblas_dot_batched_4_kernelIiLi64ELi4ELb1EDF16_DF16_PKPKDF16_EviT5_lT_lS4_lS5_liPT4_,comdat
	.globl	_ZL28rocblas_dot_batched_4_kernelIiLi64ELi4ELb1EDF16_DF16_PKPKDF16_EviT5_lT_lS4_lS5_liPT4_ ; -- Begin function _ZL28rocblas_dot_batched_4_kernelIiLi64ELi4ELb1EDF16_DF16_PKPKDF16_EviT5_lT_lS4_lS5_liPT4_
	.p2align	8
	.type	_ZL28rocblas_dot_batched_4_kernelIiLi64ELi4ELb1EDF16_DF16_PKPKDF16_EviT5_lT_lS4_lS5_liPT4_,@function
_ZL28rocblas_dot_batched_4_kernelIiLi64ELi4ELb1EDF16_DF16_PKPKDF16_EviT5_lT_lS4_lS5_liPT4_: ; @_ZL28rocblas_dot_batched_4_kernelIiLi64ELi4ELb1EDF16_DF16_PKPKDF16_EviT5_lT_lS4_lS5_liPT4_
; %bb.0:
	s_load_b32 s2, s[0:1], 0x48
	s_bfe_u32 s3, ttmp6, 0x4000c
	s_and_b32 s4, ttmp6, 15
	s_add_co_i32 s3, s3, 1
	v_bfe_u32 v1, v0, 10, 10
	s_mul_i32 s3, ttmp9, s3
	s_delay_alu instid0(SALU_CYCLE_1) | instskip(SKIP_1) | instid1(SALU_CYCLE_1)
	s_add_co_i32 s4, s4, s3
	s_getreg_b32 s3, hwreg(HW_REG_IB_STS2, 6, 4)
	s_cmp_eq_u32 s3, 0
	s_cselect_b32 s3, ttmp9, s4
	s_delay_alu instid0(SALU_CYCLE_1) | instskip(SKIP_1) | instid1(VALU_DEP_1)
	v_lshl_add_u32 v2, s3, 2, v1
	s_wait_kmcnt 0x0
	v_cmp_gt_u32_e32 vcc_lo, s2, v2
	s_and_saveexec_b32 s2, vcc_lo
	s_cbranch_execz .LBB184_7
; %bb.1:
	s_load_b32 s6, s[0:1], 0x0
	v_mov_b32_e32 v3, 0
	v_and_b32_e32 v0, 0x3ff, v0
	s_mov_b32 s7, exec_lo
	s_delay_alu instid0(VALU_DEP_2) | instskip(SKIP_1) | instid1(VALU_DEP_2)
	v_mov_b32_e32 v1, v3
	s_wait_kmcnt 0x0
	v_cmpx_gt_i32_e64 s6, v0
	s_cbranch_execz .LBB184_5
; %bb.2:
	s_clause 0x1
	s_load_b128 s[8:11], s[0:1], 0x8
	s_load_b128 s[12:15], s[0:1], 0x28
	v_lshlrev_b64_e32 v[4:5], 3, v[2:3]
	s_clause 0x1
	s_load_b32 s2, s[0:1], 0x18
	s_load_b32 s4, s[0:1], 0x38
	v_mov_b32_e32 v1, 0
	s_wait_kmcnt 0x0
	s_delay_alu instid0(VALU_DEP_2)
	v_add_nc_u64_e32 v[6:7], s[8:9], v[4:5]
	v_add_nc_u64_e32 v[4:5], s[12:13], v[4:5]
	s_ashr_i32 s3, s2, 31
	s_lshl_b64 s[8:9], s[10:11], 1
	s_ashr_i32 s5, s4, 31
	s_lshl_b64 s[10:11], s[14:15], 1
	global_load_b64 v[8:9], v[6:7], off
	global_load_b64 v[10:11], v[4:5], off
	s_wait_xcnt 0x0
	v_mul_u64_e32 v[4:5], s[2:3], v[0:1]
	s_lshl_b64 s[2:3], s[2:3], 7
	s_delay_alu instid0(VALU_DEP_1) | instskip(SKIP_2) | instid1(VALU_DEP_1)
	v_lshl_add_u64 v[4:5], v[4:5], 1, s[8:9]
	s_mov_b32 s8, 0
	s_wait_loadcnt 0x1
	v_add_nc_u64_e32 v[4:5], v[8:9], v[4:5]
	v_mov_b32_e32 v8, v0
	v_mul_u64_e32 v[6:7], s[4:5], v[0:1]
	s_lshl_b64 s[4:5], s[4:5], 7
	s_delay_alu instid0(VALU_DEP_1) | instskip(SKIP_1) | instid1(VALU_DEP_1)
	v_lshl_add_u64 v[6:7], v[6:7], 1, s[10:11]
	s_wait_loadcnt 0x0
	v_add_nc_u64_e32 v[6:7], v[10:11], v[6:7]
.LBB184_3:                              ; =>This Inner Loop Header: Depth=1
	flat_load_u16 v9, v[4:5]
	flat_load_u16 v10, v[6:7]
	v_add_nc_u32_e32 v8, 64, v8
	s_wait_xcnt 0x1
	v_add_nc_u64_e32 v[4:5], s[2:3], v[4:5]
	s_wait_xcnt 0x0
	v_add_nc_u64_e32 v[6:7], s[4:5], v[6:7]
	v_cmp_le_i32_e32 vcc_lo, s6, v8
	s_or_b32 s8, vcc_lo, s8
	s_wait_loadcnt_dscnt 0x0
	v_fmac_f16_e32 v1, v9, v10
	s_and_not1_b32 exec_lo, exec_lo, s8
	s_cbranch_execnz .LBB184_3
; %bb.4:
	s_or_b32 exec_lo, exec_lo, s8
.LBB184_5:
	s_delay_alu instid0(SALU_CYCLE_1) | instskip(SKIP_4) | instid1(VALU_DEP_2)
	s_or_b32 exec_lo, exec_lo, s7
	v_mbcnt_lo_u32_b32 v4, -1, 0
	v_and_b32_e32 v5, 0xffff, v1
	s_load_b64 s[0:1], s[0:1], 0x50
	s_barrier_signal -1
	v_lshlrev_b32_e32 v6, 2, v4
	v_cmp_gt_u32_e32 vcc_lo, 24, v4
	s_barrier_wait -1
	ds_bpermute_b32 v5, v6, v5
	v_or_b32_e32 v6, 64, v6
	s_wait_dscnt 0x0
	v_add_f16_e32 v1, v1, v5
	s_delay_alu instid0(VALU_DEP_1) | instskip(NEXT) | instid1(VALU_DEP_1)
	v_and_b32_e32 v7, 0xffff, v1
	v_and_or_b32 v5, 0xffff0000, v5, v7
	ds_bpermute_b32 v5, v6, v5
	v_cndmask_b32_e64 v6, 0, 8, vcc_lo
	v_cmp_gt_u32_e32 vcc_lo, 28, v4
	s_delay_alu instid0(VALU_DEP_2) | instskip(SKIP_2) | instid1(VALU_DEP_1)
	v_add_lshl_u32 v6, v6, v4, 2
	s_wait_dscnt 0x0
	v_add_f16_e32 v1, v1, v5
	v_and_b32_e32 v7, 0xffff, v1
	s_delay_alu instid0(VALU_DEP_1) | instskip(SKIP_3) | instid1(VALU_DEP_2)
	v_and_or_b32 v5, 0xffff0000, v5, v7
	ds_bpermute_b32 v5, v6, v5
	v_cndmask_b32_e64 v6, 0, 4, vcc_lo
	v_cmp_gt_u32_e32 vcc_lo, 30, v4
	v_add_lshl_u32 v6, v6, v4, 2
	s_wait_dscnt 0x0
	v_add_f16_e32 v1, v1, v5
	s_delay_alu instid0(VALU_DEP_1) | instskip(NEXT) | instid1(VALU_DEP_1)
	v_and_b32_e32 v7, 0xffff, v1
	v_and_or_b32 v5, 0xffff0000, v5, v7
	ds_bpermute_b32 v5, v6, v5
	v_cndmask_b32_e64 v6, 0, 2, vcc_lo
	v_cmp_ne_u32_e32 vcc_lo, 31, v4
	s_delay_alu instid0(VALU_DEP_2) | instskip(SKIP_2) | instid1(VALU_DEP_2)
	v_add_lshl_u32 v6, v6, v4, 2
	v_add_co_ci_u32_e64 v4, null, 0, v4, vcc_lo
	v_cmp_eq_u32_e32 vcc_lo, 0, v0
	v_lshlrev_b32_e32 v4, 2, v4
	s_wait_dscnt 0x0
	v_add_f16_e32 v1, v1, v5
	s_delay_alu instid0(VALU_DEP_1) | instskip(NEXT) | instid1(VALU_DEP_1)
	v_and_b32_e32 v7, 0xffff, v1
	v_and_or_b32 v5, 0xffff0000, v5, v7
	ds_bpermute_b32 v5, v6, v5
	s_wait_dscnt 0x0
	v_add_f16_e32 v1, v1, v5
	s_delay_alu instid0(VALU_DEP_1) | instskip(NEXT) | instid1(VALU_DEP_1)
	v_and_b32_e32 v6, 0xffff, v1
	v_and_or_b32 v5, 0xffff0000, v5, v6
	ds_bpermute_b32 v4, v4, v5
	s_and_b32 exec_lo, exec_lo, vcc_lo
	s_cbranch_execz .LBB184_7
; %bb.6:
	s_wait_kmcnt 0x0
	v_lshl_add_u64 v[2:3], v[2:3], 1, s[0:1]
	s_wait_dscnt 0x0
	v_add_f16_e32 v0, v1, v4
	global_store_b16 v[2:3], v0, off
.LBB184_7:
	s_endpgm
	.section	.rodata,"a",@progbits
	.p2align	6, 0x0
	.amdhsa_kernel _ZL28rocblas_dot_batched_4_kernelIiLi64ELi4ELb1EDF16_DF16_PKPKDF16_EviT5_lT_lS4_lS5_liPT4_
		.amdhsa_group_segment_fixed_size 0
		.amdhsa_private_segment_fixed_size 0
		.amdhsa_kernarg_size 88
		.amdhsa_user_sgpr_count 2
		.amdhsa_user_sgpr_dispatch_ptr 0
		.amdhsa_user_sgpr_queue_ptr 0
		.amdhsa_user_sgpr_kernarg_segment_ptr 1
		.amdhsa_user_sgpr_dispatch_id 0
		.amdhsa_user_sgpr_kernarg_preload_length 0
		.amdhsa_user_sgpr_kernarg_preload_offset 0
		.amdhsa_user_sgpr_private_segment_size 0
		.amdhsa_wavefront_size32 1
		.amdhsa_uses_dynamic_stack 0
		.amdhsa_enable_private_segment 0
		.amdhsa_system_sgpr_workgroup_id_x 1
		.amdhsa_system_sgpr_workgroup_id_y 0
		.amdhsa_system_sgpr_workgroup_id_z 0
		.amdhsa_system_sgpr_workgroup_info 0
		.amdhsa_system_vgpr_workitem_id 1
		.amdhsa_next_free_vgpr 12
		.amdhsa_next_free_sgpr 16
		.amdhsa_named_barrier_count 0
		.amdhsa_reserve_vcc 1
		.amdhsa_float_round_mode_32 0
		.amdhsa_float_round_mode_16_64 0
		.amdhsa_float_denorm_mode_32 3
		.amdhsa_float_denorm_mode_16_64 3
		.amdhsa_fp16_overflow 0
		.amdhsa_memory_ordered 1
		.amdhsa_forward_progress 1
		.amdhsa_inst_pref_size 6
		.amdhsa_round_robin_scheduling 0
		.amdhsa_exception_fp_ieee_invalid_op 0
		.amdhsa_exception_fp_denorm_src 0
		.amdhsa_exception_fp_ieee_div_zero 0
		.amdhsa_exception_fp_ieee_overflow 0
		.amdhsa_exception_fp_ieee_underflow 0
		.amdhsa_exception_fp_ieee_inexact 0
		.amdhsa_exception_int_div_zero 0
	.end_amdhsa_kernel
	.section	.text._ZL28rocblas_dot_batched_4_kernelIiLi64ELi4ELb1EDF16_DF16_PKPKDF16_EviT5_lT_lS4_lS5_liPT4_,"axG",@progbits,_ZL28rocblas_dot_batched_4_kernelIiLi64ELi4ELb1EDF16_DF16_PKPKDF16_EviT5_lT_lS4_lS5_liPT4_,comdat
.Lfunc_end184:
	.size	_ZL28rocblas_dot_batched_4_kernelIiLi64ELi4ELb1EDF16_DF16_PKPKDF16_EviT5_lT_lS4_lS5_liPT4_, .Lfunc_end184-_ZL28rocblas_dot_batched_4_kernelIiLi64ELi4ELb1EDF16_DF16_PKPKDF16_EviT5_lT_lS4_lS5_liPT4_
                                        ; -- End function
	.set _ZL28rocblas_dot_batched_4_kernelIiLi64ELi4ELb1EDF16_DF16_PKPKDF16_EviT5_lT_lS4_lS5_liPT4_.num_vgpr, 12
	.set _ZL28rocblas_dot_batched_4_kernelIiLi64ELi4ELb1EDF16_DF16_PKPKDF16_EviT5_lT_lS4_lS5_liPT4_.num_agpr, 0
	.set _ZL28rocblas_dot_batched_4_kernelIiLi64ELi4ELb1EDF16_DF16_PKPKDF16_EviT5_lT_lS4_lS5_liPT4_.numbered_sgpr, 16
	.set _ZL28rocblas_dot_batched_4_kernelIiLi64ELi4ELb1EDF16_DF16_PKPKDF16_EviT5_lT_lS4_lS5_liPT4_.num_named_barrier, 0
	.set _ZL28rocblas_dot_batched_4_kernelIiLi64ELi4ELb1EDF16_DF16_PKPKDF16_EviT5_lT_lS4_lS5_liPT4_.private_seg_size, 0
	.set _ZL28rocblas_dot_batched_4_kernelIiLi64ELi4ELb1EDF16_DF16_PKPKDF16_EviT5_lT_lS4_lS5_liPT4_.uses_vcc, 1
	.set _ZL28rocblas_dot_batched_4_kernelIiLi64ELi4ELb1EDF16_DF16_PKPKDF16_EviT5_lT_lS4_lS5_liPT4_.uses_flat_scratch, 0
	.set _ZL28rocblas_dot_batched_4_kernelIiLi64ELi4ELb1EDF16_DF16_PKPKDF16_EviT5_lT_lS4_lS5_liPT4_.has_dyn_sized_stack, 0
	.set _ZL28rocblas_dot_batched_4_kernelIiLi64ELi4ELb1EDF16_DF16_PKPKDF16_EviT5_lT_lS4_lS5_liPT4_.has_recursion, 0
	.set _ZL28rocblas_dot_batched_4_kernelIiLi64ELi4ELb1EDF16_DF16_PKPKDF16_EviT5_lT_lS4_lS5_liPT4_.has_indirect_call, 0
	.section	.AMDGPU.csdata,"",@progbits
; Kernel info:
; codeLenInByte = 764
; TotalNumSgprs: 18
; NumVgprs: 12
; ScratchSize: 0
; MemoryBound: 0
; FloatMode: 240
; IeeeMode: 1
; LDSByteSize: 0 bytes/workgroup (compile time only)
; SGPRBlocks: 0
; VGPRBlocks: 0
; NumSGPRsForWavesPerEU: 18
; NumVGPRsForWavesPerEU: 12
; NamedBarCnt: 0
; Occupancy: 16
; WaveLimiterHint : 0
; COMPUTE_PGM_RSRC2:SCRATCH_EN: 0
; COMPUTE_PGM_RSRC2:USER_SGPR: 2
; COMPUTE_PGM_RSRC2:TRAP_HANDLER: 0
; COMPUTE_PGM_RSRC2:TGID_X_EN: 1
; COMPUTE_PGM_RSRC2:TGID_Y_EN: 0
; COMPUTE_PGM_RSRC2:TGID_Z_EN: 0
; COMPUTE_PGM_RSRC2:TIDIG_COMP_CNT: 1
	.section	.text._ZL26rocblas_dot_kernel_inc1by2ILb1ELi1024ELi32ELb1EDF16_PKPKDF16_DF16_EviT4_llS4_lliPT5_PT3_,"axG",@progbits,_ZL26rocblas_dot_kernel_inc1by2ILb1ELi1024ELi32ELb1EDF16_PKPKDF16_DF16_EviT4_llS4_lliPT5_PT3_,comdat
	.globl	_ZL26rocblas_dot_kernel_inc1by2ILb1ELi1024ELi32ELb1EDF16_PKPKDF16_DF16_EviT4_llS4_lliPT5_PT3_ ; -- Begin function _ZL26rocblas_dot_kernel_inc1by2ILb1ELi1024ELi32ELb1EDF16_PKPKDF16_DF16_EviT4_llS4_lliPT5_PT3_
	.p2align	8
	.type	_ZL26rocblas_dot_kernel_inc1by2ILb1ELi1024ELi32ELb1EDF16_PKPKDF16_DF16_EviT4_llS4_lliPT5_PT3_,@function
_ZL26rocblas_dot_kernel_inc1by2ILb1ELi1024ELi32ELb1EDF16_PKPKDF16_DF16_EviT4_llS4_lliPT5_PT3_: ; @_ZL26rocblas_dot_kernel_inc1by2ILb1ELi1024ELi32ELb1EDF16_PKPKDF16_DF16_EviT4_llS4_lliPT5_PT3_
; %bb.0:
	s_load_b32 s3, s[0:1], 0x38
	s_bfe_u32 s2, ttmp6, 0x40014
	s_lshr_b32 s4, ttmp7, 16
	s_add_co_i32 s2, s2, 1
	s_bfe_u32 s5, ttmp6, 0x40008
	s_mul_i32 s2, s4, s2
	s_getreg_b32 s6, hwreg(HW_REG_IB_STS2, 6, 4)
	s_add_co_i32 s5, s5, s2
	s_cmp_eq_u32 s6, 0
	s_mov_b32 s13, 0
	s_cselect_b32 s12, s4, s5
	s_wait_kmcnt 0x0
	s_cmp_ge_u32 s12, s3
	s_cbranch_scc1 .LBB185_19
; %bb.1:
	v_mbcnt_lo_u32_b32 v2, -1, 0
	s_clause 0x3
	s_load_b32 s16, s[0:1], 0x0
	s_load_b128 s[4:7], s[0:1], 0x8
	s_load_b64 s[14:15], s[0:1], 0x48
	s_load_b128 s[8:11], s[0:1], 0x20
	v_dual_lshrrev_b32 v3, 4, v0 :: v_dual_bitop2_b32 v1, 31, v0 bitop3:0x40
	s_wait_xcnt 0x0
	v_cmp_gt_u32_e64 s0, 24, v2
	v_lshl_or_b32 v7, v2, 2, 64
	v_cmp_eq_u32_e64 s1, 0, v0
	v_dual_mov_b32 v13, 0 :: v_dual_bitop2_b32 v12, 62, v3 bitop3:0x40
	s_delay_alu instid0(VALU_DEP_4) | instskip(SKIP_2) | instid1(VALU_DEP_3)
	v_cndmask_b32_e64 v4, 0, 8, s0
	v_cmp_gt_u32_e64 s0, 28, v2
	v_cmp_gt_u32_e32 vcc_lo, 32, v0
	v_add_lshl_u32 v8, v4, v2, 2
	s_delay_alu instid0(VALU_DEP_3)
	v_cndmask_b32_e64 v5, 0, 4, s0
	v_cmp_gt_u32_e64 s0, 30, v2
	s_wait_kmcnt 0x0
	s_ashr_i32 s17, s16, 31
	s_add_co_i32 s22, s16, -1
	v_cndmask_b32_e64 v10, 0, 2, s0
	v_cmp_ne_u32_e64 s0, 31, v2
	v_add_lshl_u32 v9, v5, v2, 2
	s_bitcmp1_b32 s16, 0
	v_add_lshl_u32 v10, v10, v2, 2
	v_add_co_ci_u32_e64 v11, null, 0, v2, s0
	v_lshlrev_b32_e32 v6, 1, v1
	v_cmp_eq_u32_e64 s0, 0, v1
	s_cselect_b32 s23, -1, 0
	v_lshlrev_b32_e32 v11, 2, v11
	s_lshl_b64 s[6:7], s[6:7], 1
	s_lshl_b64 s[10:11], s[10:11], 1
	;; [unrolled: 1-line block ×3, first 2 shown]
	s_branch .LBB185_3
.LBB185_2:                              ;   in Loop: Header=BB185_3 Depth=1
	s_wait_xcnt 0x0
	s_or_b32 exec_lo, exec_lo, s2
	s_add_co_i32 s12, s12, 0x10000
	s_delay_alu instid0(SALU_CYCLE_1)
	s_cmp_lt_u32 s12, s3
	s_cbranch_scc0 .LBB185_19
.LBB185_3:                              ; =>This Loop Header: Depth=1
                                        ;     Child Loop BB185_5 Depth 2
	s_load_b64 s[18:19], s[4:5], s12 offset:0x0 scale_offset
	s_load_b64 s[20:21], s[8:9], s12 offset:0x0 scale_offset
	s_wait_dscnt 0x0
	v_dual_mov_b32 v1, 0 :: v_dual_lshlrev_b32 v0, 1, v0
	s_mov_b32 s24, exec_lo
	s_wait_kmcnt 0x0
	s_add_nc_u64 s[18:19], s[18:19], s[6:7]
	s_add_nc_u64 s[20:21], s[20:21], s[10:11]
	v_cmpx_gt_i32_e64 s22, v0
	s_cbranch_execz .LBB185_7
; %bb.4:                                ;   in Loop: Header=BB185_3 Depth=1
	v_ashrrev_i32_e32 v1, 31, v0
	s_mov_b32 s25, 0
	s_mov_b32 s2, 0
	s_delay_alu instid0(VALU_DEP_1) | instskip(SKIP_1) | instid1(VALU_DEP_2)
	v_lshlrev_b64_e32 v[4:5], 1, v[0:1]
	v_mov_b32_e32 v1, 0
	v_add_nc_u64_e32 v[2:3], s[18:19], v[4:5]
	v_add_nc_u64_e32 v[4:5], s[20:21], v[4:5]
.LBB185_5:                              ;   Parent Loop BB185_3 Depth=1
                                        ; =>  This Inner Loop Header: Depth=2
	flat_load_b32 v14, v[4:5]
	flat_load_b32 v15, v[2:3]
	v_add_nc_u32_e32 v0, 0x800, v0
	s_add_co_i32 s26, s2, 1
	s_cmp_gt_u32 s2, 30
	s_wait_xcnt 0x0
	v_add_nc_u64_e32 v[2:3], 0x1000, v[2:3]
	s_cselect_b32 s27, -1, 0
	v_cmp_le_i32_e64 s2, s22, v0
	v_add_nc_u64_e32 v[4:5], 0x1000, v[4:5]
	s_or_b32 s2, s27, s2
	s_delay_alu instid0(SALU_CYCLE_1) | instskip(NEXT) | instid1(SALU_CYCLE_1)
	s_and_b32 s2, exec_lo, s2
	s_or_b32 s25, s2, s25
	s_mov_b32 s2, s26
	s_wait_loadcnt_dscnt 0x0
	v_pk_mul_f16 v14, v14, v15
	s_delay_alu instid0(VALU_DEP_1) | instskip(SKIP_1) | instid1(VALU_DEP_1)
	v_add_f16_e32 v1, v1, v14
	v_lshrrev_b32_e32 v14, 16, v14
	v_add_f16_e32 v1, v1, v14
	s_and_not1_b32 exec_lo, exec_lo, s25
	s_cbranch_execnz .LBB185_5
; %bb.6:                                ;   in Loop: Header=BB185_3 Depth=1
	s_or_b32 exec_lo, exec_lo, s25
.LBB185_7:                              ;   in Loop: Header=BB185_3 Depth=1
	s_delay_alu instid0(SALU_CYCLE_1) | instskip(SKIP_2) | instid1(SALU_CYCLE_1)
	s_or_b32 exec_lo, exec_lo, s24
	v_cmp_eq_u32_e64 s2, s22, v0
	s_and_b32 s24, s23, s2
	s_and_saveexec_b32 s2, s24
	s_cbranch_execz .LBB185_9
; %bb.8:                                ;   in Loop: Header=BB185_3 Depth=1
	s_add_nc_u64 s[20:21], s[20:21], s[16:17]
	s_add_nc_u64 s[18:19], s[18:19], s[16:17]
	s_clause 0x1
	flat_load_u16 v2, v13, s[20:21] offset:-2
	flat_load_u16 v3, v13, s[18:19] offset:-2
	s_wait_loadcnt_dscnt 0x0
	v_fmac_f16_e32 v1, v2, v3
.LBB185_9:                              ;   in Loop: Header=BB185_3 Depth=1
	s_wait_xcnt 0x0
	s_or_b32 exec_lo, exec_lo, s2
	s_and_saveexec_b32 s2, vcc_lo
; %bb.10:                               ;   in Loop: Header=BB185_3 Depth=1
	ds_store_b16 v6, v13
; %bb.11:                               ;   in Loop: Header=BB185_3 Depth=1
	s_or_b32 exec_lo, exec_lo, s2
	v_and_b32_e32 v2, 0xffff, v1
	s_wait_dscnt 0x0
	s_barrier_signal -1
	s_barrier_wait -1
	ds_bpermute_b32 v2, v7, v2
	s_wait_dscnt 0x0
	v_add_f16_e32 v1, v1, v2
	s_delay_alu instid0(VALU_DEP_1) | instskip(NEXT) | instid1(VALU_DEP_1)
	v_and_b32_e32 v3, 0xffff, v1
	v_and_or_b32 v2, 0xffff0000, v2, v3
	ds_bpermute_b32 v2, v8, v2
	s_wait_dscnt 0x0
	v_add_f16_e32 v1, v1, v2
	s_delay_alu instid0(VALU_DEP_1) | instskip(NEXT) | instid1(VALU_DEP_1)
	v_and_b32_e32 v3, 0xffff, v1
	v_and_or_b32 v2, 0xffff0000, v2, v3
	;; [unrolled: 6-line block ×4, first 2 shown]
	ds_bpermute_b32 v2, v11, v2
	s_and_saveexec_b32 s2, s0
	s_cbranch_execz .LBB185_13
; %bb.12:                               ;   in Loop: Header=BB185_3 Depth=1
	s_wait_dscnt 0x0
	v_add_f16_e32 v1, v1, v2
	ds_store_b16 v12, v1
.LBB185_13:                             ;   in Loop: Header=BB185_3 Depth=1
	s_or_b32 exec_lo, exec_lo, s2
	v_mov_b32_e32 v1, 0
	s_wait_dscnt 0x0
	s_barrier_signal -1
	s_barrier_wait -1
	s_and_saveexec_b32 s2, vcc_lo
	s_cbranch_execnz .LBB185_16
; %bb.14:                               ;   in Loop: Header=BB185_3 Depth=1
	s_or_b32 exec_lo, exec_lo, s2
	s_and_saveexec_b32 s2, vcc_lo
	s_cbranch_execnz .LBB185_17
.LBB185_15:                             ;   in Loop: Header=BB185_3 Depth=1
	s_or_b32 exec_lo, exec_lo, s2
	s_and_saveexec_b32 s2, s1
	s_cbranch_execz .LBB185_2
	s_branch .LBB185_18
.LBB185_16:                             ;   in Loop: Header=BB185_3 Depth=1
	ds_load_u16 v1, v6
	s_or_b32 exec_lo, exec_lo, s2
	s_and_saveexec_b32 s2, vcc_lo
	s_cbranch_execz .LBB185_15
.LBB185_17:                             ;   in Loop: Header=BB185_3 Depth=1
	s_wait_dscnt 0x0
	v_and_b32_e32 v2, 0xffff, v1
	ds_bpermute_b32 v2, v7, v2
	s_wait_dscnt 0x0
	v_add_f16_e32 v1, v1, v2
	s_delay_alu instid0(VALU_DEP_1) | instskip(NEXT) | instid1(VALU_DEP_1)
	v_and_b32_e32 v3, 0xffff, v1
	v_and_or_b32 v2, 0xffff0000, v2, v3
	ds_bpermute_b32 v2, v8, v2
	s_wait_dscnt 0x0
	v_add_f16_e32 v1, v1, v2
	s_delay_alu instid0(VALU_DEP_1) | instskip(NEXT) | instid1(VALU_DEP_1)
	v_and_b32_e32 v3, 0xffff, v1
	v_and_or_b32 v2, 0xffff0000, v2, v3
	;; [unrolled: 6-line block ×4, first 2 shown]
	ds_bpermute_b32 v2, v11, v2
	s_wait_dscnt 0x0
	v_add_f16_e32 v1, v1, v2
	s_or_b32 exec_lo, exec_lo, s2
	s_and_saveexec_b32 s2, s1
	s_cbranch_execz .LBB185_2
.LBB185_18:                             ;   in Loop: Header=BB185_3 Depth=1
	s_lshl_b64 s[18:19], s[12:13], 1
	s_delay_alu instid0(SALU_CYCLE_1)
	s_add_nc_u64 s[18:19], s[14:15], s[18:19]
	s_wait_dscnt 0x0
	global_store_b16 v13, v1, s[18:19]
	s_branch .LBB185_2
.LBB185_19:
	s_endpgm
	.section	.rodata,"a",@progbits
	.p2align	6, 0x0
	.amdhsa_kernel _ZL26rocblas_dot_kernel_inc1by2ILb1ELi1024ELi32ELb1EDF16_PKPKDF16_DF16_EviT4_llS4_lliPT5_PT3_
		.amdhsa_group_segment_fixed_size 64
		.amdhsa_private_segment_fixed_size 0
		.amdhsa_kernarg_size 80
		.amdhsa_user_sgpr_count 2
		.amdhsa_user_sgpr_dispatch_ptr 0
		.amdhsa_user_sgpr_queue_ptr 0
		.amdhsa_user_sgpr_kernarg_segment_ptr 1
		.amdhsa_user_sgpr_dispatch_id 0
		.amdhsa_user_sgpr_kernarg_preload_length 0
		.amdhsa_user_sgpr_kernarg_preload_offset 0
		.amdhsa_user_sgpr_private_segment_size 0
		.amdhsa_wavefront_size32 1
		.amdhsa_uses_dynamic_stack 0
		.amdhsa_enable_private_segment 0
		.amdhsa_system_sgpr_workgroup_id_x 1
		.amdhsa_system_sgpr_workgroup_id_y 0
		.amdhsa_system_sgpr_workgroup_id_z 1
		.amdhsa_system_sgpr_workgroup_info 0
		.amdhsa_system_vgpr_workitem_id 0
		.amdhsa_next_free_vgpr 16
		.amdhsa_next_free_sgpr 28
		.amdhsa_named_barrier_count 0
		.amdhsa_reserve_vcc 1
		.amdhsa_float_round_mode_32 0
		.amdhsa_float_round_mode_16_64 0
		.amdhsa_float_denorm_mode_32 3
		.amdhsa_float_denorm_mode_16_64 3
		.amdhsa_fp16_overflow 0
		.amdhsa_memory_ordered 1
		.amdhsa_forward_progress 1
		.amdhsa_inst_pref_size 10
		.amdhsa_round_robin_scheduling 0
		.amdhsa_exception_fp_ieee_invalid_op 0
		.amdhsa_exception_fp_denorm_src 0
		.amdhsa_exception_fp_ieee_div_zero 0
		.amdhsa_exception_fp_ieee_overflow 0
		.amdhsa_exception_fp_ieee_underflow 0
		.amdhsa_exception_fp_ieee_inexact 0
		.amdhsa_exception_int_div_zero 0
	.end_amdhsa_kernel
	.section	.text._ZL26rocblas_dot_kernel_inc1by2ILb1ELi1024ELi32ELb1EDF16_PKPKDF16_DF16_EviT4_llS4_lliPT5_PT3_,"axG",@progbits,_ZL26rocblas_dot_kernel_inc1by2ILb1ELi1024ELi32ELb1EDF16_PKPKDF16_DF16_EviT4_llS4_lliPT5_PT3_,comdat
.Lfunc_end185:
	.size	_ZL26rocblas_dot_kernel_inc1by2ILb1ELi1024ELi32ELb1EDF16_PKPKDF16_DF16_EviT4_llS4_lliPT5_PT3_, .Lfunc_end185-_ZL26rocblas_dot_kernel_inc1by2ILb1ELi1024ELi32ELb1EDF16_PKPKDF16_DF16_EviT4_llS4_lliPT5_PT3_
                                        ; -- End function
	.set _ZL26rocblas_dot_kernel_inc1by2ILb1ELi1024ELi32ELb1EDF16_PKPKDF16_DF16_EviT4_llS4_lliPT5_PT3_.num_vgpr, 16
	.set _ZL26rocblas_dot_kernel_inc1by2ILb1ELi1024ELi32ELb1EDF16_PKPKDF16_DF16_EviT4_llS4_lliPT5_PT3_.num_agpr, 0
	.set _ZL26rocblas_dot_kernel_inc1by2ILb1ELi1024ELi32ELb1EDF16_PKPKDF16_DF16_EviT4_llS4_lliPT5_PT3_.numbered_sgpr, 28
	.set _ZL26rocblas_dot_kernel_inc1by2ILb1ELi1024ELi32ELb1EDF16_PKPKDF16_DF16_EviT4_llS4_lliPT5_PT3_.num_named_barrier, 0
	.set _ZL26rocblas_dot_kernel_inc1by2ILb1ELi1024ELi32ELb1EDF16_PKPKDF16_DF16_EviT4_llS4_lliPT5_PT3_.private_seg_size, 0
	.set _ZL26rocblas_dot_kernel_inc1by2ILb1ELi1024ELi32ELb1EDF16_PKPKDF16_DF16_EviT4_llS4_lliPT5_PT3_.uses_vcc, 1
	.set _ZL26rocblas_dot_kernel_inc1by2ILb1ELi1024ELi32ELb1EDF16_PKPKDF16_DF16_EviT4_llS4_lliPT5_PT3_.uses_flat_scratch, 1
	.set _ZL26rocblas_dot_kernel_inc1by2ILb1ELi1024ELi32ELb1EDF16_PKPKDF16_DF16_EviT4_llS4_lliPT5_PT3_.has_dyn_sized_stack, 0
	.set _ZL26rocblas_dot_kernel_inc1by2ILb1ELi1024ELi32ELb1EDF16_PKPKDF16_DF16_EviT4_llS4_lliPT5_PT3_.has_recursion, 0
	.set _ZL26rocblas_dot_kernel_inc1by2ILb1ELi1024ELi32ELb1EDF16_PKPKDF16_DF16_EviT4_llS4_lliPT5_PT3_.has_indirect_call, 0
	.section	.AMDGPU.csdata,"",@progbits
; Kernel info:
; codeLenInByte = 1176
; TotalNumSgprs: 30
; NumVgprs: 16
; ScratchSize: 0
; MemoryBound: 0
; FloatMode: 240
; IeeeMode: 1
; LDSByteSize: 64 bytes/workgroup (compile time only)
; SGPRBlocks: 0
; VGPRBlocks: 0
; NumSGPRsForWavesPerEU: 30
; NumVGPRsForWavesPerEU: 16
; NamedBarCnt: 0
; Occupancy: 16
; WaveLimiterHint : 1
; COMPUTE_PGM_RSRC2:SCRATCH_EN: 0
; COMPUTE_PGM_RSRC2:USER_SGPR: 2
; COMPUTE_PGM_RSRC2:TRAP_HANDLER: 0
; COMPUTE_PGM_RSRC2:TGID_X_EN: 1
; COMPUTE_PGM_RSRC2:TGID_Y_EN: 0
; COMPUTE_PGM_RSRC2:TGID_Z_EN: 1
; COMPUTE_PGM_RSRC2:TIDIG_COMP_CNT: 0
	.section	.text._ZL18rocblas_dot_kernelIiLb1ELi1024ELi32ELb1EDF16_PKPKDF16_DF16_EviT5_lT_lS4_lS5_liPT6_PT4_,"axG",@progbits,_ZL18rocblas_dot_kernelIiLb1ELi1024ELi32ELb1EDF16_PKPKDF16_DF16_EviT5_lT_lS4_lS5_liPT6_PT4_,comdat
	.globl	_ZL18rocblas_dot_kernelIiLb1ELi1024ELi32ELb1EDF16_PKPKDF16_DF16_EviT5_lT_lS4_lS5_liPT6_PT4_ ; -- Begin function _ZL18rocblas_dot_kernelIiLb1ELi1024ELi32ELb1EDF16_PKPKDF16_DF16_EviT5_lT_lS4_lS5_liPT6_PT4_
	.p2align	8
	.type	_ZL18rocblas_dot_kernelIiLb1ELi1024ELi32ELb1EDF16_PKPKDF16_DF16_EviT5_lT_lS4_lS5_liPT6_PT4_,@function
_ZL18rocblas_dot_kernelIiLb1ELi1024ELi32ELb1EDF16_PKPKDF16_DF16_EviT5_lT_lS4_lS5_liPT6_PT4_: ; @_ZL18rocblas_dot_kernelIiLb1ELi1024ELi32ELb1EDF16_PKPKDF16_DF16_EviT5_lT_lS4_lS5_liPT6_PT4_
; %bb.0:
	s_load_b32 s3, s[0:1], 0x48
	s_bfe_u32 s2, ttmp6, 0x40014
	s_lshr_b32 s4, ttmp7, 16
	s_add_co_i32 s2, s2, 1
	s_bfe_u32 s5, ttmp6, 0x40008
	s_mul_i32 s2, s4, s2
	s_getreg_b32 s6, hwreg(HW_REG_IB_STS2, 6, 4)
	s_add_co_i32 s5, s5, s2
	s_cmp_eq_u32 s6, 0
	s_mov_b32 s17, 0
	s_cselect_b32 s16, s4, s5
	s_wait_kmcnt 0x0
	s_cmp_ge_u32 s16, s3
	s_cbranch_scc1 .LBB186_17
; %bb.1:
	v_mbcnt_lo_u32_b32 v3, -1, 0
	s_clause 0x5
	s_load_b32 s18, s[0:1], 0x18
	s_load_b32 s22, s[0:1], 0x38
	s_load_b96 s[12:14], s[0:1], 0x58
	s_load_b128 s[4:7], s[0:1], 0x28
	s_load_b128 s[8:11], s[0:1], 0x8
	s_load_b32 s26, s[0:1], 0x0
	v_and_b32_e32 v2, 31, v0
	s_wait_xcnt 0x0
	v_cmp_eq_u32_e64 s1, 0, v0
	v_cmp_gt_u32_e64 s0, 24, v3
	v_lshl_or_b32 v6, v3, 2, 64
	v_cmp_gt_u32_e32 vcc_lo, 32, v0
	v_mov_b32_e32 v12, 0
	s_delay_alu instid0(VALU_DEP_4) | instskip(SKIP_1) | instid1(VALU_DEP_2)
	v_cndmask_b32_e64 v4, 0, 8, s0
	v_cmp_gt_u32_e64 s0, 28, v3
	v_add_lshl_u32 v7, v4, v3, 2
	s_delay_alu instid0(VALU_DEP_2)
	v_cndmask_b32_e64 v5, 0, 4, s0
	v_cmp_gt_u32_e64 s0, 30, v3
	v_lshrrev_b32_e32 v4, 4, v0
	s_wait_kmcnt 0x0
	s_ashr_i32 s19, s18, 31
	s_lshl_b32 s14, s14, 10
	s_ashr_i32 s23, s22, 31
	v_cndmask_b32_e64 v9, 0, 2, s0
	v_cmp_ne_u32_e64 s0, 31, v3
	s_ashr_i32 s15, s14, 31
	v_dual_lshlrev_b32 v1, 1, v2 :: v_dual_bitop2_b32 v11, 62, v4 bitop3:0x40
	v_add_lshl_u32 v8, v5, v3, 2
	v_add_co_ci_u32_e64 v10, null, 0, v3, s0
	v_add_lshl_u32 v9, v9, v3, 2
	v_cmp_eq_u32_e64 s0, 0, v2
	s_mul_u64 s[20:21], s[18:19], s[14:15]
	v_lshlrev_b32_e32 v10, 2, v10
	s_mul_u64 s[24:25], s[22:23], s[14:15]
	s_lshl_b64 s[10:11], s[10:11], 1
	s_lshl_b64 s[18:19], s[18:19], 1
	;; [unrolled: 1-line block ×6, first 2 shown]
	s_branch .LBB186_3
.LBB186_2:                              ;   in Loop: Header=BB186_3 Depth=1
	s_wait_xcnt 0x0
	s_or_b32 exec_lo, exec_lo, s2
	s_add_co_i32 s16, s16, 0x10000
	s_delay_alu instid0(SALU_CYCLE_1)
	s_cmp_lt_u32 s16, s3
	s_cbranch_scc0 .LBB186_17
.LBB186_3:                              ; =>This Loop Header: Depth=1
                                        ;     Child Loop BB186_5 Depth 2
	v_mov_b32_e32 v13, 0
	s_mov_b32 s15, exec_lo
	v_cmpx_gt_i32_e64 s26, v0
	s_cbranch_execz .LBB186_7
; %bb.4:                                ;   in Loop: Header=BB186_3 Depth=1
	s_lshl_b64 s[28:29], s[16:17], 3
	v_ashrrev_i32_e32 v13, 31, v0
	s_add_nc_u64 s[30:31], s[8:9], s[28:29]
	s_add_nc_u64 s[28:29], s[4:5], s[28:29]
	s_load_b64 s[34:35], s[30:31], 0x0
	s_load_b64 s[36:37], s[28:29], 0x0
	s_mov_b32 s27, 0
	s_wait_kmcnt 0x0
	s_wait_xcnt 0x0
	s_add_nc_u64 s[28:29], s[34:35], s[10:11]
	s_add_nc_u64 s[30:31], s[36:37], s[6:7]
	s_wait_dscnt 0x0
	v_mad_nc_u64_u32 v[2:3], s18, v0, s[28:29]
	v_mad_nc_u64_u32 v[4:5], s22, v0, s[30:31]
	s_mov_b32 s28, 0
	s_delay_alu instid0(VALU_DEP_2) | instskip(NEXT) | instid1(VALU_DEP_2)
	v_mad_u32 v3, s19, v0, v3
	v_mad_u32 v5, s23, v0, v5
	s_delay_alu instid0(VALU_DEP_2) | instskip(NEXT) | instid1(VALU_DEP_2)
	v_mad_u32 v3, s18, v13, v3
	v_mad_u32 v5, s22, v13, v5
	v_mov_b32_e32 v13, 0
.LBB186_5:                              ;   Parent Loop BB186_3 Depth=1
                                        ; =>  This Inner Loop Header: Depth=2
	flat_load_u16 v14, v[4:5]
	flat_load_u16 v15, v[2:3]
	v_add_nc_u32_e32 v0, s14, v0
	s_add_co_i32 s29, s28, 1
	s_cmp_gt_u32 s28, 30
	s_wait_xcnt 0x0
	v_add_nc_u64_e32 v[2:3], s[20:21], v[2:3]
	s_cselect_b32 s28, -1, 0
	v_cmp_le_i32_e64 s2, s26, v0
	v_add_nc_u64_e32 v[4:5], s[24:25], v[4:5]
	s_or_b32 s2, s28, s2
	s_mov_b32 s28, s29
	s_and_b32 s2, exec_lo, s2
	s_delay_alu instid0(SALU_CYCLE_1)
	s_or_b32 s27, s2, s27
	s_wait_loadcnt_dscnt 0x0
	v_fmac_f16_e32 v13, v14, v15
	s_and_not1_b32 exec_lo, exec_lo, s27
	s_cbranch_execnz .LBB186_5
; %bb.6:                                ;   in Loop: Header=BB186_3 Depth=1
	s_or_b32 exec_lo, exec_lo, s27
.LBB186_7:                              ;   in Loop: Header=BB186_3 Depth=1
	s_delay_alu instid0(SALU_CYCLE_1)
	s_or_b32 exec_lo, exec_lo, s15
	s_and_saveexec_b32 s2, vcc_lo
; %bb.8:                                ;   in Loop: Header=BB186_3 Depth=1
	ds_store_b16 v1, v12
; %bb.9:                                ;   in Loop: Header=BB186_3 Depth=1
	s_or_b32 exec_lo, exec_lo, s2
	s_wait_dscnt 0x0
	v_and_b32_e32 v2, 0xffff, v13
	s_wait_dscnt 0x0
	s_barrier_signal -1
	s_barrier_wait -1
	ds_bpermute_b32 v2, v6, v2
	s_wait_dscnt 0x0
	v_add_f16_e32 v3, v13, v2
	s_delay_alu instid0(VALU_DEP_1) | instskip(NEXT) | instid1(VALU_DEP_1)
	v_and_b32_e32 v4, 0xffff, v3
	v_and_or_b32 v2, 0xffff0000, v2, v4
	ds_bpermute_b32 v2, v7, v2
	s_wait_dscnt 0x0
	v_add_f16_e32 v3, v3, v2
	s_delay_alu instid0(VALU_DEP_1) | instskip(NEXT) | instid1(VALU_DEP_1)
	v_and_b32_e32 v4, 0xffff, v3
	v_and_or_b32 v2, 0xffff0000, v2, v4
	;; [unrolled: 6-line block ×4, first 2 shown]
	ds_bpermute_b32 v3, v10, v3
	s_and_saveexec_b32 s2, s0
	s_cbranch_execz .LBB186_11
; %bb.10:                               ;   in Loop: Header=BB186_3 Depth=1
	s_wait_dscnt 0x0
	v_add_f16_e32 v2, v2, v3
	ds_store_b16 v11, v2
.LBB186_11:                             ;   in Loop: Header=BB186_3 Depth=1
	s_or_b32 exec_lo, exec_lo, s2
	v_mov_b32_e32 v2, 0
	s_wait_dscnt 0x0
	s_barrier_signal -1
	s_barrier_wait -1
	s_and_saveexec_b32 s2, vcc_lo
	s_cbranch_execnz .LBB186_14
; %bb.12:                               ;   in Loop: Header=BB186_3 Depth=1
	s_or_b32 exec_lo, exec_lo, s2
	s_and_saveexec_b32 s2, vcc_lo
	s_cbranch_execnz .LBB186_15
.LBB186_13:                             ;   in Loop: Header=BB186_3 Depth=1
	s_or_b32 exec_lo, exec_lo, s2
	s_and_saveexec_b32 s2, s1
	s_cbranch_execz .LBB186_2
	s_branch .LBB186_16
.LBB186_14:                             ;   in Loop: Header=BB186_3 Depth=1
	ds_load_u16 v2, v1
	s_or_b32 exec_lo, exec_lo, s2
	s_and_saveexec_b32 s2, vcc_lo
	s_cbranch_execz .LBB186_13
.LBB186_15:                             ;   in Loop: Header=BB186_3 Depth=1
	s_wait_dscnt 0x0
	v_and_b32_e32 v3, 0xffff, v2
	ds_bpermute_b32 v3, v6, v3
	s_wait_dscnt 0x0
	v_add_f16_e32 v2, v2, v3
	s_delay_alu instid0(VALU_DEP_1) | instskip(NEXT) | instid1(VALU_DEP_1)
	v_and_b32_e32 v4, 0xffff, v2
	v_and_or_b32 v3, 0xffff0000, v3, v4
	ds_bpermute_b32 v3, v7, v3
	s_wait_dscnt 0x0
	v_add_f16_e32 v2, v2, v3
	s_delay_alu instid0(VALU_DEP_1) | instskip(NEXT) | instid1(VALU_DEP_1)
	v_and_b32_e32 v4, 0xffff, v2
	v_and_or_b32 v3, 0xffff0000, v3, v4
	;; [unrolled: 6-line block ×4, first 2 shown]
	ds_bpermute_b32 v3, v10, v3
	s_wait_dscnt 0x0
	v_add_f16_e32 v2, v2, v3
	s_or_b32 exec_lo, exec_lo, s2
	s_and_saveexec_b32 s2, s1
	s_cbranch_execz .LBB186_2
.LBB186_16:                             ;   in Loop: Header=BB186_3 Depth=1
	s_lshl_b64 s[28:29], s[16:17], 1
	s_delay_alu instid0(SALU_CYCLE_1)
	s_add_nc_u64 s[28:29], s[12:13], s[28:29]
	s_wait_dscnt 0x0
	global_store_b16 v12, v2, s[28:29]
	s_branch .LBB186_2
.LBB186_17:
	s_endpgm
	.section	.rodata,"a",@progbits
	.p2align	6, 0x0
	.amdhsa_kernel _ZL18rocblas_dot_kernelIiLb1ELi1024ELi32ELb1EDF16_PKPKDF16_DF16_EviT5_lT_lS4_lS5_liPT6_PT4_
		.amdhsa_group_segment_fixed_size 64
		.amdhsa_private_segment_fixed_size 0
		.amdhsa_kernarg_size 352
		.amdhsa_user_sgpr_count 2
		.amdhsa_user_sgpr_dispatch_ptr 0
		.amdhsa_user_sgpr_queue_ptr 0
		.amdhsa_user_sgpr_kernarg_segment_ptr 1
		.amdhsa_user_sgpr_dispatch_id 0
		.amdhsa_user_sgpr_kernarg_preload_length 0
		.amdhsa_user_sgpr_kernarg_preload_offset 0
		.amdhsa_user_sgpr_private_segment_size 0
		.amdhsa_wavefront_size32 1
		.amdhsa_uses_dynamic_stack 0
		.amdhsa_enable_private_segment 0
		.amdhsa_system_sgpr_workgroup_id_x 1
		.amdhsa_system_sgpr_workgroup_id_y 0
		.amdhsa_system_sgpr_workgroup_id_z 1
		.amdhsa_system_sgpr_workgroup_info 0
		.amdhsa_system_vgpr_workitem_id 0
		.amdhsa_next_free_vgpr 16
		.amdhsa_next_free_sgpr 38
		.amdhsa_named_barrier_count 0
		.amdhsa_reserve_vcc 1
		.amdhsa_float_round_mode_32 0
		.amdhsa_float_round_mode_16_64 0
		.amdhsa_float_denorm_mode_32 3
		.amdhsa_float_denorm_mode_16_64 3
		.amdhsa_fp16_overflow 0
		.amdhsa_memory_ordered 1
		.amdhsa_forward_progress 1
		.amdhsa_inst_pref_size 10
		.amdhsa_round_robin_scheduling 0
		.amdhsa_exception_fp_ieee_invalid_op 0
		.amdhsa_exception_fp_denorm_src 0
		.amdhsa_exception_fp_ieee_div_zero 0
		.amdhsa_exception_fp_ieee_overflow 0
		.amdhsa_exception_fp_ieee_underflow 0
		.amdhsa_exception_fp_ieee_inexact 0
		.amdhsa_exception_int_div_zero 0
	.end_amdhsa_kernel
	.section	.text._ZL18rocblas_dot_kernelIiLb1ELi1024ELi32ELb1EDF16_PKPKDF16_DF16_EviT5_lT_lS4_lS5_liPT6_PT4_,"axG",@progbits,_ZL18rocblas_dot_kernelIiLb1ELi1024ELi32ELb1EDF16_PKPKDF16_DF16_EviT5_lT_lS4_lS5_liPT6_PT4_,comdat
.Lfunc_end186:
	.size	_ZL18rocblas_dot_kernelIiLb1ELi1024ELi32ELb1EDF16_PKPKDF16_DF16_EviT5_lT_lS4_lS5_liPT6_PT4_, .Lfunc_end186-_ZL18rocblas_dot_kernelIiLb1ELi1024ELi32ELb1EDF16_PKPKDF16_DF16_EviT5_lT_lS4_lS5_liPT6_PT4_
                                        ; -- End function
	.set _ZL18rocblas_dot_kernelIiLb1ELi1024ELi32ELb1EDF16_PKPKDF16_DF16_EviT5_lT_lS4_lS5_liPT6_PT4_.num_vgpr, 16
	.set _ZL18rocblas_dot_kernelIiLb1ELi1024ELi32ELb1EDF16_PKPKDF16_DF16_EviT5_lT_lS4_lS5_liPT6_PT4_.num_agpr, 0
	.set _ZL18rocblas_dot_kernelIiLb1ELi1024ELi32ELb1EDF16_PKPKDF16_DF16_EviT5_lT_lS4_lS5_liPT6_PT4_.numbered_sgpr, 38
	.set _ZL18rocblas_dot_kernelIiLb1ELi1024ELi32ELb1EDF16_PKPKDF16_DF16_EviT5_lT_lS4_lS5_liPT6_PT4_.num_named_barrier, 0
	.set _ZL18rocblas_dot_kernelIiLb1ELi1024ELi32ELb1EDF16_PKPKDF16_DF16_EviT5_lT_lS4_lS5_liPT6_PT4_.private_seg_size, 0
	.set _ZL18rocblas_dot_kernelIiLb1ELi1024ELi32ELb1EDF16_PKPKDF16_DF16_EviT5_lT_lS4_lS5_liPT6_PT4_.uses_vcc, 1
	.set _ZL18rocblas_dot_kernelIiLb1ELi1024ELi32ELb1EDF16_PKPKDF16_DF16_EviT5_lT_lS4_lS5_liPT6_PT4_.uses_flat_scratch, 0
	.set _ZL18rocblas_dot_kernelIiLb1ELi1024ELi32ELb1EDF16_PKPKDF16_DF16_EviT5_lT_lS4_lS5_liPT6_PT4_.has_dyn_sized_stack, 0
	.set _ZL18rocblas_dot_kernelIiLb1ELi1024ELi32ELb1EDF16_PKPKDF16_DF16_EviT5_lT_lS4_lS5_liPT6_PT4_.has_recursion, 0
	.set _ZL18rocblas_dot_kernelIiLb1ELi1024ELi32ELb1EDF16_PKPKDF16_DF16_EviT5_lT_lS4_lS5_liPT6_PT4_.has_indirect_call, 0
	.section	.AMDGPU.csdata,"",@progbits
; Kernel info:
; codeLenInByte = 1160
; TotalNumSgprs: 40
; NumVgprs: 16
; ScratchSize: 0
; MemoryBound: 0
; FloatMode: 240
; IeeeMode: 1
; LDSByteSize: 64 bytes/workgroup (compile time only)
; SGPRBlocks: 0
; VGPRBlocks: 0
; NumSGPRsForWavesPerEU: 40
; NumVGPRsForWavesPerEU: 16
; NamedBarCnt: 0
; Occupancy: 16
; WaveLimiterHint : 0
; COMPUTE_PGM_RSRC2:SCRATCH_EN: 0
; COMPUTE_PGM_RSRC2:USER_SGPR: 2
; COMPUTE_PGM_RSRC2:TRAP_HANDLER: 0
; COMPUTE_PGM_RSRC2:TGID_X_EN: 1
; COMPUTE_PGM_RSRC2:TGID_Y_EN: 0
; COMPUTE_PGM_RSRC2:TGID_Z_EN: 1
; COMPUTE_PGM_RSRC2:TIDIG_COMP_CNT: 0
	.section	.text._ZL24rocblas_dot_kernel_magsqIiLb1ELi1024ELi32ELb1EDF16_PKPKDF16_DF16_EviT5_lT_liPT6_PT4_,"axG",@progbits,_ZL24rocblas_dot_kernel_magsqIiLb1ELi1024ELi32ELb1EDF16_PKPKDF16_DF16_EviT5_lT_liPT6_PT4_,comdat
	.globl	_ZL24rocblas_dot_kernel_magsqIiLb1ELi1024ELi32ELb1EDF16_PKPKDF16_DF16_EviT5_lT_liPT6_PT4_ ; -- Begin function _ZL24rocblas_dot_kernel_magsqIiLb1ELi1024ELi32ELb1EDF16_PKPKDF16_DF16_EviT5_lT_liPT6_PT4_
	.p2align	8
	.type	_ZL24rocblas_dot_kernel_magsqIiLb1ELi1024ELi32ELb1EDF16_PKPKDF16_DF16_EviT5_lT_liPT6_PT4_,@function
_ZL24rocblas_dot_kernel_magsqIiLb1ELi1024ELi32ELb1EDF16_PKPKDF16_DF16_EviT5_lT_liPT6_PT4_: ; @_ZL24rocblas_dot_kernel_magsqIiLb1ELi1024ELi32ELb1EDF16_PKPKDF16_DF16_EviT5_lT_liPT6_PT4_
; %bb.0:
	s_load_b32 s3, s[0:1], 0x28
	s_bfe_u32 s2, ttmp6, 0x40014
	s_lshr_b32 s4, ttmp7, 16
	s_add_co_i32 s2, s2, 1
	s_bfe_u32 s5, ttmp6, 0x40008
	s_mul_i32 s2, s4, s2
	s_getreg_b32 s6, hwreg(HW_REG_IB_STS2, 6, 4)
	s_add_co_i32 s5, s5, s2
	s_cmp_eq_u32 s6, 0
	s_mov_b32 s13, 0
	s_cselect_b32 s12, s4, s5
	s_wait_kmcnt 0x0
	s_cmp_ge_u32 s12, s3
	s_cbranch_scc1 .LBB187_17
; %bb.1:
	v_mbcnt_lo_u32_b32 v3, -1, 0
	s_clause 0x3
	s_load_b32 s14, s[0:1], 0x18
	s_load_b96 s[8:10], s[0:1], 0x38
	s_load_b128 s[4:7], s[0:1], 0x8
	s_load_b32 s18, s[0:1], 0x0
	v_dual_lshrrev_b32 v9, 4, v0 :: v_dual_bitop2_b32 v2, 31, v0 bitop3:0x40
	s_wait_xcnt 0x0
	v_cmp_gt_u32_e64 s0, 24, v3
	v_lshl_or_b32 v4, v3, 2, 64
	v_cmp_eq_u32_e64 s1, 0, v0
	v_dual_mov_b32 v10, 0 :: v_dual_bitop2_b32 v9, 62, v9 bitop3:0x40
	s_delay_alu instid0(VALU_DEP_4) | instskip(SKIP_2) | instid1(VALU_DEP_3)
	v_cndmask_b32_e64 v5, 0, 8, s0
	v_cmp_gt_u32_e64 s0, 28, v3
	v_cmp_gt_u32_e32 vcc_lo, 32, v0
	v_add_lshl_u32 v5, v5, v3, 2
	s_delay_alu instid0(VALU_DEP_3)
	v_cndmask_b32_e64 v6, 0, 4, s0
	v_cmp_gt_u32_e64 s0, 30, v3
	s_wait_kmcnt 0x0
	s_ashr_i32 s15, s14, 31
	s_lshl_b32 s10, s10, 10
	v_cndmask_b32_e64 v7, 0, 2, s0
	v_cmp_ne_u32_e64 s0, 31, v3
	s_ashr_i32 s11, s10, 31
	v_add_lshl_u32 v6, v6, v3, 2
	s_mul_u64 s[16:17], s[14:15], s[10:11]
	v_add_lshl_u32 v7, v7, v3, 2
	v_add_co_ci_u32_e64 v8, null, 0, v3, s0
	v_lshlrev_b32_e32 v1, 1, v2
	v_cmp_eq_u32_e64 s0, 0, v2
	s_lshl_b64 s[6:7], s[6:7], 1
	v_lshlrev_b32_e32 v8, 2, v8
	s_lshl_b64 s[14:15], s[14:15], 1
	s_lshl_b64 s[16:17], s[16:17], 1
	s_branch .LBB187_3
.LBB187_2:                              ;   in Loop: Header=BB187_3 Depth=1
	s_wait_xcnt 0x0
	s_or_b32 exec_lo, exec_lo, s2
	s_add_co_i32 s12, s12, 0x10000
	s_delay_alu instid0(SALU_CYCLE_1)
	s_cmp_lt_u32 s12, s3
	s_cbranch_scc0 .LBB187_17
.LBB187_3:                              ; =>This Loop Header: Depth=1
                                        ;     Child Loop BB187_5 Depth 2
	v_mov_b32_e32 v11, 0
	s_mov_b32 s11, exec_lo
	v_cmpx_gt_i32_e64 s18, v0
	s_cbranch_execz .LBB187_7
; %bb.4:                                ;   in Loop: Header=BB187_3 Depth=1
	s_lshl_b64 s[20:21], s[12:13], 3
	v_ashrrev_i32_e32 v11, 31, v0
	s_add_nc_u64 s[20:21], s[4:5], s[20:21]
	s_mov_b32 s19, 0
	s_load_b64 s[20:21], s[20:21], 0x0
	s_wait_kmcnt 0x0
	s_wait_xcnt 0x0
	s_add_nc_u64 s[20:21], s[20:21], s[6:7]
	s_wait_dscnt 0x0
	v_mad_nc_u64_u32 v[2:3], s14, v0, s[20:21]
	s_mov_b32 s20, 0
	s_delay_alu instid0(VALU_DEP_1) | instskip(NEXT) | instid1(VALU_DEP_1)
	v_mad_u32 v3, s15, v0, v3
	v_mad_u32 v3, s14, v11, v3
	v_mov_b32_e32 v11, 0
.LBB187_5:                              ;   Parent Loop BB187_3 Depth=1
                                        ; =>  This Inner Loop Header: Depth=2
	flat_load_u16 v12, v[2:3]
	v_add_nc_u32_e32 v0, s10, v0
	s_add_co_i32 s21, s20, 1
	s_cmp_gt_u32 s20, 30
	s_wait_xcnt 0x0
	v_add_nc_u64_e32 v[2:3], s[16:17], v[2:3]
	s_cselect_b32 s20, -1, 0
	v_cmp_le_i32_e64 s2, s18, v0
	s_or_b32 s2, s20, s2
	s_mov_b32 s20, s21
	s_and_b32 s2, exec_lo, s2
	s_delay_alu instid0(SALU_CYCLE_1)
	s_or_b32 s19, s2, s19
	s_wait_loadcnt_dscnt 0x0
	v_fmac_f16_e32 v11, v12, v12
	s_and_not1_b32 exec_lo, exec_lo, s19
	s_cbranch_execnz .LBB187_5
; %bb.6:                                ;   in Loop: Header=BB187_3 Depth=1
	s_or_b32 exec_lo, exec_lo, s19
.LBB187_7:                              ;   in Loop: Header=BB187_3 Depth=1
	s_delay_alu instid0(SALU_CYCLE_1)
	s_or_b32 exec_lo, exec_lo, s11
	s_and_saveexec_b32 s2, vcc_lo
; %bb.8:                                ;   in Loop: Header=BB187_3 Depth=1
	ds_store_b16 v1, v10
; %bb.9:                                ;   in Loop: Header=BB187_3 Depth=1
	s_or_b32 exec_lo, exec_lo, s2
	s_wait_dscnt 0x0
	v_and_b32_e32 v2, 0xffff, v11
	s_wait_dscnt 0x0
	s_barrier_signal -1
	s_barrier_wait -1
	ds_bpermute_b32 v2, v4, v2
	s_wait_dscnt 0x0
	v_add_f16_e32 v3, v11, v2
	s_delay_alu instid0(VALU_DEP_1) | instskip(NEXT) | instid1(VALU_DEP_1)
	v_and_b32_e32 v11, 0xffff, v3
	v_and_or_b32 v2, 0xffff0000, v2, v11
	ds_bpermute_b32 v2, v5, v2
	s_wait_dscnt 0x0
	v_add_f16_e32 v3, v3, v2
	s_delay_alu instid0(VALU_DEP_1) | instskip(NEXT) | instid1(VALU_DEP_1)
	v_and_b32_e32 v11, 0xffff, v3
	v_and_or_b32 v2, 0xffff0000, v2, v11
	;; [unrolled: 6-line block ×4, first 2 shown]
	ds_bpermute_b32 v3, v8, v3
	s_and_saveexec_b32 s2, s0
	s_cbranch_execz .LBB187_11
; %bb.10:                               ;   in Loop: Header=BB187_3 Depth=1
	s_wait_dscnt 0x0
	v_add_f16_e32 v2, v2, v3
	ds_store_b16 v9, v2
.LBB187_11:                             ;   in Loop: Header=BB187_3 Depth=1
	s_or_b32 exec_lo, exec_lo, s2
	v_mov_b32_e32 v2, 0
	s_wait_dscnt 0x0
	s_barrier_signal -1
	s_barrier_wait -1
	s_and_saveexec_b32 s2, vcc_lo
	s_cbranch_execnz .LBB187_14
; %bb.12:                               ;   in Loop: Header=BB187_3 Depth=1
	s_or_b32 exec_lo, exec_lo, s2
	s_and_saveexec_b32 s2, vcc_lo
	s_cbranch_execnz .LBB187_15
.LBB187_13:                             ;   in Loop: Header=BB187_3 Depth=1
	s_or_b32 exec_lo, exec_lo, s2
	s_and_saveexec_b32 s2, s1
	s_cbranch_execz .LBB187_2
	s_branch .LBB187_16
.LBB187_14:                             ;   in Loop: Header=BB187_3 Depth=1
	ds_load_u16 v2, v1
	s_or_b32 exec_lo, exec_lo, s2
	s_and_saveexec_b32 s2, vcc_lo
	s_cbranch_execz .LBB187_13
.LBB187_15:                             ;   in Loop: Header=BB187_3 Depth=1
	s_wait_dscnt 0x0
	v_and_b32_e32 v3, 0xffff, v2
	ds_bpermute_b32 v3, v4, v3
	s_wait_dscnt 0x0
	v_add_f16_e32 v2, v2, v3
	s_delay_alu instid0(VALU_DEP_1) | instskip(NEXT) | instid1(VALU_DEP_1)
	v_and_b32_e32 v11, 0xffff, v2
	v_and_or_b32 v3, 0xffff0000, v3, v11
	ds_bpermute_b32 v3, v5, v3
	s_wait_dscnt 0x0
	v_add_f16_e32 v2, v2, v3
	s_delay_alu instid0(VALU_DEP_1) | instskip(NEXT) | instid1(VALU_DEP_1)
	v_and_b32_e32 v11, 0xffff, v2
	v_and_or_b32 v3, 0xffff0000, v3, v11
	;; [unrolled: 6-line block ×4, first 2 shown]
	ds_bpermute_b32 v3, v8, v3
	s_wait_dscnt 0x0
	v_add_f16_e32 v2, v2, v3
	s_or_b32 exec_lo, exec_lo, s2
	s_and_saveexec_b32 s2, s1
	s_cbranch_execz .LBB187_2
.LBB187_16:                             ;   in Loop: Header=BB187_3 Depth=1
	s_lshl_b64 s[20:21], s[12:13], 1
	s_delay_alu instid0(SALU_CYCLE_1)
	s_add_nc_u64 s[20:21], s[8:9], s[20:21]
	s_wait_dscnt 0x0
	global_store_b16 v10, v2, s[20:21]
	s_branch .LBB187_2
.LBB187_17:
	s_endpgm
	.section	.rodata,"a",@progbits
	.p2align	6, 0x0
	.amdhsa_kernel _ZL24rocblas_dot_kernel_magsqIiLb1ELi1024ELi32ELb1EDF16_PKPKDF16_DF16_EviT5_lT_liPT6_PT4_
		.amdhsa_group_segment_fixed_size 64
		.amdhsa_private_segment_fixed_size 0
		.amdhsa_kernarg_size 320
		.amdhsa_user_sgpr_count 2
		.amdhsa_user_sgpr_dispatch_ptr 0
		.amdhsa_user_sgpr_queue_ptr 0
		.amdhsa_user_sgpr_kernarg_segment_ptr 1
		.amdhsa_user_sgpr_dispatch_id 0
		.amdhsa_user_sgpr_kernarg_preload_length 0
		.amdhsa_user_sgpr_kernarg_preload_offset 0
		.amdhsa_user_sgpr_private_segment_size 0
		.amdhsa_wavefront_size32 1
		.amdhsa_uses_dynamic_stack 0
		.amdhsa_enable_private_segment 0
		.amdhsa_system_sgpr_workgroup_id_x 1
		.amdhsa_system_sgpr_workgroup_id_y 0
		.amdhsa_system_sgpr_workgroup_id_z 1
		.amdhsa_system_sgpr_workgroup_info 0
		.amdhsa_system_vgpr_workitem_id 0
		.amdhsa_next_free_vgpr 13
		.amdhsa_next_free_sgpr 22
		.amdhsa_named_barrier_count 0
		.amdhsa_reserve_vcc 1
		.amdhsa_float_round_mode_32 0
		.amdhsa_float_round_mode_16_64 0
		.amdhsa_float_denorm_mode_32 3
		.amdhsa_float_denorm_mode_16_64 3
		.amdhsa_fp16_overflow 0
		.amdhsa_memory_ordered 1
		.amdhsa_forward_progress 1
		.amdhsa_inst_pref_size 9
		.amdhsa_round_robin_scheduling 0
		.amdhsa_exception_fp_ieee_invalid_op 0
		.amdhsa_exception_fp_denorm_src 0
		.amdhsa_exception_fp_ieee_div_zero 0
		.amdhsa_exception_fp_ieee_overflow 0
		.amdhsa_exception_fp_ieee_underflow 0
		.amdhsa_exception_fp_ieee_inexact 0
		.amdhsa_exception_int_div_zero 0
	.end_amdhsa_kernel
	.section	.text._ZL24rocblas_dot_kernel_magsqIiLb1ELi1024ELi32ELb1EDF16_PKPKDF16_DF16_EviT5_lT_liPT6_PT4_,"axG",@progbits,_ZL24rocblas_dot_kernel_magsqIiLb1ELi1024ELi32ELb1EDF16_PKPKDF16_DF16_EviT5_lT_liPT6_PT4_,comdat
.Lfunc_end187:
	.size	_ZL24rocblas_dot_kernel_magsqIiLb1ELi1024ELi32ELb1EDF16_PKPKDF16_DF16_EviT5_lT_liPT6_PT4_, .Lfunc_end187-_ZL24rocblas_dot_kernel_magsqIiLb1ELi1024ELi32ELb1EDF16_PKPKDF16_DF16_EviT5_lT_liPT6_PT4_
                                        ; -- End function
	.set _ZL24rocblas_dot_kernel_magsqIiLb1ELi1024ELi32ELb1EDF16_PKPKDF16_DF16_EviT5_lT_liPT6_PT4_.num_vgpr, 13
	.set _ZL24rocblas_dot_kernel_magsqIiLb1ELi1024ELi32ELb1EDF16_PKPKDF16_DF16_EviT5_lT_liPT6_PT4_.num_agpr, 0
	.set _ZL24rocblas_dot_kernel_magsqIiLb1ELi1024ELi32ELb1EDF16_PKPKDF16_DF16_EviT5_lT_liPT6_PT4_.numbered_sgpr, 22
	.set _ZL24rocblas_dot_kernel_magsqIiLb1ELi1024ELi32ELb1EDF16_PKPKDF16_DF16_EviT5_lT_liPT6_PT4_.num_named_barrier, 0
	.set _ZL24rocblas_dot_kernel_magsqIiLb1ELi1024ELi32ELb1EDF16_PKPKDF16_DF16_EviT5_lT_liPT6_PT4_.private_seg_size, 0
	.set _ZL24rocblas_dot_kernel_magsqIiLb1ELi1024ELi32ELb1EDF16_PKPKDF16_DF16_EviT5_lT_liPT6_PT4_.uses_vcc, 1
	.set _ZL24rocblas_dot_kernel_magsqIiLb1ELi1024ELi32ELb1EDF16_PKPKDF16_DF16_EviT5_lT_liPT6_PT4_.uses_flat_scratch, 0
	.set _ZL24rocblas_dot_kernel_magsqIiLb1ELi1024ELi32ELb1EDF16_PKPKDF16_DF16_EviT5_lT_liPT6_PT4_.has_dyn_sized_stack, 0
	.set _ZL24rocblas_dot_kernel_magsqIiLb1ELi1024ELi32ELb1EDF16_PKPKDF16_DF16_EviT5_lT_liPT6_PT4_.has_recursion, 0
	.set _ZL24rocblas_dot_kernel_magsqIiLb1ELi1024ELi32ELb1EDF16_PKPKDF16_DF16_EviT5_lT_liPT6_PT4_.has_indirect_call, 0
	.section	.AMDGPU.csdata,"",@progbits
; Kernel info:
; codeLenInByte = 1068
; TotalNumSgprs: 24
; NumVgprs: 13
; ScratchSize: 0
; MemoryBound: 0
; FloatMode: 240
; IeeeMode: 1
; LDSByteSize: 64 bytes/workgroup (compile time only)
; SGPRBlocks: 0
; VGPRBlocks: 0
; NumSGPRsForWavesPerEU: 24
; NumVGPRsForWavesPerEU: 13
; NamedBarCnt: 0
; Occupancy: 16
; WaveLimiterHint : 0
; COMPUTE_PGM_RSRC2:SCRATCH_EN: 0
; COMPUTE_PGM_RSRC2:USER_SGPR: 2
; COMPUTE_PGM_RSRC2:TRAP_HANDLER: 0
; COMPUTE_PGM_RSRC2:TGID_X_EN: 1
; COMPUTE_PGM_RSRC2:TGID_Y_EN: 0
; COMPUTE_PGM_RSRC2:TGID_Z_EN: 1
; COMPUTE_PGM_RSRC2:TIDIG_COMP_CNT: 0
	.section	.text._ZL38rocblas_dot_kernel_gfx942_float_doubleIiLi1024EDF16_PKPKDF16_DF16_EviT2_lT_lS4_lS5_lPT3_PT1_,"axG",@progbits,_ZL38rocblas_dot_kernel_gfx942_float_doubleIiLi1024EDF16_PKPKDF16_DF16_EviT2_lT_lS4_lS5_lPT3_PT1_,comdat
	.globl	_ZL38rocblas_dot_kernel_gfx942_float_doubleIiLi1024EDF16_PKPKDF16_DF16_EviT2_lT_lS4_lS5_lPT3_PT1_ ; -- Begin function _ZL38rocblas_dot_kernel_gfx942_float_doubleIiLi1024EDF16_PKPKDF16_DF16_EviT2_lT_lS4_lS5_lPT3_PT1_
	.p2align	8
	.type	_ZL38rocblas_dot_kernel_gfx942_float_doubleIiLi1024EDF16_PKPKDF16_DF16_EviT2_lT_lS4_lS5_lPT3_PT1_,@function
_ZL38rocblas_dot_kernel_gfx942_float_doubleIiLi1024EDF16_PKPKDF16_DF16_EviT2_lT_lS4_lS5_lPT3_PT1_: ; @_ZL38rocblas_dot_kernel_gfx942_float_doubleIiLi1024EDF16_PKPKDF16_DF16_EviT2_lT_lS4_lS5_lPT3_PT1_
; %bb.0:
	s_endpgm
	.section	.rodata,"a",@progbits
	.p2align	6, 0x0
	.amdhsa_kernel _ZL38rocblas_dot_kernel_gfx942_float_doubleIiLi1024EDF16_PKPKDF16_DF16_EviT2_lT_lS4_lS5_lPT3_PT1_
		.amdhsa_group_segment_fixed_size 0
		.amdhsa_private_segment_fixed_size 0
		.amdhsa_kernarg_size 88
		.amdhsa_user_sgpr_count 2
		.amdhsa_user_sgpr_dispatch_ptr 0
		.amdhsa_user_sgpr_queue_ptr 0
		.amdhsa_user_sgpr_kernarg_segment_ptr 1
		.amdhsa_user_sgpr_dispatch_id 0
		.amdhsa_user_sgpr_kernarg_preload_length 0
		.amdhsa_user_sgpr_kernarg_preload_offset 0
		.amdhsa_user_sgpr_private_segment_size 0
		.amdhsa_wavefront_size32 1
		.amdhsa_uses_dynamic_stack 0
		.amdhsa_enable_private_segment 0
		.amdhsa_system_sgpr_workgroup_id_x 1
		.amdhsa_system_sgpr_workgroup_id_y 0
		.amdhsa_system_sgpr_workgroup_id_z 0
		.amdhsa_system_sgpr_workgroup_info 0
		.amdhsa_system_vgpr_workitem_id 0
		.amdhsa_next_free_vgpr 1
		.amdhsa_next_free_sgpr 1
		.amdhsa_named_barrier_count 0
		.amdhsa_reserve_vcc 0
		.amdhsa_float_round_mode_32 0
		.amdhsa_float_round_mode_16_64 0
		.amdhsa_float_denorm_mode_32 3
		.amdhsa_float_denorm_mode_16_64 3
		.amdhsa_fp16_overflow 0
		.amdhsa_memory_ordered 1
		.amdhsa_forward_progress 1
		.amdhsa_inst_pref_size 1
		.amdhsa_round_robin_scheduling 0
		.amdhsa_exception_fp_ieee_invalid_op 0
		.amdhsa_exception_fp_denorm_src 0
		.amdhsa_exception_fp_ieee_div_zero 0
		.amdhsa_exception_fp_ieee_overflow 0
		.amdhsa_exception_fp_ieee_underflow 0
		.amdhsa_exception_fp_ieee_inexact 0
		.amdhsa_exception_int_div_zero 0
	.end_amdhsa_kernel
	.section	.text._ZL38rocblas_dot_kernel_gfx942_float_doubleIiLi1024EDF16_PKPKDF16_DF16_EviT2_lT_lS4_lS5_lPT3_PT1_,"axG",@progbits,_ZL38rocblas_dot_kernel_gfx942_float_doubleIiLi1024EDF16_PKPKDF16_DF16_EviT2_lT_lS4_lS5_lPT3_PT1_,comdat
.Lfunc_end188:
	.size	_ZL38rocblas_dot_kernel_gfx942_float_doubleIiLi1024EDF16_PKPKDF16_DF16_EviT2_lT_lS4_lS5_lPT3_PT1_, .Lfunc_end188-_ZL38rocblas_dot_kernel_gfx942_float_doubleIiLi1024EDF16_PKPKDF16_DF16_EviT2_lT_lS4_lS5_lPT3_PT1_
                                        ; -- End function
	.set _ZL38rocblas_dot_kernel_gfx942_float_doubleIiLi1024EDF16_PKPKDF16_DF16_EviT2_lT_lS4_lS5_lPT3_PT1_.num_vgpr, 0
	.set _ZL38rocblas_dot_kernel_gfx942_float_doubleIiLi1024EDF16_PKPKDF16_DF16_EviT2_lT_lS4_lS5_lPT3_PT1_.num_agpr, 0
	.set _ZL38rocblas_dot_kernel_gfx942_float_doubleIiLi1024EDF16_PKPKDF16_DF16_EviT2_lT_lS4_lS5_lPT3_PT1_.numbered_sgpr, 0
	.set _ZL38rocblas_dot_kernel_gfx942_float_doubleIiLi1024EDF16_PKPKDF16_DF16_EviT2_lT_lS4_lS5_lPT3_PT1_.num_named_barrier, 0
	.set _ZL38rocblas_dot_kernel_gfx942_float_doubleIiLi1024EDF16_PKPKDF16_DF16_EviT2_lT_lS4_lS5_lPT3_PT1_.private_seg_size, 0
	.set _ZL38rocblas_dot_kernel_gfx942_float_doubleIiLi1024EDF16_PKPKDF16_DF16_EviT2_lT_lS4_lS5_lPT3_PT1_.uses_vcc, 0
	.set _ZL38rocblas_dot_kernel_gfx942_float_doubleIiLi1024EDF16_PKPKDF16_DF16_EviT2_lT_lS4_lS5_lPT3_PT1_.uses_flat_scratch, 0
	.set _ZL38rocblas_dot_kernel_gfx942_float_doubleIiLi1024EDF16_PKPKDF16_DF16_EviT2_lT_lS4_lS5_lPT3_PT1_.has_dyn_sized_stack, 0
	.set _ZL38rocblas_dot_kernel_gfx942_float_doubleIiLi1024EDF16_PKPKDF16_DF16_EviT2_lT_lS4_lS5_lPT3_PT1_.has_recursion, 0
	.set _ZL38rocblas_dot_kernel_gfx942_float_doubleIiLi1024EDF16_PKPKDF16_DF16_EviT2_lT_lS4_lS5_lPT3_PT1_.has_indirect_call, 0
	.section	.AMDGPU.csdata,"",@progbits
; Kernel info:
; codeLenInByte = 4
; TotalNumSgprs: 0
; NumVgprs: 0
; ScratchSize: 0
; MemoryBound: 0
; FloatMode: 240
; IeeeMode: 1
; LDSByteSize: 0 bytes/workgroup (compile time only)
; SGPRBlocks: 0
; VGPRBlocks: 0
; NumSGPRsForWavesPerEU: 1
; NumVGPRsForWavesPerEU: 1
; NamedBarCnt: 0
; Occupancy: 16
; WaveLimiterHint : 0
; COMPUTE_PGM_RSRC2:SCRATCH_EN: 0
; COMPUTE_PGM_RSRC2:USER_SGPR: 2
; COMPUTE_PGM_RSRC2:TRAP_HANDLER: 0
; COMPUTE_PGM_RSRC2:TGID_X_EN: 1
; COMPUTE_PGM_RSRC2:TGID_Y_EN: 0
; COMPUTE_PGM_RSRC2:TGID_Z_EN: 0
; COMPUTE_PGM_RSRC2:TIDIG_COMP_CNT: 0
	.section	.text._ZL23rocblas_dot_kernel_inc1ILb0ELi512ELi8ELb1EDF16_PKPKDF16_DF16_EviT4_llS4_lliPT5_PT3_,"axG",@progbits,_ZL23rocblas_dot_kernel_inc1ILb0ELi512ELi8ELb1EDF16_PKPKDF16_DF16_EviT4_llS4_lliPT5_PT3_,comdat
	.globl	_ZL23rocblas_dot_kernel_inc1ILb0ELi512ELi8ELb1EDF16_PKPKDF16_DF16_EviT4_llS4_lliPT5_PT3_ ; -- Begin function _ZL23rocblas_dot_kernel_inc1ILb0ELi512ELi8ELb1EDF16_PKPKDF16_DF16_EviT4_llS4_lliPT5_PT3_
	.p2align	8
	.type	_ZL23rocblas_dot_kernel_inc1ILb0ELi512ELi8ELb1EDF16_PKPKDF16_DF16_EviT4_llS4_lliPT5_PT3_,@function
_ZL23rocblas_dot_kernel_inc1ILb0ELi512ELi8ELb1EDF16_PKPKDF16_DF16_EviT4_llS4_lliPT5_PT3_: ; @_ZL23rocblas_dot_kernel_inc1ILb0ELi512ELi8ELb1EDF16_PKPKDF16_DF16_EviT4_llS4_lliPT5_PT3_
; %bb.0:
	s_load_b32 s28, s[0:1], 0x38
	s_bfe_u32 s2, ttmp6, 0x40014
	s_lshr_b32 s3, ttmp7, 16
	s_add_co_i32 s2, s2, 1
	s_bfe_u32 s5, ttmp6, 0x40008
	s_mul_i32 s4, s3, s2
	s_getreg_b32 s2, hwreg(HW_REG_IB_STS2, 6, 4)
	s_add_co_i32 s5, s5, s4
	s_cmp_eq_u32 s2, 0
	s_mov_b32 s17, 0
	s_cselect_b32 s16, s3, s5
	s_wait_kmcnt 0x0
	s_cmp_ge_u32 s16, s28
	s_cbranch_scc1 .LBB189_20
; %bb.1:
	v_mbcnt_lo_u32_b32 v3, -1, 0
	s_clause 0x4
	s_load_b32 s18, s[0:1], 0x50
	s_load_b128 s[4:7], s[0:1], 0x40
	s_load_b128 s[8:11], s[0:1], 0x20
	;; [unrolled: 1-line block ×3, first 2 shown]
	s_load_b32 s29, s[0:1], 0x0
	s_bfe_u32 s3, ttmp6, 0x4000c
	s_wait_xcnt 0x0
	s_and_b32 s1, ttmp6, 15
	s_add_co_i32 s3, s3, 1
	v_cmp_gt_u32_e32 vcc_lo, 24, v3
	s_mul_i32 s3, ttmp9, s3
	v_dual_lshrrev_b32 v10, 4, v0 :: v_dual_bitop2_b32 v1, 31, v0 bitop3:0x40
	s_add_co_i32 s1, s1, s3
	v_cndmask_b32_e64 v6, 0, 8, vcc_lo
	v_cmp_gt_u32_e32 vcc_lo, 28, v3
	s_cmp_eq_u32 s2, 0
	s_mov_b32 s23, s17
	s_cselect_b32 s22, ttmp9, s1
	v_cmp_gt_u32_e64 s0, 32, v0
	v_cndmask_b32_e64 v7, 0, 4, vcc_lo
	v_cmp_gt_u32_e32 vcc_lo, 30, v3
	s_wait_kmcnt 0x0
	s_cmp_lg_u32 s18, 1
	v_dual_lshlrev_b32 v4, 1, v1 :: v_dual_bitop2_b32 v10, 30, v10 bitop3:0x40
	s_cselect_b32 s30, -1, 0
	v_cndmask_b32_e64 v8, 0, 2, vcc_lo
	v_cmp_ne_u32_e32 vcc_lo, 31, v3
	s_lshl_b32 s20, s18, 9
	v_lshl_or_b32 v5, v3, 2, 64
	v_lshl_or_b32 v2, s22, 9, v0
	v_add_lshl_u32 v6, v6, v3, 2
	v_add_co_ci_u32_e64 v9, null, 0, v3, vcc_lo
	v_add_lshl_u32 v7, v7, v3, 2
	v_add_lshl_u32 v8, v8, v3, 2
	v_cmp_eq_u32_e64 s1, 0, v1
	s_delay_alu instid0(VALU_DEP_4)
	v_dual_lshlrev_b32 v9, 2, v9 :: v_dual_mov_b32 v11, 0
	v_cmp_gt_u32_e64 s2, 16, v0
	v_cmp_eq_u32_e64 s3, 0, v0
	s_lshl_b64 s[22:23], s[22:23], 1
	s_ashr_i32 s21, s20, 31
	s_mov_b32 s19, s17
	s_add_nc_u64 s[4:5], s[4:5], s[22:23]
	s_lshl_b64 s[22:23], s[20:21], 1
	s_lshl_b64 s[14:15], s[14:15], 1
	;; [unrolled: 1-line block ×3, first 2 shown]
	s_branch .LBB189_3
.LBB189_2:                              ;   in Loop: Header=BB189_3 Depth=1
	s_wait_xcnt 0x0
	s_or_b32 exec_lo, exec_lo, s21
	s_add_co_i32 s16, s16, 0x10000
	s_delay_alu instid0(SALU_CYCLE_1)
	s_cmp_lt_u32 s16, s28
	s_cbranch_scc0 .LBB189_20
.LBB189_3:                              ; =>This Loop Header: Depth=1
                                        ;     Child Loop BB189_5 Depth 2
	v_mov_b32_e32 v3, 0
	s_mov_b32 s21, exec_lo
	v_cmpx_gt_i32_e64 s29, v2
	s_cbranch_execz .LBB189_7
; %bb.4:                                ;   in Loop: Header=BB189_3 Depth=1
	s_lshl_b64 s[24:25], s[16:17], 3
	v_ashrrev_i32_e32 v3, 31, v2
	s_add_nc_u64 s[26:27], s[12:13], s[24:25]
	s_add_nc_u64 s[24:25], s[8:9], s[24:25]
	s_load_b64 s[34:35], s[26:27], 0x0
	s_load_b64 s[36:37], s[24:25], 0x0
	s_mov_b32 s31, 0
	s_wait_dscnt 0x0
	v_lshlrev_b64_e32 v[0:1], 1, v[2:3]
	v_mov_b32_e32 v3, 0
	s_mov_b32 s33, 0
	s_wait_kmcnt 0x0
	s_wait_xcnt 0x0
	s_add_nc_u64 s[24:25], s[34:35], s[14:15]
	s_add_nc_u64 s[26:27], s[36:37], s[10:11]
.LBB189_5:                              ;   Parent Loop BB189_3 Depth=1
                                        ; =>  This Inner Loop Header: Depth=2
	s_delay_alu instid0(SALU_CYCLE_1)
	v_add_nc_u64_e32 v[12:13], s[26:27], v[0:1]
	v_add_nc_u64_e32 v[14:15], s[24:25], v[0:1]
	v_add_nc_u32_e32 v2, s20, v2
	s_add_co_i32 s34, s33, 1
	s_cmp_gt_u32 s33, 6
	v_add_nc_u64_e32 v[0:1], s[22:23], v[0:1]
	s_cselect_b32 s33, -1, 0
	flat_load_u16 v16, v[12:13]
	flat_load_u16 v17, v[14:15]
	v_cmp_le_i32_e32 vcc_lo, s29, v2
	s_or_b32 s33, s33, vcc_lo
	s_delay_alu instid0(SALU_CYCLE_1) | instskip(NEXT) | instid1(SALU_CYCLE_1)
	s_and_b32 s33, exec_lo, s33
	s_or_b32 s31, s33, s31
	s_mov_b32 s33, s34
	s_wait_loadcnt_dscnt 0x0
	v_fmac_f16_e32 v3, v16, v17
	s_wait_xcnt 0x0
	s_and_not1_b32 exec_lo, exec_lo, s31
	s_cbranch_execnz .LBB189_5
; %bb.6:                                ;   in Loop: Header=BB189_3 Depth=1
	s_or_b32 exec_lo, exec_lo, s31
.LBB189_7:                              ;   in Loop: Header=BB189_3 Depth=1
	s_delay_alu instid0(SALU_CYCLE_1)
	s_or_b32 exec_lo, exec_lo, s21
	s_and_saveexec_b32 s21, s0
; %bb.8:                                ;   in Loop: Header=BB189_3 Depth=1
	ds_store_b16 v4, v11
; %bb.9:                                ;   in Loop: Header=BB189_3 Depth=1
	s_or_b32 exec_lo, exec_lo, s21
	s_wait_dscnt 0x0
	v_and_b32_e32 v0, 0xffff, v3
	s_wait_dscnt 0x0
	s_barrier_signal -1
	s_barrier_wait -1
	ds_bpermute_b32 v0, v5, v0
	s_wait_dscnt 0x0
	v_add_f16_e32 v1, v3, v0
	s_delay_alu instid0(VALU_DEP_1) | instskip(NEXT) | instid1(VALU_DEP_1)
	v_and_b32_e32 v3, 0xffff, v1
	v_and_or_b32 v0, 0xffff0000, v0, v3
	ds_bpermute_b32 v0, v6, v0
	s_wait_dscnt 0x0
	v_add_f16_e32 v1, v1, v0
	s_delay_alu instid0(VALU_DEP_1) | instskip(NEXT) | instid1(VALU_DEP_1)
	v_and_b32_e32 v3, 0xffff, v1
	v_and_or_b32 v0, 0xffff0000, v0, v3
	;; [unrolled: 6-line block ×4, first 2 shown]
	ds_bpermute_b32 v1, v9, v1
	s_and_saveexec_b32 s21, s1
	s_cbranch_execz .LBB189_11
; %bb.10:                               ;   in Loop: Header=BB189_3 Depth=1
	s_wait_dscnt 0x0
	v_add_f16_e32 v0, v0, v1
	ds_store_b16 v10, v0
.LBB189_11:                             ;   in Loop: Header=BB189_3 Depth=1
	s_or_b32 exec_lo, exec_lo, s21
	v_mov_b32_e32 v0, 0
	s_wait_dscnt 0x0
	s_barrier_signal -1
	s_barrier_wait -1
	s_and_saveexec_b32 s21, s2
	s_cbranch_execnz .LBB189_14
; %bb.12:                               ;   in Loop: Header=BB189_3 Depth=1
	s_or_b32 exec_lo, exec_lo, s21
	s_and_saveexec_b32 s21, s0
	s_cbranch_execnz .LBB189_15
.LBB189_13:                             ;   in Loop: Header=BB189_3 Depth=1
	s_or_b32 exec_lo, exec_lo, s21
	s_and_saveexec_b32 s21, s3
	s_cbranch_execz .LBB189_2
	s_branch .LBB189_16
.LBB189_14:                             ;   in Loop: Header=BB189_3 Depth=1
	ds_load_u16 v0, v4
	s_or_b32 exec_lo, exec_lo, s21
	s_and_saveexec_b32 s21, s0
	s_cbranch_execz .LBB189_13
.LBB189_15:                             ;   in Loop: Header=BB189_3 Depth=1
	s_wait_dscnt 0x0
	v_and_b32_e32 v1, 0xffff, v0
	ds_bpermute_b32 v1, v6, v1
	s_wait_dscnt 0x0
	v_add_f16_e32 v0, v0, v1
	s_delay_alu instid0(VALU_DEP_1) | instskip(NEXT) | instid1(VALU_DEP_1)
	v_and_b32_e32 v3, 0xffff, v0
	v_and_or_b32 v1, 0xffff0000, v1, v3
	ds_bpermute_b32 v1, v7, v1
	s_wait_dscnt 0x0
	v_add_f16_e32 v0, v0, v1
	s_delay_alu instid0(VALU_DEP_1) | instskip(NEXT) | instid1(VALU_DEP_1)
	v_and_b32_e32 v3, 0xffff, v0
	v_and_or_b32 v1, 0xffff0000, v1, v3
	;; [unrolled: 6-line block ×3, first 2 shown]
	ds_bpermute_b32 v1, v9, v1
	s_wait_dscnt 0x0
	v_add_f16_e32 v0, v0, v1
	s_or_b32 exec_lo, exec_lo, s21
	s_and_saveexec_b32 s21, s3
	s_cbranch_execz .LBB189_2
.LBB189_16:                             ;   in Loop: Header=BB189_3 Depth=1
	s_and_b32 vcc_lo, exec_lo, s30
	s_mov_b32 s24, -1
	s_cbranch_vccz .LBB189_18
; %bb.17:                               ;   in Loop: Header=BB189_3 Depth=1
	s_mul_u64 s[24:25], s[18:19], s[16:17]
	s_delay_alu instid0(SALU_CYCLE_1) | instskip(NEXT) | instid1(SALU_CYCLE_1)
	s_lshl_b64 s[24:25], s[24:25], 1
	s_add_nc_u64 s[26:27], s[4:5], s[24:25]
	s_mov_b32 s24, 0
	s_wait_dscnt 0x0
	global_store_b16 v11, v0, s[26:27]
.LBB189_18:                             ;   in Loop: Header=BB189_3 Depth=1
	s_and_not1_b32 vcc_lo, exec_lo, s24
	s_cbranch_vccnz .LBB189_2
; %bb.19:                               ;   in Loop: Header=BB189_3 Depth=1
	s_lshl_b64 s[24:25], s[16:17], 1
	s_delay_alu instid0(SALU_CYCLE_1)
	s_add_nc_u64 s[24:25], s[6:7], s[24:25]
	s_wait_dscnt 0x0
	global_store_b16 v11, v0, s[24:25]
	s_branch .LBB189_2
.LBB189_20:
	s_endpgm
	.section	.rodata,"a",@progbits
	.p2align	6, 0x0
	.amdhsa_kernel _ZL23rocblas_dot_kernel_inc1ILb0ELi512ELi8ELb1EDF16_PKPKDF16_DF16_EviT4_llS4_lliPT5_PT3_
		.amdhsa_group_segment_fixed_size 64
		.amdhsa_private_segment_fixed_size 0
		.amdhsa_kernarg_size 336
		.amdhsa_user_sgpr_count 2
		.amdhsa_user_sgpr_dispatch_ptr 0
		.amdhsa_user_sgpr_queue_ptr 0
		.amdhsa_user_sgpr_kernarg_segment_ptr 1
		.amdhsa_user_sgpr_dispatch_id 0
		.amdhsa_user_sgpr_kernarg_preload_length 0
		.amdhsa_user_sgpr_kernarg_preload_offset 0
		.amdhsa_user_sgpr_private_segment_size 0
		.amdhsa_wavefront_size32 1
		.amdhsa_uses_dynamic_stack 0
		.amdhsa_enable_private_segment 0
		.amdhsa_system_sgpr_workgroup_id_x 1
		.amdhsa_system_sgpr_workgroup_id_y 0
		.amdhsa_system_sgpr_workgroup_id_z 1
		.amdhsa_system_sgpr_workgroup_info 0
		.amdhsa_system_vgpr_workitem_id 0
		.amdhsa_next_free_vgpr 18
		.amdhsa_next_free_sgpr 38
		.amdhsa_named_barrier_count 0
		.amdhsa_reserve_vcc 1
		.amdhsa_float_round_mode_32 0
		.amdhsa_float_round_mode_16_64 0
		.amdhsa_float_denorm_mode_32 3
		.amdhsa_float_denorm_mode_16_64 3
		.amdhsa_fp16_overflow 0
		.amdhsa_memory_ordered 1
		.amdhsa_forward_progress 1
		.amdhsa_inst_pref_size 10
		.amdhsa_round_robin_scheduling 0
		.amdhsa_exception_fp_ieee_invalid_op 0
		.amdhsa_exception_fp_denorm_src 0
		.amdhsa_exception_fp_ieee_div_zero 0
		.amdhsa_exception_fp_ieee_overflow 0
		.amdhsa_exception_fp_ieee_underflow 0
		.amdhsa_exception_fp_ieee_inexact 0
		.amdhsa_exception_int_div_zero 0
	.end_amdhsa_kernel
	.section	.text._ZL23rocblas_dot_kernel_inc1ILb0ELi512ELi8ELb1EDF16_PKPKDF16_DF16_EviT4_llS4_lliPT5_PT3_,"axG",@progbits,_ZL23rocblas_dot_kernel_inc1ILb0ELi512ELi8ELb1EDF16_PKPKDF16_DF16_EviT4_llS4_lliPT5_PT3_,comdat
.Lfunc_end189:
	.size	_ZL23rocblas_dot_kernel_inc1ILb0ELi512ELi8ELb1EDF16_PKPKDF16_DF16_EviT4_llS4_lliPT5_PT3_, .Lfunc_end189-_ZL23rocblas_dot_kernel_inc1ILb0ELi512ELi8ELb1EDF16_PKPKDF16_DF16_EviT4_llS4_lliPT5_PT3_
                                        ; -- End function
	.set _ZL23rocblas_dot_kernel_inc1ILb0ELi512ELi8ELb1EDF16_PKPKDF16_DF16_EviT4_llS4_lliPT5_PT3_.num_vgpr, 18
	.set _ZL23rocblas_dot_kernel_inc1ILb0ELi512ELi8ELb1EDF16_PKPKDF16_DF16_EviT4_llS4_lliPT5_PT3_.num_agpr, 0
	.set _ZL23rocblas_dot_kernel_inc1ILb0ELi512ELi8ELb1EDF16_PKPKDF16_DF16_EviT4_llS4_lliPT5_PT3_.numbered_sgpr, 38
	.set _ZL23rocblas_dot_kernel_inc1ILb0ELi512ELi8ELb1EDF16_PKPKDF16_DF16_EviT4_llS4_lliPT5_PT3_.num_named_barrier, 0
	.set _ZL23rocblas_dot_kernel_inc1ILb0ELi512ELi8ELb1EDF16_PKPKDF16_DF16_EviT4_llS4_lliPT5_PT3_.private_seg_size, 0
	.set _ZL23rocblas_dot_kernel_inc1ILb0ELi512ELi8ELb1EDF16_PKPKDF16_DF16_EviT4_llS4_lliPT5_PT3_.uses_vcc, 1
	.set _ZL23rocblas_dot_kernel_inc1ILb0ELi512ELi8ELb1EDF16_PKPKDF16_DF16_EviT4_llS4_lliPT5_PT3_.uses_flat_scratch, 0
	.set _ZL23rocblas_dot_kernel_inc1ILb0ELi512ELi8ELb1EDF16_PKPKDF16_DF16_EviT4_llS4_lliPT5_PT3_.has_dyn_sized_stack, 0
	.set _ZL23rocblas_dot_kernel_inc1ILb0ELi512ELi8ELb1EDF16_PKPKDF16_DF16_EviT4_llS4_lliPT5_PT3_.has_recursion, 0
	.set _ZL23rocblas_dot_kernel_inc1ILb0ELi512ELi8ELb1EDF16_PKPKDF16_DF16_EviT4_llS4_lliPT5_PT3_.has_indirect_call, 0
	.section	.AMDGPU.csdata,"",@progbits
; Kernel info:
; codeLenInByte = 1156
; TotalNumSgprs: 40
; NumVgprs: 18
; ScratchSize: 0
; MemoryBound: 0
; FloatMode: 240
; IeeeMode: 1
; LDSByteSize: 64 bytes/workgroup (compile time only)
; SGPRBlocks: 0
; VGPRBlocks: 1
; NumSGPRsForWavesPerEU: 40
; NumVGPRsForWavesPerEU: 18
; NamedBarCnt: 0
; Occupancy: 16
; WaveLimiterHint : 1
; COMPUTE_PGM_RSRC2:SCRATCH_EN: 0
; COMPUTE_PGM_RSRC2:USER_SGPR: 2
; COMPUTE_PGM_RSRC2:TRAP_HANDLER: 0
; COMPUTE_PGM_RSRC2:TGID_X_EN: 1
; COMPUTE_PGM_RSRC2:TGID_Y_EN: 0
; COMPUTE_PGM_RSRC2:TGID_Z_EN: 1
; COMPUTE_PGM_RSRC2:TIDIG_COMP_CNT: 0
	.section	.text._ZL18rocblas_dot_kernelIiLb0ELi512ELi8ELb1EDF16_PKPKDF16_DF16_EviT5_lT_lS4_lS5_liPT6_PT4_,"axG",@progbits,_ZL18rocblas_dot_kernelIiLb0ELi512ELi8ELb1EDF16_PKPKDF16_DF16_EviT5_lT_lS4_lS5_liPT6_PT4_,comdat
	.globl	_ZL18rocblas_dot_kernelIiLb0ELi512ELi8ELb1EDF16_PKPKDF16_DF16_EviT5_lT_lS4_lS5_liPT6_PT4_ ; -- Begin function _ZL18rocblas_dot_kernelIiLb0ELi512ELi8ELb1EDF16_PKPKDF16_DF16_EviT5_lT_lS4_lS5_liPT6_PT4_
	.p2align	8
	.type	_ZL18rocblas_dot_kernelIiLb0ELi512ELi8ELb1EDF16_PKPKDF16_DF16_EviT5_lT_lS4_lS5_liPT6_PT4_,@function
_ZL18rocblas_dot_kernelIiLb0ELi512ELi8ELb1EDF16_PKPKDF16_DF16_EviT5_lT_lS4_lS5_liPT6_PT4_: ; @_ZL18rocblas_dot_kernelIiLb0ELi512ELi8ELb1EDF16_PKPKDF16_DF16_EviT5_lT_lS4_lS5_liPT6_PT4_
; %bb.0:
	s_load_b32 s30, s[0:1], 0x48
	s_bfe_u32 s2, ttmp6, 0x40014
	s_lshr_b32 s3, ttmp7, 16
	s_add_co_i32 s2, s2, 1
	s_bfe_u32 s5, ttmp6, 0x40008
	s_mul_i32 s4, s3, s2
	s_getreg_b32 s2, hwreg(HW_REG_IB_STS2, 6, 4)
	s_add_co_i32 s5, s5, s4
	s_cmp_eq_u32 s2, 0
	s_mov_b32 s17, 0
	s_cselect_b32 s16, s3, s5
	s_wait_kmcnt 0x0
	s_cmp_ge_u32 s16, s30
	s_cbranch_scc1 .LBB190_20
; %bb.1:
	v_mbcnt_lo_u32_b32 v2, -1, 0
	s_clause 0x6
	s_load_b32 s22, s[0:1], 0x18
	s_load_b32 s26, s[0:1], 0x38
	;; [unrolled: 1-line block ×3, first 2 shown]
	s_load_b128 s[4:7], s[0:1], 0x50
	s_load_b128 s[8:11], s[0:1], 0x28
	;; [unrolled: 1-line block ×3, first 2 shown]
	s_load_b32 s31, s[0:1], 0x0
	s_bfe_u32 s3, ttmp6, 0x4000c
	s_wait_xcnt 0x0
	s_and_b32 s1, ttmp6, 15
	s_add_co_i32 s3, s3, 1
	v_cmp_gt_u32_e32 vcc_lo, 24, v2
	s_mul_i32 s3, ttmp9, s3
	v_and_b32_e32 v1, 31, v0
	s_add_co_i32 s1, s1, s3
	s_mov_b32 s25, s17
	v_cndmask_b32_e64 v3, 0, 8, vcc_lo
	v_cmp_gt_u32_e32 vcc_lo, 28, v2
	v_cmp_gt_u32_e64 s0, 32, v0
	v_lshl_or_b32 v5, v2, 2, 64
	v_cmp_eq_u32_e64 s3, 0, v0
	s_wait_kmcnt 0x0
	s_ashr_i32 s23, s22, 31
	v_cndmask_b32_e64 v8, 0, 4, vcc_lo
	v_cmp_gt_u32_e32 vcc_lo, 30, v2
	s_ashr_i32 s27, s26, 31
	s_cmp_eq_u32 s2, 0
	v_add_lshl_u32 v7, v3, v2, 2
	s_cselect_b32 s24, ttmp9, s1
	v_cndmask_b32_e64 v9, 0, 2, vcc_lo
	v_cmp_ne_u32_e32 vcc_lo, 31, v2
	s_cmp_lg_u32 s18, 1
	v_lshrrev_b32_e32 v3, 4, v0
	s_cselect_b32 s33, -1, 0
	s_lshl_b32 s20, s18, 9
	v_add_co_ci_u32_e64 v10, null, 0, v2, vcc_lo
	v_lshl_or_b32 v6, s24, 9, v0
	s_lshl_b64 s[24:25], s[24:25], 1
	s_ashr_i32 s21, s20, 31
	s_delay_alu instid0(VALU_DEP_2)
	v_dual_lshlrev_b32 v4, 1, v1 :: v_dual_lshlrev_b32 v10, 2, v10
	v_add_lshl_u32 v8, v8, v2, 2
	v_add_lshl_u32 v9, v9, v2, 2
	v_cmp_eq_u32_e64 s1, 0, v1
	v_dual_mov_b32 v12, 0 :: v_dual_bitop2_b32 v11, 30, v3 bitop3:0x40
	v_cmp_gt_u32_e64 s2, 16, v0
	s_add_nc_u64 s[4:5], s[4:5], s[24:25]
	s_mul_u64 s[24:25], s[22:23], s[20:21]
	s_mul_u64 s[28:29], s[26:27], s[20:21]
	s_mov_b32 s19, s17
	s_lshl_b64 s[14:15], s[14:15], 1
	s_lshl_b64 s[22:23], s[22:23], 1
	;; [unrolled: 1-line block ×6, first 2 shown]
	s_branch .LBB190_3
.LBB190_2:                              ;   in Loop: Header=BB190_3 Depth=1
	s_wait_xcnt 0x0
	s_or_b32 exec_lo, exec_lo, s21
	s_add_co_i32 s16, s16, 0x10000
	s_delay_alu instid0(SALU_CYCLE_1)
	s_cmp_lt_u32 s16, s30
	s_cbranch_scc0 .LBB190_20
.LBB190_3:                              ; =>This Loop Header: Depth=1
                                        ;     Child Loop BB190_5 Depth 2
	v_mov_b32_e32 v13, 0
	s_mov_b32 s21, exec_lo
	v_cmpx_gt_i32_e64 s31, v6
	s_cbranch_execz .LBB190_7
; %bb.4:                                ;   in Loop: Header=BB190_3 Depth=1
	s_lshl_b64 s[34:35], s[16:17], 3
	v_ashrrev_i32_e32 v13, 31, v6
	s_add_nc_u64 s[36:37], s[12:13], s[34:35]
	s_add_nc_u64 s[34:35], s[8:9], s[34:35]
	s_load_b64 s[38:39], s[36:37], 0x0
	s_load_b64 s[40:41], s[34:35], 0x0
	s_wait_kmcnt 0x0
	s_wait_xcnt 0x0
	s_add_nc_u64 s[34:35], s[38:39], s[14:15]
	s_add_nc_u64 s[36:37], s[40:41], s[10:11]
	s_wait_dscnt 0x0
	v_mad_nc_u64_u32 v[0:1], s22, v6, s[34:35]
	v_mad_nc_u64_u32 v[2:3], s26, v6, s[36:37]
	s_mov_b32 s34, 0
	s_mov_b32 s35, 0
	s_delay_alu instid0(VALU_DEP_2) | instskip(NEXT) | instid1(VALU_DEP_2)
	v_mad_u32 v1, s23, v6, v1
	v_mad_u32 v3, s27, v6, v3
	s_delay_alu instid0(VALU_DEP_2) | instskip(NEXT) | instid1(VALU_DEP_2)
	v_mad_u32 v1, s22, v13, v1
	v_mad_u32 v3, s26, v13, v3
	v_mov_b32_e32 v13, 0
.LBB190_5:                              ;   Parent Loop BB190_3 Depth=1
                                        ; =>  This Inner Loop Header: Depth=2
	flat_load_u16 v14, v[2:3]
	flat_load_u16 v15, v[0:1]
	v_add_nc_u32_e32 v6, s20, v6
	s_add_co_i32 s36, s35, 1
	s_cmp_gt_u32 s35, 6
	s_wait_xcnt 0x0
	v_add_nc_u64_e32 v[0:1], s[24:25], v[0:1]
	s_cselect_b32 s35, -1, 0
	v_cmp_le_i32_e32 vcc_lo, s31, v6
	v_add_nc_u64_e32 v[2:3], s[28:29], v[2:3]
	s_or_b32 s35, s35, vcc_lo
	s_delay_alu instid0(SALU_CYCLE_1) | instskip(NEXT) | instid1(SALU_CYCLE_1)
	s_and_b32 s35, exec_lo, s35
	s_or_b32 s34, s35, s34
	s_mov_b32 s35, s36
	s_wait_loadcnt_dscnt 0x0
	v_fmac_f16_e32 v13, v14, v15
	s_and_not1_b32 exec_lo, exec_lo, s34
	s_cbranch_execnz .LBB190_5
; %bb.6:                                ;   in Loop: Header=BB190_3 Depth=1
	s_or_b32 exec_lo, exec_lo, s34
.LBB190_7:                              ;   in Loop: Header=BB190_3 Depth=1
	s_delay_alu instid0(SALU_CYCLE_1)
	s_or_b32 exec_lo, exec_lo, s21
	s_and_saveexec_b32 s21, s0
; %bb.8:                                ;   in Loop: Header=BB190_3 Depth=1
	ds_store_b16 v4, v12
; %bb.9:                                ;   in Loop: Header=BB190_3 Depth=1
	s_or_b32 exec_lo, exec_lo, s21
	s_wait_dscnt 0x0
	v_and_b32_e32 v0, 0xffff, v13
	s_wait_dscnt 0x0
	s_barrier_signal -1
	s_barrier_wait -1
	ds_bpermute_b32 v0, v5, v0
	s_wait_dscnt 0x0
	v_add_f16_e32 v1, v13, v0
	s_delay_alu instid0(VALU_DEP_1) | instskip(NEXT) | instid1(VALU_DEP_1)
	v_and_b32_e32 v2, 0xffff, v1
	v_and_or_b32 v0, 0xffff0000, v0, v2
	ds_bpermute_b32 v0, v7, v0
	s_wait_dscnt 0x0
	v_add_f16_e32 v1, v1, v0
	s_delay_alu instid0(VALU_DEP_1) | instskip(NEXT) | instid1(VALU_DEP_1)
	v_and_b32_e32 v2, 0xffff, v1
	v_and_or_b32 v0, 0xffff0000, v0, v2
	;; [unrolled: 6-line block ×4, first 2 shown]
	ds_bpermute_b32 v1, v10, v1
	s_and_saveexec_b32 s21, s1
	s_cbranch_execz .LBB190_11
; %bb.10:                               ;   in Loop: Header=BB190_3 Depth=1
	s_wait_dscnt 0x0
	v_add_f16_e32 v0, v0, v1
	ds_store_b16 v11, v0
.LBB190_11:                             ;   in Loop: Header=BB190_3 Depth=1
	s_or_b32 exec_lo, exec_lo, s21
	v_mov_b32_e32 v0, 0
	s_wait_dscnt 0x0
	s_barrier_signal -1
	s_barrier_wait -1
	s_and_saveexec_b32 s21, s2
	s_cbranch_execnz .LBB190_14
; %bb.12:                               ;   in Loop: Header=BB190_3 Depth=1
	s_or_b32 exec_lo, exec_lo, s21
	s_and_saveexec_b32 s21, s0
	s_cbranch_execnz .LBB190_15
.LBB190_13:                             ;   in Loop: Header=BB190_3 Depth=1
	s_or_b32 exec_lo, exec_lo, s21
	s_and_saveexec_b32 s21, s3
	s_cbranch_execz .LBB190_2
	s_branch .LBB190_16
.LBB190_14:                             ;   in Loop: Header=BB190_3 Depth=1
	ds_load_u16 v0, v4
	s_or_b32 exec_lo, exec_lo, s21
	s_and_saveexec_b32 s21, s0
	s_cbranch_execz .LBB190_13
.LBB190_15:                             ;   in Loop: Header=BB190_3 Depth=1
	s_wait_dscnt 0x0
	v_and_b32_e32 v1, 0xffff, v0
	ds_bpermute_b32 v1, v7, v1
	s_wait_dscnt 0x0
	v_add_f16_e32 v0, v0, v1
	s_delay_alu instid0(VALU_DEP_1) | instskip(NEXT) | instid1(VALU_DEP_1)
	v_and_b32_e32 v2, 0xffff, v0
	v_and_or_b32 v1, 0xffff0000, v1, v2
	ds_bpermute_b32 v1, v8, v1
	s_wait_dscnt 0x0
	v_add_f16_e32 v0, v0, v1
	s_delay_alu instid0(VALU_DEP_1) | instskip(NEXT) | instid1(VALU_DEP_1)
	v_and_b32_e32 v2, 0xffff, v0
	v_and_or_b32 v1, 0xffff0000, v1, v2
	;; [unrolled: 6-line block ×3, first 2 shown]
	ds_bpermute_b32 v1, v10, v1
	s_wait_dscnt 0x0
	v_add_f16_e32 v0, v0, v1
	s_or_b32 exec_lo, exec_lo, s21
	s_and_saveexec_b32 s21, s3
	s_cbranch_execz .LBB190_2
.LBB190_16:                             ;   in Loop: Header=BB190_3 Depth=1
	s_and_b32 vcc_lo, exec_lo, s33
	s_mov_b32 s34, -1
	s_cbranch_vccz .LBB190_18
; %bb.17:                               ;   in Loop: Header=BB190_3 Depth=1
	s_mul_u64 s[34:35], s[18:19], s[16:17]
	s_delay_alu instid0(SALU_CYCLE_1) | instskip(NEXT) | instid1(SALU_CYCLE_1)
	s_lshl_b64 s[34:35], s[34:35], 1
	s_add_nc_u64 s[36:37], s[4:5], s[34:35]
	s_mov_b32 s34, 0
	s_wait_dscnt 0x0
	global_store_b16 v12, v0, s[36:37]
.LBB190_18:                             ;   in Loop: Header=BB190_3 Depth=1
	s_and_not1_b32 vcc_lo, exec_lo, s34
	s_cbranch_vccnz .LBB190_2
; %bb.19:                               ;   in Loop: Header=BB190_3 Depth=1
	s_lshl_b64 s[34:35], s[16:17], 1
	s_delay_alu instid0(SALU_CYCLE_1)
	s_add_nc_u64 s[34:35], s[6:7], s[34:35]
	s_wait_dscnt 0x0
	global_store_b16 v12, v0, s[34:35]
	s_branch .LBB190_2
.LBB190_20:
	s_endpgm
	.section	.rodata,"a",@progbits
	.p2align	6, 0x0
	.amdhsa_kernel _ZL18rocblas_dot_kernelIiLb0ELi512ELi8ELb1EDF16_PKPKDF16_DF16_EviT5_lT_lS4_lS5_liPT6_PT4_
		.amdhsa_group_segment_fixed_size 64
		.amdhsa_private_segment_fixed_size 0
		.amdhsa_kernarg_size 352
		.amdhsa_user_sgpr_count 2
		.amdhsa_user_sgpr_dispatch_ptr 0
		.amdhsa_user_sgpr_queue_ptr 0
		.amdhsa_user_sgpr_kernarg_segment_ptr 1
		.amdhsa_user_sgpr_dispatch_id 0
		.amdhsa_user_sgpr_kernarg_preload_length 0
		.amdhsa_user_sgpr_kernarg_preload_offset 0
		.amdhsa_user_sgpr_private_segment_size 0
		.amdhsa_wavefront_size32 1
		.amdhsa_uses_dynamic_stack 0
		.amdhsa_enable_private_segment 0
		.amdhsa_system_sgpr_workgroup_id_x 1
		.amdhsa_system_sgpr_workgroup_id_y 0
		.amdhsa_system_sgpr_workgroup_id_z 1
		.amdhsa_system_sgpr_workgroup_info 0
		.amdhsa_system_vgpr_workitem_id 0
		.amdhsa_next_free_vgpr 16
		.amdhsa_next_free_sgpr 42
		.amdhsa_named_barrier_count 0
		.amdhsa_reserve_vcc 1
		.amdhsa_float_round_mode_32 0
		.amdhsa_float_round_mode_16_64 0
		.amdhsa_float_denorm_mode_32 3
		.amdhsa_float_denorm_mode_16_64 3
		.amdhsa_fp16_overflow 0
		.amdhsa_memory_ordered 1
		.amdhsa_forward_progress 1
		.amdhsa_inst_pref_size 10
		.amdhsa_round_robin_scheduling 0
		.amdhsa_exception_fp_ieee_invalid_op 0
		.amdhsa_exception_fp_denorm_src 0
		.amdhsa_exception_fp_ieee_div_zero 0
		.amdhsa_exception_fp_ieee_overflow 0
		.amdhsa_exception_fp_ieee_underflow 0
		.amdhsa_exception_fp_ieee_inexact 0
		.amdhsa_exception_int_div_zero 0
	.end_amdhsa_kernel
	.section	.text._ZL18rocblas_dot_kernelIiLb0ELi512ELi8ELb1EDF16_PKPKDF16_DF16_EviT5_lT_lS4_lS5_liPT6_PT4_,"axG",@progbits,_ZL18rocblas_dot_kernelIiLb0ELi512ELi8ELb1EDF16_PKPKDF16_DF16_EviT5_lT_lS4_lS5_liPT6_PT4_,comdat
.Lfunc_end190:
	.size	_ZL18rocblas_dot_kernelIiLb0ELi512ELi8ELb1EDF16_PKPKDF16_DF16_EviT5_lT_lS4_lS5_liPT6_PT4_, .Lfunc_end190-_ZL18rocblas_dot_kernelIiLb0ELi512ELi8ELb1EDF16_PKPKDF16_DF16_EviT5_lT_lS4_lS5_liPT6_PT4_
                                        ; -- End function
	.set _ZL18rocblas_dot_kernelIiLb0ELi512ELi8ELb1EDF16_PKPKDF16_DF16_EviT5_lT_lS4_lS5_liPT6_PT4_.num_vgpr, 16
	.set _ZL18rocblas_dot_kernelIiLb0ELi512ELi8ELb1EDF16_PKPKDF16_DF16_EviT5_lT_lS4_lS5_liPT6_PT4_.num_agpr, 0
	.set _ZL18rocblas_dot_kernelIiLb0ELi512ELi8ELb1EDF16_PKPKDF16_DF16_EviT5_lT_lS4_lS5_liPT6_PT4_.numbered_sgpr, 42
	.set _ZL18rocblas_dot_kernelIiLb0ELi512ELi8ELb1EDF16_PKPKDF16_DF16_EviT5_lT_lS4_lS5_liPT6_PT4_.num_named_barrier, 0
	.set _ZL18rocblas_dot_kernelIiLb0ELi512ELi8ELb1EDF16_PKPKDF16_DF16_EviT5_lT_lS4_lS5_liPT6_PT4_.private_seg_size, 0
	.set _ZL18rocblas_dot_kernelIiLb0ELi512ELi8ELb1EDF16_PKPKDF16_DF16_EviT5_lT_lS4_lS5_liPT6_PT4_.uses_vcc, 1
	.set _ZL18rocblas_dot_kernelIiLb0ELi512ELi8ELb1EDF16_PKPKDF16_DF16_EviT5_lT_lS4_lS5_liPT6_PT4_.uses_flat_scratch, 0
	.set _ZL18rocblas_dot_kernelIiLb0ELi512ELi8ELb1EDF16_PKPKDF16_DF16_EviT5_lT_lS4_lS5_liPT6_PT4_.has_dyn_sized_stack, 0
	.set _ZL18rocblas_dot_kernelIiLb0ELi512ELi8ELb1EDF16_PKPKDF16_DF16_EviT5_lT_lS4_lS5_liPT6_PT4_.has_recursion, 0
	.set _ZL18rocblas_dot_kernelIiLb0ELi512ELi8ELb1EDF16_PKPKDF16_DF16_EviT5_lT_lS4_lS5_liPT6_PT4_.has_indirect_call, 0
	.section	.AMDGPU.csdata,"",@progbits
; Kernel info:
; codeLenInByte = 1240
; TotalNumSgprs: 44
; NumVgprs: 16
; ScratchSize: 0
; MemoryBound: 0
; FloatMode: 240
; IeeeMode: 1
; LDSByteSize: 64 bytes/workgroup (compile time only)
; SGPRBlocks: 0
; VGPRBlocks: 0
; NumSGPRsForWavesPerEU: 44
; NumVGPRsForWavesPerEU: 16
; NamedBarCnt: 0
; Occupancy: 16
; WaveLimiterHint : 0
; COMPUTE_PGM_RSRC2:SCRATCH_EN: 0
; COMPUTE_PGM_RSRC2:USER_SGPR: 2
; COMPUTE_PGM_RSRC2:TRAP_HANDLER: 0
; COMPUTE_PGM_RSRC2:TGID_X_EN: 1
; COMPUTE_PGM_RSRC2:TGID_Y_EN: 0
; COMPUTE_PGM_RSRC2:TGID_Z_EN: 1
; COMPUTE_PGM_RSRC2:TIDIG_COMP_CNT: 0
	.section	.text._ZL24rocblas_dot_kernel_magsqIiLb0ELi512ELi8ELb1EDF16_PKPKDF16_DF16_EviT5_lT_liPT6_PT4_,"axG",@progbits,_ZL24rocblas_dot_kernel_magsqIiLb0ELi512ELi8ELb1EDF16_PKPKDF16_DF16_EviT5_lT_liPT6_PT4_,comdat
	.globl	_ZL24rocblas_dot_kernel_magsqIiLb0ELi512ELi8ELb1EDF16_PKPKDF16_DF16_EviT5_lT_liPT6_PT4_ ; -- Begin function _ZL24rocblas_dot_kernel_magsqIiLb0ELi512ELi8ELb1EDF16_PKPKDF16_DF16_EviT5_lT_liPT6_PT4_
	.p2align	8
	.type	_ZL24rocblas_dot_kernel_magsqIiLb0ELi512ELi8ELb1EDF16_PKPKDF16_DF16_EviT5_lT_liPT6_PT4_,@function
_ZL24rocblas_dot_kernel_magsqIiLb0ELi512ELi8ELb1EDF16_PKPKDF16_DF16_EviT5_lT_liPT6_PT4_: ; @_ZL24rocblas_dot_kernel_magsqIiLb0ELi512ELi8ELb1EDF16_PKPKDF16_DF16_EviT5_lT_liPT6_PT4_
; %bb.0:
	s_load_b32 s22, s[0:1], 0x28
	s_bfe_u32 s2, ttmp6, 0x40014
	s_lshr_b32 s3, ttmp7, 16
	s_add_co_i32 s2, s2, 1
	s_bfe_u32 s5, ttmp6, 0x40008
	s_mul_i32 s4, s3, s2
	s_getreg_b32 s2, hwreg(HW_REG_IB_STS2, 6, 4)
	s_add_co_i32 s5, s5, s4
	s_cmp_eq_u32 s2, 0
	s_mov_b32 s13, 0
	s_cselect_b32 s12, s3, s5
	s_wait_kmcnt 0x0
	s_cmp_ge_u32 s12, s22
	s_cbranch_scc1 .LBB191_20
; %bb.1:
	v_mbcnt_lo_u32_b32 v7, -1, 0
	s_clause 0x4
	s_load_b32 s18, s[0:1], 0x18
	s_load_b32 s14, s[0:1], 0x40
	s_load_b128 s[4:7], s[0:1], 0x30
	s_load_b128 s[8:11], s[0:1], 0x8
	s_load_b32 s23, s[0:1], 0x0
	s_wait_xcnt 0x0
	s_bfe_u32 s0, ttmp6, 0x4000c
	s_and_b32 s1, ttmp6, 15
	s_add_co_i32 s3, s0, 1
	v_cmp_gt_u32_e32 vcc_lo, 24, v7
	s_mul_i32 s3, ttmp9, s3
	v_dual_lshrrev_b32 v10, 4, v0 :: v_dual_bitop2_b32 v1, 31, v0 bitop3:0x40
	s_add_co_i32 s1, s1, s3
	v_cndmask_b32_e64 v5, 0, 8, vcc_lo
	v_cmp_gt_u32_e32 vcc_lo, 28, v7
	s_mov_b32 s21, s13
	v_cmp_gt_u32_e64 s0, 32, v0
	v_lshlrev_b32_e32 v2, 1, v1
	v_lshl_or_b32 v3, v7, 2, 64
	v_cndmask_b32_e64 v6, 0, 4, vcc_lo
	v_cmp_gt_u32_e32 vcc_lo, 30, v7
	s_wait_kmcnt 0x0
	s_ashr_i32 s19, s18, 31
	s_cmp_eq_u32 s2, 0
	v_add_lshl_u32 v5, v5, v7, 2
	s_cselect_b32 s20, ttmp9, s1
	v_cndmask_b32_e64 v8, 0, 2, vcc_lo
	v_cmp_ne_u32_e32 vcc_lo, 31, v7
	s_cmp_lg_u32 s14, 1
	v_lshl_or_b32 v4, s20, 9, v0
	s_cselect_b32 s24, -1, 0
	s_lshl_b32 s16, s14, 9
	v_add_co_ci_u32_e64 v9, null, 0, v7, vcc_lo
	s_lshl_b64 s[20:21], s[20:21], 1
	s_ashr_i32 s17, s16, 31
	v_add_lshl_u32 v6, v6, v7, 2
	v_add_lshl_u32 v7, v8, v7, 2
	v_lshlrev_b32_e32 v8, 2, v9
	v_cmp_eq_u32_e64 s1, 0, v1
	v_and_b32_e32 v9, 30, v10
	v_cmp_gt_u32_e64 s2, 16, v0
	v_cmp_eq_u32_e64 s3, 0, v0
	v_mov_b32_e32 v10, 0
	s_add_nc_u64 s[4:5], s[4:5], s[20:21]
	s_mul_u64 s[20:21], s[18:19], s[16:17]
	s_mov_b32 s15, s13
	s_lshl_b64 s[10:11], s[10:11], 1
	s_lshl_b64 s[18:19], s[18:19], 1
	;; [unrolled: 1-line block ×3, first 2 shown]
	s_branch .LBB191_3
.LBB191_2:                              ;   in Loop: Header=BB191_3 Depth=1
	s_wait_xcnt 0x0
	s_or_b32 exec_lo, exec_lo, s17
	s_add_co_i32 s12, s12, 0x10000
	s_delay_alu instid0(SALU_CYCLE_1)
	s_cmp_lt_u32 s12, s22
	s_cbranch_scc0 .LBB191_20
.LBB191_3:                              ; =>This Loop Header: Depth=1
                                        ;     Child Loop BB191_5 Depth 2
	v_mov_b32_e32 v11, 0
	s_mov_b32 s17, exec_lo
	v_cmpx_gt_i32_e64 s23, v4
	s_cbranch_execz .LBB191_7
; %bb.4:                                ;   in Loop: Header=BB191_3 Depth=1
	s_lshl_b64 s[26:27], s[12:13], 3
	v_ashrrev_i32_e32 v11, 31, v4
	s_add_nc_u64 s[26:27], s[8:9], s[26:27]
	s_mov_b32 s25, 0
	s_load_b64 s[26:27], s[26:27], 0x0
	s_wait_kmcnt 0x0
	s_wait_xcnt 0x0
	s_add_nc_u64 s[26:27], s[26:27], s[10:11]
	s_wait_dscnt 0x0
	v_mad_nc_u64_u32 v[0:1], s18, v4, s[26:27]
	s_mov_b32 s26, 0
	s_delay_alu instid0(VALU_DEP_1) | instskip(NEXT) | instid1(VALU_DEP_1)
	v_mad_u32 v1, s19, v4, v1
	v_mad_u32 v1, s18, v11, v1
	v_mov_b32_e32 v11, 0
.LBB191_5:                              ;   Parent Loop BB191_3 Depth=1
                                        ; =>  This Inner Loop Header: Depth=2
	flat_load_u16 v12, v[0:1]
	v_add_nc_u32_e32 v4, s16, v4
	s_add_co_i32 s27, s26, 1
	s_cmp_gt_u32 s26, 6
	s_wait_xcnt 0x0
	v_add_nc_u64_e32 v[0:1], s[20:21], v[0:1]
	s_cselect_b32 s26, -1, 0
	v_cmp_le_i32_e32 vcc_lo, s23, v4
	s_or_b32 s26, s26, vcc_lo
	s_delay_alu instid0(SALU_CYCLE_1) | instskip(NEXT) | instid1(SALU_CYCLE_1)
	s_and_b32 s26, exec_lo, s26
	s_or_b32 s25, s26, s25
	s_mov_b32 s26, s27
	s_wait_loadcnt_dscnt 0x0
	v_fmac_f16_e32 v11, v12, v12
	s_and_not1_b32 exec_lo, exec_lo, s25
	s_cbranch_execnz .LBB191_5
; %bb.6:                                ;   in Loop: Header=BB191_3 Depth=1
	s_or_b32 exec_lo, exec_lo, s25
.LBB191_7:                              ;   in Loop: Header=BB191_3 Depth=1
	s_delay_alu instid0(SALU_CYCLE_1)
	s_or_b32 exec_lo, exec_lo, s17
	s_and_saveexec_b32 s17, s0
; %bb.8:                                ;   in Loop: Header=BB191_3 Depth=1
	ds_store_b16 v2, v10
; %bb.9:                                ;   in Loop: Header=BB191_3 Depth=1
	s_or_b32 exec_lo, exec_lo, s17
	s_wait_dscnt 0x0
	v_and_b32_e32 v0, 0xffff, v11
	s_wait_dscnt 0x0
	s_barrier_signal -1
	s_barrier_wait -1
	ds_bpermute_b32 v0, v3, v0
	s_wait_dscnt 0x0
	v_add_f16_e32 v1, v11, v0
	s_delay_alu instid0(VALU_DEP_1) | instskip(NEXT) | instid1(VALU_DEP_1)
	v_and_b32_e32 v11, 0xffff, v1
	v_and_or_b32 v0, 0xffff0000, v0, v11
	ds_bpermute_b32 v0, v5, v0
	s_wait_dscnt 0x0
	v_add_f16_e32 v1, v1, v0
	s_delay_alu instid0(VALU_DEP_1) | instskip(NEXT) | instid1(VALU_DEP_1)
	v_and_b32_e32 v11, 0xffff, v1
	v_and_or_b32 v0, 0xffff0000, v0, v11
	;; [unrolled: 6-line block ×4, first 2 shown]
	ds_bpermute_b32 v1, v8, v1
	s_and_saveexec_b32 s17, s1
	s_cbranch_execz .LBB191_11
; %bb.10:                               ;   in Loop: Header=BB191_3 Depth=1
	s_wait_dscnt 0x0
	v_add_f16_e32 v0, v0, v1
	ds_store_b16 v9, v0
.LBB191_11:                             ;   in Loop: Header=BB191_3 Depth=1
	s_or_b32 exec_lo, exec_lo, s17
	v_mov_b32_e32 v0, 0
	s_wait_dscnt 0x0
	s_barrier_signal -1
	s_barrier_wait -1
	s_and_saveexec_b32 s17, s2
	s_cbranch_execnz .LBB191_14
; %bb.12:                               ;   in Loop: Header=BB191_3 Depth=1
	s_or_b32 exec_lo, exec_lo, s17
	s_and_saveexec_b32 s17, s0
	s_cbranch_execnz .LBB191_15
.LBB191_13:                             ;   in Loop: Header=BB191_3 Depth=1
	s_or_b32 exec_lo, exec_lo, s17
	s_and_saveexec_b32 s17, s3
	s_cbranch_execz .LBB191_2
	s_branch .LBB191_16
.LBB191_14:                             ;   in Loop: Header=BB191_3 Depth=1
	ds_load_u16 v0, v2
	s_or_b32 exec_lo, exec_lo, s17
	s_and_saveexec_b32 s17, s0
	s_cbranch_execz .LBB191_13
.LBB191_15:                             ;   in Loop: Header=BB191_3 Depth=1
	s_wait_dscnt 0x0
	v_and_b32_e32 v1, 0xffff, v0
	ds_bpermute_b32 v1, v5, v1
	s_wait_dscnt 0x0
	v_add_f16_e32 v0, v0, v1
	s_delay_alu instid0(VALU_DEP_1) | instskip(NEXT) | instid1(VALU_DEP_1)
	v_and_b32_e32 v11, 0xffff, v0
	v_and_or_b32 v1, 0xffff0000, v1, v11
	ds_bpermute_b32 v1, v6, v1
	s_wait_dscnt 0x0
	v_add_f16_e32 v0, v0, v1
	s_delay_alu instid0(VALU_DEP_1) | instskip(NEXT) | instid1(VALU_DEP_1)
	v_and_b32_e32 v11, 0xffff, v0
	v_and_or_b32 v1, 0xffff0000, v1, v11
	;; [unrolled: 6-line block ×3, first 2 shown]
	ds_bpermute_b32 v1, v8, v1
	s_wait_dscnt 0x0
	v_add_f16_e32 v0, v0, v1
	s_or_b32 exec_lo, exec_lo, s17
	s_and_saveexec_b32 s17, s3
	s_cbranch_execz .LBB191_2
.LBB191_16:                             ;   in Loop: Header=BB191_3 Depth=1
	s_and_b32 vcc_lo, exec_lo, s24
	s_mov_b32 s25, -1
	s_cbranch_vccz .LBB191_18
; %bb.17:                               ;   in Loop: Header=BB191_3 Depth=1
	s_mul_u64 s[26:27], s[14:15], s[12:13]
	s_mov_b32 s25, 0
	s_lshl_b64 s[26:27], s[26:27], 1
	s_delay_alu instid0(SALU_CYCLE_1)
	s_add_nc_u64 s[26:27], s[4:5], s[26:27]
	s_wait_dscnt 0x0
	global_store_b16 v10, v0, s[26:27]
.LBB191_18:                             ;   in Loop: Header=BB191_3 Depth=1
	s_and_not1_b32 vcc_lo, exec_lo, s25
	s_cbranch_vccnz .LBB191_2
; %bb.19:                               ;   in Loop: Header=BB191_3 Depth=1
	s_wait_xcnt 0x0
	s_lshl_b64 s[26:27], s[12:13], 1
	s_delay_alu instid0(SALU_CYCLE_1)
	s_add_nc_u64 s[26:27], s[6:7], s[26:27]
	s_wait_dscnt 0x0
	global_store_b16 v10, v0, s[26:27]
	s_branch .LBB191_2
.LBB191_20:
	s_endpgm
	.section	.rodata,"a",@progbits
	.p2align	6, 0x0
	.amdhsa_kernel _ZL24rocblas_dot_kernel_magsqIiLb0ELi512ELi8ELb1EDF16_PKPKDF16_DF16_EviT5_lT_liPT6_PT4_
		.amdhsa_group_segment_fixed_size 64
		.amdhsa_private_segment_fixed_size 0
		.amdhsa_kernarg_size 320
		.amdhsa_user_sgpr_count 2
		.amdhsa_user_sgpr_dispatch_ptr 0
		.amdhsa_user_sgpr_queue_ptr 0
		.amdhsa_user_sgpr_kernarg_segment_ptr 1
		.amdhsa_user_sgpr_dispatch_id 0
		.amdhsa_user_sgpr_kernarg_preload_length 0
		.amdhsa_user_sgpr_kernarg_preload_offset 0
		.amdhsa_user_sgpr_private_segment_size 0
		.amdhsa_wavefront_size32 1
		.amdhsa_uses_dynamic_stack 0
		.amdhsa_enable_private_segment 0
		.amdhsa_system_sgpr_workgroup_id_x 1
		.amdhsa_system_sgpr_workgroup_id_y 0
		.amdhsa_system_sgpr_workgroup_id_z 1
		.amdhsa_system_sgpr_workgroup_info 0
		.amdhsa_system_vgpr_workitem_id 0
		.amdhsa_next_free_vgpr 13
		.amdhsa_next_free_sgpr 28
		.amdhsa_named_barrier_count 0
		.amdhsa_reserve_vcc 1
		.amdhsa_float_round_mode_32 0
		.amdhsa_float_round_mode_16_64 0
		.amdhsa_float_denorm_mode_32 3
		.amdhsa_float_denorm_mode_16_64 3
		.amdhsa_fp16_overflow 0
		.amdhsa_memory_ordered 1
		.amdhsa_forward_progress 1
		.amdhsa_inst_pref_size 9
		.amdhsa_round_robin_scheduling 0
		.amdhsa_exception_fp_ieee_invalid_op 0
		.amdhsa_exception_fp_denorm_src 0
		.amdhsa_exception_fp_ieee_div_zero 0
		.amdhsa_exception_fp_ieee_overflow 0
		.amdhsa_exception_fp_ieee_underflow 0
		.amdhsa_exception_fp_ieee_inexact 0
		.amdhsa_exception_int_div_zero 0
	.end_amdhsa_kernel
	.section	.text._ZL24rocblas_dot_kernel_magsqIiLb0ELi512ELi8ELb1EDF16_PKPKDF16_DF16_EviT5_lT_liPT6_PT4_,"axG",@progbits,_ZL24rocblas_dot_kernel_magsqIiLb0ELi512ELi8ELb1EDF16_PKPKDF16_DF16_EviT5_lT_liPT6_PT4_,comdat
.Lfunc_end191:
	.size	_ZL24rocblas_dot_kernel_magsqIiLb0ELi512ELi8ELb1EDF16_PKPKDF16_DF16_EviT5_lT_liPT6_PT4_, .Lfunc_end191-_ZL24rocblas_dot_kernel_magsqIiLb0ELi512ELi8ELb1EDF16_PKPKDF16_DF16_EviT5_lT_liPT6_PT4_
                                        ; -- End function
	.set _ZL24rocblas_dot_kernel_magsqIiLb0ELi512ELi8ELb1EDF16_PKPKDF16_DF16_EviT5_lT_liPT6_PT4_.num_vgpr, 13
	.set _ZL24rocblas_dot_kernel_magsqIiLb0ELi512ELi8ELb1EDF16_PKPKDF16_DF16_EviT5_lT_liPT6_PT4_.num_agpr, 0
	.set _ZL24rocblas_dot_kernel_magsqIiLb0ELi512ELi8ELb1EDF16_PKPKDF16_DF16_EviT5_lT_liPT6_PT4_.numbered_sgpr, 28
	.set _ZL24rocblas_dot_kernel_magsqIiLb0ELi512ELi8ELb1EDF16_PKPKDF16_DF16_EviT5_lT_liPT6_PT4_.num_named_barrier, 0
	.set _ZL24rocblas_dot_kernel_magsqIiLb0ELi512ELi8ELb1EDF16_PKPKDF16_DF16_EviT5_lT_liPT6_PT4_.private_seg_size, 0
	.set _ZL24rocblas_dot_kernel_magsqIiLb0ELi512ELi8ELb1EDF16_PKPKDF16_DF16_EviT5_lT_liPT6_PT4_.uses_vcc, 1
	.set _ZL24rocblas_dot_kernel_magsqIiLb0ELi512ELi8ELb1EDF16_PKPKDF16_DF16_EviT5_lT_liPT6_PT4_.uses_flat_scratch, 0
	.set _ZL24rocblas_dot_kernel_magsqIiLb0ELi512ELi8ELb1EDF16_PKPKDF16_DF16_EviT5_lT_liPT6_PT4_.has_dyn_sized_stack, 0
	.set _ZL24rocblas_dot_kernel_magsqIiLb0ELi512ELi8ELb1EDF16_PKPKDF16_DF16_EviT5_lT_liPT6_PT4_.has_recursion, 0
	.set _ZL24rocblas_dot_kernel_magsqIiLb0ELi512ELi8ELb1EDF16_PKPKDF16_DF16_EviT5_lT_liPT6_PT4_.has_indirect_call, 0
	.section	.AMDGPU.csdata,"",@progbits
; Kernel info:
; codeLenInByte = 1140
; TotalNumSgprs: 30
; NumVgprs: 13
; ScratchSize: 0
; MemoryBound: 0
; FloatMode: 240
; IeeeMode: 1
; LDSByteSize: 64 bytes/workgroup (compile time only)
; SGPRBlocks: 0
; VGPRBlocks: 0
; NumSGPRsForWavesPerEU: 30
; NumVGPRsForWavesPerEU: 13
; NamedBarCnt: 0
; Occupancy: 16
; WaveLimiterHint : 0
; COMPUTE_PGM_RSRC2:SCRATCH_EN: 0
; COMPUTE_PGM_RSRC2:USER_SGPR: 2
; COMPUTE_PGM_RSRC2:TRAP_HANDLER: 0
; COMPUTE_PGM_RSRC2:TGID_X_EN: 1
; COMPUTE_PGM_RSRC2:TGID_Y_EN: 0
; COMPUTE_PGM_RSRC2:TGID_Z_EN: 1
; COMPUTE_PGM_RSRC2:TIDIG_COMP_CNT: 0
	.section	.text._ZL28rocblas_dot_batched_4_kernelIiLi32ELi4ELb1Ef16rocblas_bfloat16PKS0_EviT5_lT_lS3_lS4_liPT4_,"axG",@progbits,_ZL28rocblas_dot_batched_4_kernelIiLi32ELi4ELb1Ef16rocblas_bfloat16PKS0_EviT5_lT_lS3_lS4_liPT4_,comdat
	.globl	_ZL28rocblas_dot_batched_4_kernelIiLi32ELi4ELb1Ef16rocblas_bfloat16PKS0_EviT5_lT_lS3_lS4_liPT4_ ; -- Begin function _ZL28rocblas_dot_batched_4_kernelIiLi32ELi4ELb1Ef16rocblas_bfloat16PKS0_EviT5_lT_lS3_lS4_liPT4_
	.p2align	8
	.type	_ZL28rocblas_dot_batched_4_kernelIiLi32ELi4ELb1Ef16rocblas_bfloat16PKS0_EviT5_lT_lS3_lS4_liPT4_,@function
_ZL28rocblas_dot_batched_4_kernelIiLi32ELi4ELb1Ef16rocblas_bfloat16PKS0_EviT5_lT_lS3_lS4_liPT4_: ; @_ZL28rocblas_dot_batched_4_kernelIiLi32ELi4ELb1Ef16rocblas_bfloat16PKS0_EviT5_lT_lS3_lS4_liPT4_
; %bb.0:
	s_load_b32 s2, s[0:1], 0x48
	s_bfe_u32 s3, ttmp6, 0x4000c
	s_and_b32 s4, ttmp6, 15
	s_add_co_i32 s3, s3, 1
	v_bfe_u32 v1, v0, 10, 10
	s_mul_i32 s3, ttmp9, s3
	s_delay_alu instid0(SALU_CYCLE_1) | instskip(SKIP_1) | instid1(SALU_CYCLE_1)
	s_add_co_i32 s4, s4, s3
	s_getreg_b32 s3, hwreg(HW_REG_IB_STS2, 6, 4)
	s_cmp_eq_u32 s3, 0
	s_cselect_b32 s3, ttmp9, s4
	s_delay_alu instid0(SALU_CYCLE_1) | instskip(SKIP_1) | instid1(VALU_DEP_1)
	v_lshl_add_u32 v2, s3, 2, v1
	s_wait_kmcnt 0x0
	v_cmp_gt_u32_e32 vcc_lo, s2, v2
	s_and_saveexec_b32 s2, vcc_lo
	s_cbranch_execz .LBB192_11
; %bb.1:
	s_load_b32 s6, s[0:1], 0x0
	v_mov_b32_e32 v3, 0
	v_and_b32_e32 v0, 0x3ff, v0
	s_mov_b32 s7, exec_lo
	s_delay_alu instid0(VALU_DEP_2) | instskip(SKIP_1) | instid1(VALU_DEP_2)
	v_mov_b32_e32 v1, v3
	s_wait_kmcnt 0x0
	v_cmpx_gt_i32_e64 s6, v0
	s_cbranch_execz .LBB192_5
; %bb.2:
	s_clause 0x3
	s_load_b128 s[8:11], s[0:1], 0x20
	s_load_b64 s[2:3], s[0:1], 0x40
	s_load_b32 s4, s[0:1], 0x18
	s_load_b96 s[16:18], s[0:1], 0x30
	v_mov_b32_e32 v1, 0
	s_load_b128 s[12:15], s[0:1], 0x8
	s_wait_kmcnt 0x0
	v_mul_u64_e32 v[4:5], s[8:9], v[2:3]
	v_mul_u64_e32 v[6:7], s[2:3], v[2:3]
	s_ashr_i32 s5, s4, 31
	s_ashr_i32 s9, s18, 31
	v_mul_u64_e32 v[8:9], s[4:5], v[0:1]
	s_mov_b32 s8, s18
	s_lshl_b64 s[2:3], s[14:15], 1
	s_lshl_b64 s[14:15], s[16:17], 1
	s_add_nc_u64 s[2:3], s[12:13], s[2:3]
	s_add_nc_u64 s[10:11], s[10:11], s[14:15]
	s_delay_alu instid0(VALU_DEP_3) | instskip(NEXT) | instid1(VALU_DEP_3)
	v_lshlrev_b64_e32 v[4:5], 1, v[4:5]
	v_lshlrev_b64_e32 v[6:7], 1, v[6:7]
	s_delay_alu instid0(VALU_DEP_2) | instskip(SKIP_2) | instid1(VALU_DEP_3)
	v_lshl_add_u64 v[4:5], v[8:9], 1, v[4:5]
	v_mov_b32_e32 v8, v0
	v_mul_u64_e32 v[10:11], s[8:9], v[0:1]
	v_add_nc_u64_e32 v[4:5], s[2:3], v[4:5]
	s_lshl_b64 s[2:3], s[4:5], 6
	s_lshl_b64 s[4:5], s[8:9], 6
	s_mov_b32 s8, 0
	s_delay_alu instid0(VALU_DEP_2) | instskip(NEXT) | instid1(VALU_DEP_1)
	v_lshl_add_u64 v[6:7], v[10:11], 1, v[6:7]
	v_add_nc_u64_e32 v[6:7], s[10:11], v[6:7]
.LBB192_3:                              ; =>This Inner Loop Header: Depth=1
	global_load_u16 v9, v[4:5], off
	global_load_u16 v10, v[6:7], off
	v_add_nc_u32_e32 v8, 32, v8
	s_wait_xcnt 0x1
	v_add_nc_u64_e32 v[4:5], s[2:3], v[4:5]
	s_wait_xcnt 0x0
	v_add_nc_u64_e32 v[6:7], s[4:5], v[6:7]
	v_cmp_le_i32_e32 vcc_lo, s6, v8
	s_or_b32 s8, vcc_lo, s8
	s_wait_loadcnt 0x0
	v_fma_mix_f32_bf16 v1, v10, v9, v1 op_sel_hi:[1,1,0]
	s_and_not1_b32 exec_lo, exec_lo, s8
	s_cbranch_execnz .LBB192_3
; %bb.4:
	s_or_b32 exec_lo, exec_lo, s8
.LBB192_5:
	s_delay_alu instid0(SALU_CYCLE_1) | instskip(SKIP_4) | instid1(VALU_DEP_1)
	s_or_b32 exec_lo, exec_lo, s7
	v_mbcnt_lo_u32_b32 v4, -1, 0
	s_load_b64 s[0:1], s[0:1], 0x50
	s_barrier_signal -1
	s_barrier_wait -1
	v_lshl_or_b32 v5, v4, 2, 64
	v_cmp_gt_u32_e32 vcc_lo, 24, v4
	ds_bpermute_b32 v5, v5, v1
	v_cndmask_b32_e64 v6, 0, 8, vcc_lo
	v_cmp_gt_u32_e32 vcc_lo, 28, v4
	s_delay_alu instid0(VALU_DEP_2)
	v_add_lshl_u32 v6, v6, v4, 2
	s_wait_dscnt 0x0
	v_add_f32_e32 v1, v1, v5
	ds_bpermute_b32 v5, v6, v1
	v_cndmask_b32_e64 v6, 0, 4, vcc_lo
	v_cmp_gt_u32_e32 vcc_lo, 30, v4
	s_delay_alu instid0(VALU_DEP_2)
	v_add_lshl_u32 v6, v6, v4, 2
	s_wait_dscnt 0x0
	v_add_f32_e32 v1, v1, v5
	ds_bpermute_b32 v5, v6, v1
	v_cndmask_b32_e64 v6, 0, 2, vcc_lo
	v_cmp_ne_u32_e32 vcc_lo, 31, v4
	s_delay_alu instid0(VALU_DEP_2) | instskip(SKIP_3) | instid1(VALU_DEP_2)
	v_add_lshl_u32 v6, v6, v4, 2
	v_add_co_ci_u32_e64 v4, null, 0, v4, vcc_lo
	v_cmp_eq_u32_e32 vcc_lo, 0, v0
	s_wait_dscnt 0x0
	v_dual_add_f32 v1, v1, v5 :: v_dual_lshlrev_b32 v4, 2, v4
	ds_bpermute_b32 v5, v6, v1
	s_wait_dscnt 0x0
	v_add_f32_e32 v1, v1, v5
	ds_bpermute_b32 v4, v4, v1
	s_and_b32 exec_lo, exec_lo, vcc_lo
	s_cbranch_execz .LBB192_11
; %bb.6:
	s_wait_dscnt 0x0
	v_add_f32_e32 v0, v1, v4
	s_delay_alu instid0(VALU_DEP_1) | instskip(NEXT) | instid1(VALU_DEP_1)
	v_and_b32_e32 v1, 0x7f800000, v0
	v_cmp_ne_u32_e32 vcc_lo, 0x7f800000, v1
                                        ; implicit-def: $vgpr1
	s_and_saveexec_b32 s2, vcc_lo
	s_delay_alu instid0(SALU_CYCLE_1)
	s_xor_b32 s2, exec_lo, s2
; %bb.7:
	v_bfe_u32 v1, v0, 16, 1
	s_delay_alu instid0(VALU_DEP_1)
	v_add3_u32 v1, v0, v1, 0x7fff
                                        ; implicit-def: $vgpr0
; %bb.8:
	s_and_not1_saveexec_b32 s2, s2
; %bb.9:
	v_and_b32_e32 v1, 0xffff, v0
	v_or_b32_e32 v4, 0x10000, v0
	s_delay_alu instid0(VALU_DEP_2) | instskip(NEXT) | instid1(VALU_DEP_2)
	v_cmp_eq_u32_e32 vcc_lo, 0, v1
	v_cndmask_b32_e32 v1, v4, v0, vcc_lo
; %bb.10:
	s_or_b32 exec_lo, exec_lo, s2
	s_wait_kmcnt 0x0
	v_lshl_add_u64 v[2:3], v[2:3], 1, s[0:1]
	global_store_d16_hi_b16 v[2:3], v1, off
.LBB192_11:
	s_endpgm
	.section	.rodata,"a",@progbits
	.p2align	6, 0x0
	.amdhsa_kernel _ZL28rocblas_dot_batched_4_kernelIiLi32ELi4ELb1Ef16rocblas_bfloat16PKS0_EviT5_lT_lS3_lS4_liPT4_
		.amdhsa_group_segment_fixed_size 0
		.amdhsa_private_segment_fixed_size 0
		.amdhsa_kernarg_size 88
		.amdhsa_user_sgpr_count 2
		.amdhsa_user_sgpr_dispatch_ptr 0
		.amdhsa_user_sgpr_queue_ptr 0
		.amdhsa_user_sgpr_kernarg_segment_ptr 1
		.amdhsa_user_sgpr_dispatch_id 0
		.amdhsa_user_sgpr_kernarg_preload_length 0
		.amdhsa_user_sgpr_kernarg_preload_offset 0
		.amdhsa_user_sgpr_private_segment_size 0
		.amdhsa_wavefront_size32 1
		.amdhsa_uses_dynamic_stack 0
		.amdhsa_enable_private_segment 0
		.amdhsa_system_sgpr_workgroup_id_x 1
		.amdhsa_system_sgpr_workgroup_id_y 0
		.amdhsa_system_sgpr_workgroup_id_z 0
		.amdhsa_system_sgpr_workgroup_info 0
		.amdhsa_system_vgpr_workitem_id 1
		.amdhsa_next_free_vgpr 12
		.amdhsa_next_free_sgpr 19
		.amdhsa_named_barrier_count 0
		.amdhsa_reserve_vcc 1
		.amdhsa_float_round_mode_32 0
		.amdhsa_float_round_mode_16_64 0
		.amdhsa_float_denorm_mode_32 3
		.amdhsa_float_denorm_mode_16_64 3
		.amdhsa_fp16_overflow 0
		.amdhsa_memory_ordered 1
		.amdhsa_forward_progress 1
		.amdhsa_inst_pref_size 6
		.amdhsa_round_robin_scheduling 0
		.amdhsa_exception_fp_ieee_invalid_op 0
		.amdhsa_exception_fp_denorm_src 0
		.amdhsa_exception_fp_ieee_div_zero 0
		.amdhsa_exception_fp_ieee_overflow 0
		.amdhsa_exception_fp_ieee_underflow 0
		.amdhsa_exception_fp_ieee_inexact 0
		.amdhsa_exception_int_div_zero 0
	.end_amdhsa_kernel
	.section	.text._ZL28rocblas_dot_batched_4_kernelIiLi32ELi4ELb1Ef16rocblas_bfloat16PKS0_EviT5_lT_lS3_lS4_liPT4_,"axG",@progbits,_ZL28rocblas_dot_batched_4_kernelIiLi32ELi4ELb1Ef16rocblas_bfloat16PKS0_EviT5_lT_lS3_lS4_liPT4_,comdat
.Lfunc_end192:
	.size	_ZL28rocblas_dot_batched_4_kernelIiLi32ELi4ELb1Ef16rocblas_bfloat16PKS0_EviT5_lT_lS3_lS4_liPT4_, .Lfunc_end192-_ZL28rocblas_dot_batched_4_kernelIiLi32ELi4ELb1Ef16rocblas_bfloat16PKS0_EviT5_lT_lS3_lS4_liPT4_
                                        ; -- End function
	.set _ZL28rocblas_dot_batched_4_kernelIiLi32ELi4ELb1Ef16rocblas_bfloat16PKS0_EviT5_lT_lS3_lS4_liPT4_.num_vgpr, 12
	.set _ZL28rocblas_dot_batched_4_kernelIiLi32ELi4ELb1Ef16rocblas_bfloat16PKS0_EviT5_lT_lS3_lS4_liPT4_.num_agpr, 0
	.set _ZL28rocblas_dot_batched_4_kernelIiLi32ELi4ELb1Ef16rocblas_bfloat16PKS0_EviT5_lT_lS3_lS4_liPT4_.numbered_sgpr, 19
	.set _ZL28rocblas_dot_batched_4_kernelIiLi32ELi4ELb1Ef16rocblas_bfloat16PKS0_EviT5_lT_lS3_lS4_liPT4_.num_named_barrier, 0
	.set _ZL28rocblas_dot_batched_4_kernelIiLi32ELi4ELb1Ef16rocblas_bfloat16PKS0_EviT5_lT_lS3_lS4_liPT4_.private_seg_size, 0
	.set _ZL28rocblas_dot_batched_4_kernelIiLi32ELi4ELb1Ef16rocblas_bfloat16PKS0_EviT5_lT_lS3_lS4_liPT4_.uses_vcc, 1
	.set _ZL28rocblas_dot_batched_4_kernelIiLi32ELi4ELb1Ef16rocblas_bfloat16PKS0_EviT5_lT_lS3_lS4_liPT4_.uses_flat_scratch, 0
	.set _ZL28rocblas_dot_batched_4_kernelIiLi32ELi4ELb1Ef16rocblas_bfloat16PKS0_EviT5_lT_lS3_lS4_liPT4_.has_dyn_sized_stack, 0
	.set _ZL28rocblas_dot_batched_4_kernelIiLi32ELi4ELb1Ef16rocblas_bfloat16PKS0_EviT5_lT_lS3_lS4_liPT4_.has_recursion, 0
	.set _ZL28rocblas_dot_batched_4_kernelIiLi32ELi4ELb1Ef16rocblas_bfloat16PKS0_EviT5_lT_lS3_lS4_liPT4_.has_indirect_call, 0
	.section	.AMDGPU.csdata,"",@progbits
; Kernel info:
; codeLenInByte = 704
; TotalNumSgprs: 21
; NumVgprs: 12
; ScratchSize: 0
; MemoryBound: 0
; FloatMode: 240
; IeeeMode: 1
; LDSByteSize: 0 bytes/workgroup (compile time only)
; SGPRBlocks: 0
; VGPRBlocks: 0
; NumSGPRsForWavesPerEU: 21
; NumVGPRsForWavesPerEU: 12
; NamedBarCnt: 0
; Occupancy: 16
; WaveLimiterHint : 0
; COMPUTE_PGM_RSRC2:SCRATCH_EN: 0
; COMPUTE_PGM_RSRC2:USER_SGPR: 2
; COMPUTE_PGM_RSRC2:TRAP_HANDLER: 0
; COMPUTE_PGM_RSRC2:TGID_X_EN: 1
; COMPUTE_PGM_RSRC2:TGID_Y_EN: 0
; COMPUTE_PGM_RSRC2:TGID_Z_EN: 0
; COMPUTE_PGM_RSRC2:TIDIG_COMP_CNT: 1
	.section	.text._ZL28rocblas_dot_batched_4_kernelIiLi64ELi4ELb1Ef16rocblas_bfloat16PKS0_EviT5_lT_lS3_lS4_liPT4_,"axG",@progbits,_ZL28rocblas_dot_batched_4_kernelIiLi64ELi4ELb1Ef16rocblas_bfloat16PKS0_EviT5_lT_lS3_lS4_liPT4_,comdat
	.globl	_ZL28rocblas_dot_batched_4_kernelIiLi64ELi4ELb1Ef16rocblas_bfloat16PKS0_EviT5_lT_lS3_lS4_liPT4_ ; -- Begin function _ZL28rocblas_dot_batched_4_kernelIiLi64ELi4ELb1Ef16rocblas_bfloat16PKS0_EviT5_lT_lS3_lS4_liPT4_
	.p2align	8
	.type	_ZL28rocblas_dot_batched_4_kernelIiLi64ELi4ELb1Ef16rocblas_bfloat16PKS0_EviT5_lT_lS3_lS4_liPT4_,@function
_ZL28rocblas_dot_batched_4_kernelIiLi64ELi4ELb1Ef16rocblas_bfloat16PKS0_EviT5_lT_lS3_lS4_liPT4_: ; @_ZL28rocblas_dot_batched_4_kernelIiLi64ELi4ELb1Ef16rocblas_bfloat16PKS0_EviT5_lT_lS3_lS4_liPT4_
; %bb.0:
	s_load_b32 s2, s[0:1], 0x48
	s_bfe_u32 s3, ttmp6, 0x4000c
	s_and_b32 s4, ttmp6, 15
	s_add_co_i32 s3, s3, 1
	v_bfe_u32 v1, v0, 10, 10
	s_mul_i32 s3, ttmp9, s3
	s_delay_alu instid0(SALU_CYCLE_1) | instskip(SKIP_1) | instid1(SALU_CYCLE_1)
	s_add_co_i32 s4, s4, s3
	s_getreg_b32 s3, hwreg(HW_REG_IB_STS2, 6, 4)
	s_cmp_eq_u32 s3, 0
	s_cselect_b32 s3, ttmp9, s4
	s_delay_alu instid0(SALU_CYCLE_1) | instskip(SKIP_1) | instid1(VALU_DEP_1)
	v_lshl_add_u32 v2, s3, 2, v1
	s_wait_kmcnt 0x0
	v_cmp_gt_u32_e32 vcc_lo, s2, v2
	s_and_saveexec_b32 s2, vcc_lo
	s_cbranch_execz .LBB193_11
; %bb.1:
	s_load_b32 s6, s[0:1], 0x0
	v_mov_b32_e32 v3, 0
	v_and_b32_e32 v0, 0x3ff, v0
	s_mov_b32 s7, exec_lo
	s_delay_alu instid0(VALU_DEP_2) | instskip(SKIP_1) | instid1(VALU_DEP_2)
	v_mov_b32_e32 v1, v3
	s_wait_kmcnt 0x0
	v_cmpx_gt_i32_e64 s6, v0
	s_cbranch_execz .LBB193_5
; %bb.2:
	s_clause 0x3
	s_load_b128 s[8:11], s[0:1], 0x20
	s_load_b64 s[2:3], s[0:1], 0x40
	s_load_b32 s4, s[0:1], 0x18
	s_load_b96 s[16:18], s[0:1], 0x30
	v_mov_b32_e32 v1, 0
	s_load_b128 s[12:15], s[0:1], 0x8
	s_wait_kmcnt 0x0
	v_mul_u64_e32 v[4:5], s[8:9], v[2:3]
	v_mul_u64_e32 v[6:7], s[2:3], v[2:3]
	s_ashr_i32 s5, s4, 31
	s_ashr_i32 s9, s18, 31
	v_mul_u64_e32 v[8:9], s[4:5], v[0:1]
	s_mov_b32 s8, s18
	s_lshl_b64 s[2:3], s[14:15], 1
	s_lshl_b64 s[14:15], s[16:17], 1
	s_add_nc_u64 s[2:3], s[12:13], s[2:3]
	s_add_nc_u64 s[10:11], s[10:11], s[14:15]
	s_delay_alu instid0(VALU_DEP_3) | instskip(NEXT) | instid1(VALU_DEP_3)
	v_lshlrev_b64_e32 v[4:5], 1, v[4:5]
	v_lshlrev_b64_e32 v[6:7], 1, v[6:7]
	s_delay_alu instid0(VALU_DEP_2) | instskip(SKIP_2) | instid1(VALU_DEP_3)
	v_lshl_add_u64 v[4:5], v[8:9], 1, v[4:5]
	v_mov_b32_e32 v8, v0
	v_mul_u64_e32 v[10:11], s[8:9], v[0:1]
	v_add_nc_u64_e32 v[4:5], s[2:3], v[4:5]
	s_lshl_b64 s[2:3], s[4:5], 7
	s_lshl_b64 s[4:5], s[8:9], 7
	s_mov_b32 s8, 0
	s_delay_alu instid0(VALU_DEP_2) | instskip(NEXT) | instid1(VALU_DEP_1)
	v_lshl_add_u64 v[6:7], v[10:11], 1, v[6:7]
	v_add_nc_u64_e32 v[6:7], s[10:11], v[6:7]
.LBB193_3:                              ; =>This Inner Loop Header: Depth=1
	global_load_u16 v9, v[4:5], off
	global_load_u16 v10, v[6:7], off
	v_add_nc_u32_e32 v8, 64, v8
	s_wait_xcnt 0x1
	v_add_nc_u64_e32 v[4:5], s[2:3], v[4:5]
	s_wait_xcnt 0x0
	v_add_nc_u64_e32 v[6:7], s[4:5], v[6:7]
	v_cmp_le_i32_e32 vcc_lo, s6, v8
	s_or_b32 s8, vcc_lo, s8
	s_wait_loadcnt 0x0
	v_fma_mix_f32_bf16 v1, v10, v9, v1 op_sel_hi:[1,1,0]
	s_and_not1_b32 exec_lo, exec_lo, s8
	s_cbranch_execnz .LBB193_3
; %bb.4:
	s_or_b32 exec_lo, exec_lo, s8
.LBB193_5:
	s_delay_alu instid0(SALU_CYCLE_1) | instskip(SKIP_4) | instid1(VALU_DEP_1)
	s_or_b32 exec_lo, exec_lo, s7
	v_mbcnt_lo_u32_b32 v4, -1, 0
	s_load_b64 s[0:1], s[0:1], 0x50
	s_barrier_signal -1
	s_barrier_wait -1
	v_lshlrev_b32_e32 v5, 2, v4
	v_cmp_gt_u32_e32 vcc_lo, 24, v4
	ds_bpermute_b32 v6, v5, v1
	s_wait_dscnt 0x0
	v_dual_add_f32 v1, v1, v6 :: v_dual_bitop2_b32 v5, 64, v5 bitop3:0x54
	v_cndmask_b32_e64 v6, 0, 8, vcc_lo
	v_cmp_gt_u32_e32 vcc_lo, 28, v4
	ds_bpermute_b32 v5, v5, v1
	v_add_lshl_u32 v6, v6, v4, 2
	s_wait_dscnt 0x0
	v_add_f32_e32 v1, v1, v5
	ds_bpermute_b32 v5, v6, v1
	v_cndmask_b32_e64 v6, 0, 4, vcc_lo
	v_cmp_gt_u32_e32 vcc_lo, 30, v4
	s_delay_alu instid0(VALU_DEP_2)
	v_add_lshl_u32 v6, v6, v4, 2
	s_wait_dscnt 0x0
	v_add_f32_e32 v1, v1, v5
	ds_bpermute_b32 v5, v6, v1
	v_cndmask_b32_e64 v6, 0, 2, vcc_lo
	v_cmp_ne_u32_e32 vcc_lo, 31, v4
	s_delay_alu instid0(VALU_DEP_2) | instskip(SKIP_3) | instid1(VALU_DEP_2)
	v_add_lshl_u32 v6, v6, v4, 2
	v_add_co_ci_u32_e64 v4, null, 0, v4, vcc_lo
	v_cmp_eq_u32_e32 vcc_lo, 0, v0
	s_wait_dscnt 0x0
	v_dual_add_f32 v1, v1, v5 :: v_dual_lshlrev_b32 v4, 2, v4
	ds_bpermute_b32 v5, v6, v1
	s_wait_dscnt 0x0
	v_add_f32_e32 v1, v1, v5
	ds_bpermute_b32 v4, v4, v1
	s_and_b32 exec_lo, exec_lo, vcc_lo
	s_cbranch_execz .LBB193_11
; %bb.6:
	s_wait_dscnt 0x0
	v_add_f32_e32 v0, v1, v4
	s_delay_alu instid0(VALU_DEP_1) | instskip(NEXT) | instid1(VALU_DEP_1)
	v_and_b32_e32 v1, 0x7f800000, v0
	v_cmp_ne_u32_e32 vcc_lo, 0x7f800000, v1
                                        ; implicit-def: $vgpr1
	s_and_saveexec_b32 s2, vcc_lo
	s_delay_alu instid0(SALU_CYCLE_1)
	s_xor_b32 s2, exec_lo, s2
; %bb.7:
	v_bfe_u32 v1, v0, 16, 1
	s_delay_alu instid0(VALU_DEP_1)
	v_add3_u32 v1, v0, v1, 0x7fff
                                        ; implicit-def: $vgpr0
; %bb.8:
	s_and_not1_saveexec_b32 s2, s2
; %bb.9:
	v_and_b32_e32 v1, 0xffff, v0
	v_or_b32_e32 v4, 0x10000, v0
	s_delay_alu instid0(VALU_DEP_2) | instskip(NEXT) | instid1(VALU_DEP_2)
	v_cmp_eq_u32_e32 vcc_lo, 0, v1
	v_cndmask_b32_e32 v1, v4, v0, vcc_lo
; %bb.10:
	s_or_b32 exec_lo, exec_lo, s2
	s_wait_kmcnt 0x0
	v_lshl_add_u64 v[2:3], v[2:3], 1, s[0:1]
	global_store_d16_hi_b16 v[2:3], v1, off
.LBB193_11:
	s_endpgm
	.section	.rodata,"a",@progbits
	.p2align	6, 0x0
	.amdhsa_kernel _ZL28rocblas_dot_batched_4_kernelIiLi64ELi4ELb1Ef16rocblas_bfloat16PKS0_EviT5_lT_lS3_lS4_liPT4_
		.amdhsa_group_segment_fixed_size 0
		.amdhsa_private_segment_fixed_size 0
		.amdhsa_kernarg_size 88
		.amdhsa_user_sgpr_count 2
		.amdhsa_user_sgpr_dispatch_ptr 0
		.amdhsa_user_sgpr_queue_ptr 0
		.amdhsa_user_sgpr_kernarg_segment_ptr 1
		.amdhsa_user_sgpr_dispatch_id 0
		.amdhsa_user_sgpr_kernarg_preload_length 0
		.amdhsa_user_sgpr_kernarg_preload_offset 0
		.amdhsa_user_sgpr_private_segment_size 0
		.amdhsa_wavefront_size32 1
		.amdhsa_uses_dynamic_stack 0
		.amdhsa_enable_private_segment 0
		.amdhsa_system_sgpr_workgroup_id_x 1
		.amdhsa_system_sgpr_workgroup_id_y 0
		.amdhsa_system_sgpr_workgroup_id_z 0
		.amdhsa_system_sgpr_workgroup_info 0
		.amdhsa_system_vgpr_workitem_id 1
		.amdhsa_next_free_vgpr 12
		.amdhsa_next_free_sgpr 19
		.amdhsa_named_barrier_count 0
		.amdhsa_reserve_vcc 1
		.amdhsa_float_round_mode_32 0
		.amdhsa_float_round_mode_16_64 0
		.amdhsa_float_denorm_mode_32 3
		.amdhsa_float_denorm_mode_16_64 3
		.amdhsa_fp16_overflow 0
		.amdhsa_memory_ordered 1
		.amdhsa_forward_progress 1
		.amdhsa_inst_pref_size 6
		.amdhsa_round_robin_scheduling 0
		.amdhsa_exception_fp_ieee_invalid_op 0
		.amdhsa_exception_fp_denorm_src 0
		.amdhsa_exception_fp_ieee_div_zero 0
		.amdhsa_exception_fp_ieee_overflow 0
		.amdhsa_exception_fp_ieee_underflow 0
		.amdhsa_exception_fp_ieee_inexact 0
		.amdhsa_exception_int_div_zero 0
	.end_amdhsa_kernel
	.section	.text._ZL28rocblas_dot_batched_4_kernelIiLi64ELi4ELb1Ef16rocblas_bfloat16PKS0_EviT5_lT_lS3_lS4_liPT4_,"axG",@progbits,_ZL28rocblas_dot_batched_4_kernelIiLi64ELi4ELb1Ef16rocblas_bfloat16PKS0_EviT5_lT_lS3_lS4_liPT4_,comdat
.Lfunc_end193:
	.size	_ZL28rocblas_dot_batched_4_kernelIiLi64ELi4ELb1Ef16rocblas_bfloat16PKS0_EviT5_lT_lS3_lS4_liPT4_, .Lfunc_end193-_ZL28rocblas_dot_batched_4_kernelIiLi64ELi4ELb1Ef16rocblas_bfloat16PKS0_EviT5_lT_lS3_lS4_liPT4_
                                        ; -- End function
	.set _ZL28rocblas_dot_batched_4_kernelIiLi64ELi4ELb1Ef16rocblas_bfloat16PKS0_EviT5_lT_lS3_lS4_liPT4_.num_vgpr, 12
	.set _ZL28rocblas_dot_batched_4_kernelIiLi64ELi4ELb1Ef16rocblas_bfloat16PKS0_EviT5_lT_lS3_lS4_liPT4_.num_agpr, 0
	.set _ZL28rocblas_dot_batched_4_kernelIiLi64ELi4ELb1Ef16rocblas_bfloat16PKS0_EviT5_lT_lS3_lS4_liPT4_.numbered_sgpr, 19
	.set _ZL28rocblas_dot_batched_4_kernelIiLi64ELi4ELb1Ef16rocblas_bfloat16PKS0_EviT5_lT_lS3_lS4_liPT4_.num_named_barrier, 0
	.set _ZL28rocblas_dot_batched_4_kernelIiLi64ELi4ELb1Ef16rocblas_bfloat16PKS0_EviT5_lT_lS3_lS4_liPT4_.private_seg_size, 0
	.set _ZL28rocblas_dot_batched_4_kernelIiLi64ELi4ELb1Ef16rocblas_bfloat16PKS0_EviT5_lT_lS3_lS4_liPT4_.uses_vcc, 1
	.set _ZL28rocblas_dot_batched_4_kernelIiLi64ELi4ELb1Ef16rocblas_bfloat16PKS0_EviT5_lT_lS3_lS4_liPT4_.uses_flat_scratch, 0
	.set _ZL28rocblas_dot_batched_4_kernelIiLi64ELi4ELb1Ef16rocblas_bfloat16PKS0_EviT5_lT_lS3_lS4_liPT4_.has_dyn_sized_stack, 0
	.set _ZL28rocblas_dot_batched_4_kernelIiLi64ELi4ELb1Ef16rocblas_bfloat16PKS0_EviT5_lT_lS3_lS4_liPT4_.has_recursion, 0
	.set _ZL28rocblas_dot_batched_4_kernelIiLi64ELi4ELb1Ef16rocblas_bfloat16PKS0_EviT5_lT_lS3_lS4_liPT4_.has_indirect_call, 0
	.section	.AMDGPU.csdata,"",@progbits
; Kernel info:
; codeLenInByte = 720
; TotalNumSgprs: 21
; NumVgprs: 12
; ScratchSize: 0
; MemoryBound: 0
; FloatMode: 240
; IeeeMode: 1
; LDSByteSize: 0 bytes/workgroup (compile time only)
; SGPRBlocks: 0
; VGPRBlocks: 0
; NumSGPRsForWavesPerEU: 21
; NumVGPRsForWavesPerEU: 12
; NamedBarCnt: 0
; Occupancy: 16
; WaveLimiterHint : 0
; COMPUTE_PGM_RSRC2:SCRATCH_EN: 0
; COMPUTE_PGM_RSRC2:USER_SGPR: 2
; COMPUTE_PGM_RSRC2:TRAP_HANDLER: 0
; COMPUTE_PGM_RSRC2:TGID_X_EN: 1
; COMPUTE_PGM_RSRC2:TGID_Y_EN: 0
; COMPUTE_PGM_RSRC2:TGID_Z_EN: 0
; COMPUTE_PGM_RSRC2:TIDIG_COMP_CNT: 1
	.section	.text._ZL26rocblas_dot_kernel_inc1by2ILb1ELi1024ELi32ELb1E16rocblas_bfloat16PKS0_fEviT4_llS3_lliPT5_PT3_,"axG",@progbits,_ZL26rocblas_dot_kernel_inc1by2ILb1ELi1024ELi32ELb1E16rocblas_bfloat16PKS0_fEviT4_llS3_lliPT5_PT3_,comdat
	.globl	_ZL26rocblas_dot_kernel_inc1by2ILb1ELi1024ELi32ELb1E16rocblas_bfloat16PKS0_fEviT4_llS3_lliPT5_PT3_ ; -- Begin function _ZL26rocblas_dot_kernel_inc1by2ILb1ELi1024ELi32ELb1E16rocblas_bfloat16PKS0_fEviT4_llS3_lliPT5_PT3_
	.p2align	8
	.type	_ZL26rocblas_dot_kernel_inc1by2ILb1ELi1024ELi32ELb1E16rocblas_bfloat16PKS0_fEviT4_llS3_lliPT5_PT3_,@function
_ZL26rocblas_dot_kernel_inc1by2ILb1ELi1024ELi32ELb1E16rocblas_bfloat16PKS0_fEviT4_llS3_lliPT5_PT3_: ; @_ZL26rocblas_dot_kernel_inc1by2ILb1ELi1024ELi32ELb1E16rocblas_bfloat16PKS0_fEviT4_llS3_lliPT5_PT3_
; %bb.0:
	s_load_b32 s3, s[0:1], 0x38
	s_bfe_u32 s2, ttmp6, 0x40014
	s_lshr_b32 s4, ttmp7, 16
	s_add_co_i32 s2, s2, 1
	s_bfe_u32 s5, ttmp6, 0x40008
	s_mul_i32 s2, s4, s2
	s_getreg_b32 s6, hwreg(HW_REG_IB_STS2, 6, 4)
	s_add_co_i32 s5, s5, s2
	s_cmp_eq_u32 s6, 0
	s_mov_b32 s13, 0
	s_cselect_b32 s12, s4, s5
	s_wait_kmcnt 0x0
	s_cmp_ge_u32 s12, s3
	s_cbranch_scc1 .LBB194_23
; %bb.1:
	s_clause 0x4
	s_load_b32 s20, s[0:1], 0x0
	s_load_b128 s[4:7], s[0:1], 0x10
	s_load_b128 s[8:11], s[0:1], 0x28
	s_load_b64 s[16:17], s[0:1], 0x8
	s_load_b64 s[18:19], s[0:1], 0x20
	v_mbcnt_lo_u32_b32 v2, -1, 0
	s_load_b64 s[14:15], s[0:1], 0x48
	v_dual_mov_b32 v13, 0 :: v_dual_bitop2_b32 v1, 31, v0 bitop3:0x40
	v_cmp_gt_u32_e32 vcc_lo, 32, v0
	s_wait_xcnt 0x0
	v_cmp_gt_u32_e64 s0, 24, v2
	v_lshl_or_b32 v7, v2, 2, 64
	s_delay_alu instid0(VALU_DEP_2) | instskip(SKIP_1) | instid1(VALU_DEP_2)
	v_cndmask_b32_e64 v3, 0, 8, s0
	v_cmp_gt_u32_e64 s0, 28, v2
	v_add_lshl_u32 v8, v3, v2, 2
	s_delay_alu instid0(VALU_DEP_2)
	v_cndmask_b32_e64 v4, 0, 4, s0
	s_wait_kmcnt 0x0
	s_lshl_b64 s[0:1], s[4:5], 1
	v_lshrrev_b32_e32 v3, 3, v0
	s_add_nc_u64 s[4:5], s[16:17], s[0:1]
	v_cmp_gt_u32_e64 s0, 30, v2
	s_ashr_i32 s21, s20, 31
	s_lshl_b64 s[8:9], s[8:9], 1
	s_add_co_i32 s22, s20, -1
	v_add_lshl_u32 v9, v4, v2, 2
	v_cndmask_b32_e64 v5, 0, 2, s0
	v_cmp_ne_u32_e64 s0, 31, v2
	v_and_b32_e32 v12, 0x7c, v3
	v_cmp_eq_u32_e64 s1, 0, v0
	s_bitcmp1_b32 s20, 0
	v_add_lshl_u32 v10, v5, v2, 2
	v_add_co_ci_u32_e64 v11, null, 0, v2, s0
	v_lshlrev_b32_e32 v6, 2, v1
	v_cmp_eq_u32_e64 s0, 0, v1
	s_add_nc_u64 s[8:9], s[18:19], s[8:9]
	v_lshlrev_b32_e32 v11, 2, v11
	s_cselect_b32 s23, -1, 0
	s_lshl_b64 s[16:17], s[10:11], 1
	s_lshl_b64 s[18:19], s[6:7], 1
	;; [unrolled: 1-line block ×3, first 2 shown]
	s_branch .LBB194_4
.LBB194_2:                              ;   in Loop: Header=BB194_4 Depth=1
	s_or_b32 exec_lo, exec_lo, s25
	s_lshl_b64 s[26:27], s[12:13], 1
	s_delay_alu instid0(SALU_CYCLE_1)
	s_add_nc_u64 s[26:27], s[14:15], s[26:27]
	global_store_d16_hi_b16 v13, v2, s[26:27]
.LBB194_3:                              ;   in Loop: Header=BB194_4 Depth=1
	s_wait_xcnt 0x0
	s_or_b32 exec_lo, exec_lo, s24
	s_add_co_i32 s12, s12, 0x10000
	s_delay_alu instid0(SALU_CYCLE_1)
	s_cmp_lt_u32 s12, s3
	s_cbranch_scc0 .LBB194_23
.LBB194_4:                              ; =>This Loop Header: Depth=1
                                        ;     Child Loop BB194_6 Depth 2
	s_wait_dscnt 0x0
	v_dual_mov_b32 v1, 0 :: v_dual_lshlrev_b32 v0, 1, v0
	s_mov_b32 s24, exec_lo
	s_delay_alu instid0(VALU_DEP_1)
	v_cmpx_gt_i32_e64 s22, v0
	s_cbranch_execz .LBB194_8
; %bb.5:                                ;   in Loop: Header=BB194_4 Depth=1
	v_ashrrev_i32_e32 v1, 31, v0
	s_mul_u64 s[26:27], s[16:17], s[12:13]
	s_mul_u64 s[28:29], s[18:19], s[12:13]
	s_add_nc_u64 s[26:27], s[8:9], s[26:27]
	s_add_nc_u64 s[28:29], s[4:5], s[28:29]
	v_lshlrev_b64_e32 v[4:5], 1, v[0:1]
	v_mov_b32_e32 v1, 0
	s_mov_b32 s25, 0
	s_mov_b32 s2, 0
	s_delay_alu instid0(VALU_DEP_2)
	v_add_nc_u64_e32 v[2:3], s[26:27], v[4:5]
	v_add_nc_u64_e32 v[4:5], s[28:29], v[4:5]
.LBB194_6:                              ;   Parent Loop BB194_4 Depth=1
                                        ; =>  This Inner Loop Header: Depth=2
	global_load_b32 v14, v[2:3], off
	global_load_b32 v16, v[4:5], off
	s_add_co_i32 s26, s2, 1
	s_cmp_gt_u32 s2, 30
	s_wait_xcnt 0x1
	v_add_nc_u64_e32 v[2:3], 0x1000, v[2:3]
	s_cselect_b32 s27, -1, 0
	s_wait_xcnt 0x0
	v_add_nc_u64_e32 v[4:5], 0x1000, v[4:5]
	s_wait_loadcnt 0x1
	v_and_b32_e32 v15, 0xffff0000, v14
	v_lshlrev_b32_e32 v14, 16, v14
	s_wait_loadcnt 0x0
	v_and_b32_e32 v17, 0xffff0000, v16
	v_lshlrev_b32_e32 v16, 16, v16
	s_delay_alu instid0(VALU_DEP_1) | instskip(NEXT) | instid1(VALU_DEP_1)
	v_pk_mul_f32 v[14:15], v[14:15], v[16:17]
	v_dual_add_f32 v1, v1, v14 :: v_dual_add_nc_u32 v0, 0x800, v0
	s_delay_alu instid0(VALU_DEP_1) | instskip(NEXT) | instid1(VALU_DEP_2)
	v_cmp_le_i32_e64 s2, s22, v0
	v_add_f32_e32 v1, v1, v15
	s_or_b32 s2, s27, s2
	s_delay_alu instid0(SALU_CYCLE_1) | instskip(NEXT) | instid1(SALU_CYCLE_1)
	s_and_b32 s2, exec_lo, s2
	s_or_b32 s25, s2, s25
	s_mov_b32 s2, s26
	s_and_not1_b32 exec_lo, exec_lo, s25
	s_cbranch_execnz .LBB194_6
; %bb.7:                                ;   in Loop: Header=BB194_4 Depth=1
	s_or_b32 exec_lo, exec_lo, s25
.LBB194_8:                              ;   in Loop: Header=BB194_4 Depth=1
	s_delay_alu instid0(SALU_CYCLE_1) | instskip(SKIP_2) | instid1(SALU_CYCLE_1)
	s_or_b32 exec_lo, exec_lo, s24
	v_cmp_eq_u32_e64 s2, s22, v0
	s_and_b32 s24, s23, s2
	s_and_saveexec_b32 s2, s24
	s_cbranch_execz .LBB194_10
; %bb.9:                                ;   in Loop: Header=BB194_4 Depth=1
	s_mul_u64 s[24:25], s[10:11], s[12:13]
	s_mul_u64 s[26:27], s[6:7], s[12:13]
	s_lshl_b64 s[24:25], s[24:25], 1
	s_lshl_b64 s[26:27], s[26:27], 1
	s_add_nc_u64 s[24:25], s[8:9], s[24:25]
	s_add_nc_u64 s[26:27], s[4:5], s[26:27]
	;; [unrolled: 1-line block ×4, first 2 shown]
	s_add_nc_u64 s[24:25], s[24:25], -2
	s_add_nc_u64 s[26:27], s[26:27], -2
	s_load_u16 s28, s[24:25], 0x0
	s_load_u16 s29, s[26:27], 0x0
	s_wait_kmcnt 0x0
	v_fma_mix_f32_bf16 v1, s29, s28, v1 op_sel_hi:[1,1,0]
.LBB194_10:                             ;   in Loop: Header=BB194_4 Depth=1
	s_or_b32 exec_lo, exec_lo, s2
	s_and_saveexec_b32 s2, vcc_lo
; %bb.11:                               ;   in Loop: Header=BB194_4 Depth=1
	ds_store_b32 v6, v13
; %bb.12:                               ;   in Loop: Header=BB194_4 Depth=1
	s_or_b32 exec_lo, exec_lo, s2
	ds_bpermute_b32 v2, v7, v1
	s_wait_dscnt 0x0
	s_barrier_signal -1
	s_barrier_wait -1
	v_add_f32_e32 v1, v1, v2
	ds_bpermute_b32 v2, v8, v1
	s_wait_dscnt 0x0
	v_add_f32_e32 v1, v1, v2
	ds_bpermute_b32 v2, v9, v1
	s_wait_dscnt 0x0
	;; [unrolled: 3-line block ×3, first 2 shown]
	v_add_f32_e32 v1, v1, v2
	ds_bpermute_b32 v2, v11, v1
	s_and_saveexec_b32 s2, s0
	s_cbranch_execz .LBB194_14
; %bb.13:                               ;   in Loop: Header=BB194_4 Depth=1
	s_wait_dscnt 0x0
	v_add_f32_e32 v1, v1, v2
	ds_store_b32 v12, v1
.LBB194_14:                             ;   in Loop: Header=BB194_4 Depth=1
	s_or_b32 exec_lo, exec_lo, s2
	v_mov_b32_e32 v1, 0
	s_wait_dscnt 0x0
	s_barrier_signal -1
	s_barrier_wait -1
	s_and_saveexec_b32 s2, vcc_lo
	s_cbranch_execnz .LBB194_17
; %bb.15:                               ;   in Loop: Header=BB194_4 Depth=1
	s_or_b32 exec_lo, exec_lo, s2
	s_and_saveexec_b32 s2, vcc_lo
	s_cbranch_execnz .LBB194_18
.LBB194_16:                             ;   in Loop: Header=BB194_4 Depth=1
	s_or_b32 exec_lo, exec_lo, s2
	s_wait_xcnt 0x0
	s_and_saveexec_b32 s24, s1
	s_cbranch_execz .LBB194_3
	s_branch .LBB194_19
.LBB194_17:                             ;   in Loop: Header=BB194_4 Depth=1
	ds_load_b32 v1, v6
	s_or_b32 exec_lo, exec_lo, s2
	s_and_saveexec_b32 s2, vcc_lo
	s_cbranch_execz .LBB194_16
.LBB194_18:                             ;   in Loop: Header=BB194_4 Depth=1
	s_wait_dscnt 0x0
	ds_bpermute_b32 v2, v7, v1
	s_wait_dscnt 0x0
	v_add_f32_e32 v1, v1, v2
	ds_bpermute_b32 v2, v8, v1
	s_wait_dscnt 0x0
	v_add_f32_e32 v1, v1, v2
	;; [unrolled: 3-line block ×5, first 2 shown]
	s_or_b32 exec_lo, exec_lo, s2
	s_wait_xcnt 0x0
	s_and_saveexec_b32 s24, s1
	s_cbranch_execz .LBB194_3
.LBB194_19:                             ;   in Loop: Header=BB194_4 Depth=1
	s_wait_dscnt 0x0
	v_and_b32_e32 v2, 0x7f800000, v1
	s_delay_alu instid0(VALU_DEP_1) | instskip(SKIP_1) | instid1(SALU_CYCLE_1)
	v_cmp_ne_u32_e64 s2, 0x7f800000, v2
                                        ; implicit-def: $vgpr2
	s_and_saveexec_b32 s25, s2
	s_xor_b32 s2, exec_lo, s25
; %bb.20:                               ;   in Loop: Header=BB194_4 Depth=1
	v_bfe_u32 v2, v1, 16, 1
	s_delay_alu instid0(VALU_DEP_1)
	v_add3_u32 v2, v1, v2, 0x7fff
                                        ; implicit-def: $vgpr1
; %bb.21:                               ;   in Loop: Header=BB194_4 Depth=1
	s_and_not1_saveexec_b32 s25, s2
	s_cbranch_execz .LBB194_2
; %bb.22:                               ;   in Loop: Header=BB194_4 Depth=1
	v_and_b32_e32 v2, 0xffff, v1
	v_or_b32_e32 v3, 0x10000, v1
	s_delay_alu instid0(VALU_DEP_2) | instskip(NEXT) | instid1(VALU_DEP_1)
	v_cmp_eq_u32_e64 s2, 0, v2
	v_cndmask_b32_e64 v2, v3, v1, s2
	s_branch .LBB194_2
.LBB194_23:
	s_endpgm
	.section	.rodata,"a",@progbits
	.p2align	6, 0x0
	.amdhsa_kernel _ZL26rocblas_dot_kernel_inc1by2ILb1ELi1024ELi32ELb1E16rocblas_bfloat16PKS0_fEviT4_llS3_lliPT5_PT3_
		.amdhsa_group_segment_fixed_size 128
		.amdhsa_private_segment_fixed_size 0
		.amdhsa_kernarg_size 80
		.amdhsa_user_sgpr_count 2
		.amdhsa_user_sgpr_dispatch_ptr 0
		.amdhsa_user_sgpr_queue_ptr 0
		.amdhsa_user_sgpr_kernarg_segment_ptr 1
		.amdhsa_user_sgpr_dispatch_id 0
		.amdhsa_user_sgpr_kernarg_preload_length 0
		.amdhsa_user_sgpr_kernarg_preload_offset 0
		.amdhsa_user_sgpr_private_segment_size 0
		.amdhsa_wavefront_size32 1
		.amdhsa_uses_dynamic_stack 0
		.amdhsa_enable_private_segment 0
		.amdhsa_system_sgpr_workgroup_id_x 1
		.amdhsa_system_sgpr_workgroup_id_y 0
		.amdhsa_system_sgpr_workgroup_id_z 1
		.amdhsa_system_sgpr_workgroup_info 0
		.amdhsa_system_vgpr_workitem_id 0
		.amdhsa_next_free_vgpr 18
		.amdhsa_next_free_sgpr 30
		.amdhsa_named_barrier_count 0
		.amdhsa_reserve_vcc 1
		.amdhsa_float_round_mode_32 0
		.amdhsa_float_round_mode_16_64 0
		.amdhsa_float_denorm_mode_32 3
		.amdhsa_float_denorm_mode_16_64 3
		.amdhsa_fp16_overflow 0
		.amdhsa_memory_ordered 1
		.amdhsa_forward_progress 1
		.amdhsa_inst_pref_size 9
		.amdhsa_round_robin_scheduling 0
		.amdhsa_exception_fp_ieee_invalid_op 0
		.amdhsa_exception_fp_denorm_src 0
		.amdhsa_exception_fp_ieee_div_zero 0
		.amdhsa_exception_fp_ieee_overflow 0
		.amdhsa_exception_fp_ieee_underflow 0
		.amdhsa_exception_fp_ieee_inexact 0
		.amdhsa_exception_int_div_zero 0
	.end_amdhsa_kernel
	.section	.text._ZL26rocblas_dot_kernel_inc1by2ILb1ELi1024ELi32ELb1E16rocblas_bfloat16PKS0_fEviT4_llS3_lliPT5_PT3_,"axG",@progbits,_ZL26rocblas_dot_kernel_inc1by2ILb1ELi1024ELi32ELb1E16rocblas_bfloat16PKS0_fEviT4_llS3_lliPT5_PT3_,comdat
.Lfunc_end194:
	.size	_ZL26rocblas_dot_kernel_inc1by2ILb1ELi1024ELi32ELb1E16rocblas_bfloat16PKS0_fEviT4_llS3_lliPT5_PT3_, .Lfunc_end194-_ZL26rocblas_dot_kernel_inc1by2ILb1ELi1024ELi32ELb1E16rocblas_bfloat16PKS0_fEviT4_llS3_lliPT5_PT3_
                                        ; -- End function
	.set _ZL26rocblas_dot_kernel_inc1by2ILb1ELi1024ELi32ELb1E16rocblas_bfloat16PKS0_fEviT4_llS3_lliPT5_PT3_.num_vgpr, 18
	.set _ZL26rocblas_dot_kernel_inc1by2ILb1ELi1024ELi32ELb1E16rocblas_bfloat16PKS0_fEviT4_llS3_lliPT5_PT3_.num_agpr, 0
	.set _ZL26rocblas_dot_kernel_inc1by2ILb1ELi1024ELi32ELb1E16rocblas_bfloat16PKS0_fEviT4_llS3_lliPT5_PT3_.numbered_sgpr, 30
	.set _ZL26rocblas_dot_kernel_inc1by2ILb1ELi1024ELi32ELb1E16rocblas_bfloat16PKS0_fEviT4_llS3_lliPT5_PT3_.num_named_barrier, 0
	.set _ZL26rocblas_dot_kernel_inc1by2ILb1ELi1024ELi32ELb1E16rocblas_bfloat16PKS0_fEviT4_llS3_lliPT5_PT3_.private_seg_size, 0
	.set _ZL26rocblas_dot_kernel_inc1by2ILb1ELi1024ELi32ELb1E16rocblas_bfloat16PKS0_fEviT4_llS3_lliPT5_PT3_.uses_vcc, 1
	.set _ZL26rocblas_dot_kernel_inc1by2ILb1ELi1024ELi32ELb1E16rocblas_bfloat16PKS0_fEviT4_llS3_lliPT5_PT3_.uses_flat_scratch, 0
	.set _ZL26rocblas_dot_kernel_inc1by2ILb1ELi1024ELi32ELb1E16rocblas_bfloat16PKS0_fEviT4_llS3_lliPT5_PT3_.has_dyn_sized_stack, 0
	.set _ZL26rocblas_dot_kernel_inc1by2ILb1ELi1024ELi32ELb1E16rocblas_bfloat16PKS0_fEviT4_llS3_lliPT5_PT3_.has_recursion, 0
	.set _ZL26rocblas_dot_kernel_inc1by2ILb1ELi1024ELi32ELb1E16rocblas_bfloat16PKS0_fEviT4_llS3_lliPT5_PT3_.has_indirect_call, 0
	.section	.AMDGPU.csdata,"",@progbits
; Kernel info:
; codeLenInByte = 1152
; TotalNumSgprs: 32
; NumVgprs: 18
; ScratchSize: 0
; MemoryBound: 0
; FloatMode: 240
; IeeeMode: 1
; LDSByteSize: 128 bytes/workgroup (compile time only)
; SGPRBlocks: 0
; VGPRBlocks: 1
; NumSGPRsForWavesPerEU: 32
; NumVGPRsForWavesPerEU: 18
; NamedBarCnt: 0
; Occupancy: 16
; WaveLimiterHint : 0
; COMPUTE_PGM_RSRC2:SCRATCH_EN: 0
; COMPUTE_PGM_RSRC2:USER_SGPR: 2
; COMPUTE_PGM_RSRC2:TRAP_HANDLER: 0
; COMPUTE_PGM_RSRC2:TGID_X_EN: 1
; COMPUTE_PGM_RSRC2:TGID_Y_EN: 0
; COMPUTE_PGM_RSRC2:TGID_Z_EN: 1
; COMPUTE_PGM_RSRC2:TIDIG_COMP_CNT: 0
	.section	.text._ZL18rocblas_dot_kernelIiLb1ELi1024ELi32ELb1E16rocblas_bfloat16PKS0_fEviT5_lT_lS3_lS4_liPT6_PT4_,"axG",@progbits,_ZL18rocblas_dot_kernelIiLb1ELi1024ELi32ELb1E16rocblas_bfloat16PKS0_fEviT5_lT_lS3_lS4_liPT6_PT4_,comdat
	.globl	_ZL18rocblas_dot_kernelIiLb1ELi1024ELi32ELb1E16rocblas_bfloat16PKS0_fEviT5_lT_lS3_lS4_liPT6_PT4_ ; -- Begin function _ZL18rocblas_dot_kernelIiLb1ELi1024ELi32ELb1E16rocblas_bfloat16PKS0_fEviT5_lT_lS3_lS4_liPT6_PT4_
	.p2align	8
	.type	_ZL18rocblas_dot_kernelIiLb1ELi1024ELi32ELb1E16rocblas_bfloat16PKS0_fEviT5_lT_lS3_lS4_liPT6_PT4_,@function
_ZL18rocblas_dot_kernelIiLb1ELi1024ELi32ELb1E16rocblas_bfloat16PKS0_fEviT5_lT_lS3_lS4_liPT6_PT4_: ; @_ZL18rocblas_dot_kernelIiLb1ELi1024ELi32ELb1E16rocblas_bfloat16PKS0_fEviT5_lT_lS3_lS4_liPT6_PT4_
; %bb.0:
	s_load_b32 s3, s[0:1], 0x48
	s_bfe_u32 s2, ttmp6, 0x40014
	s_lshr_b32 s4, ttmp7, 16
	s_add_co_i32 s2, s2, 1
	s_bfe_u32 s5, ttmp6, 0x40008
	s_mul_i32 s2, s4, s2
	s_getreg_b32 s6, hwreg(HW_REG_IB_STS2, 6, 4)
	s_add_co_i32 s5, s5, s2
	s_cmp_eq_u32 s6, 0
	s_mov_b32 s17, 0
	s_cselect_b32 s16, s4, s5
	s_wait_kmcnt 0x0
	s_cmp_ge_u32 s16, s3
	s_cbranch_scc1 .LBB195_21
; %bb.1:
	v_mbcnt_lo_u32_b32 v3, -1, 0
	s_clause 0x6
	s_load_b32 s24, s[0:1], 0x18
	s_load_b96 s[12:14], s[0:1], 0x30
	s_load_b96 s[8:10], s[0:1], 0x58
	s_load_b128 s[4:7], s[0:1], 0x20
	s_load_b128 s[20:23], s[0:1], 0x8
	s_load_b32 s26, s[0:1], 0x0
	s_load_b64 s[28:29], s[0:1], 0x40
	v_and_b32_e32 v2, 31, v0
	s_wait_xcnt 0x0
	v_cmp_eq_u32_e64 s1, 0, v0
	v_cmp_gt_u32_e64 s0, 24, v3
	v_lshl_or_b32 v6, v3, 2, 64
	v_cmp_gt_u32_e32 vcc_lo, 32, v0
	v_mov_b32_e32 v12, 0
	s_delay_alu instid0(VALU_DEP_4) | instskip(SKIP_1) | instid1(VALU_DEP_2)
	v_cndmask_b32_e64 v4, 0, 8, s0
	v_cmp_gt_u32_e64 s0, 28, v3
	v_add_lshl_u32 v7, v4, v3, 2
	s_delay_alu instid0(VALU_DEP_2)
	v_cndmask_b32_e64 v5, 0, 4, s0
	v_cmp_gt_u32_e64 s0, 30, v3
	v_lshrrev_b32_e32 v4, 3, v0
	s_wait_kmcnt 0x0
	s_ashr_i32 s25, s24, 31
	s_lshl_b32 s10, s10, 10
	s_ashr_i32 s31, s14, 31
	v_cndmask_b32_e64 v9, 0, 2, s0
	v_cmp_ne_u32_e64 s0, 31, v3
	s_mov_b32 s30, s14
	s_lshl_b64 s[14:15], s[22:23], 1
	s_ashr_i32 s11, s10, 31
	v_lshlrev_b32_e32 v1, 2, v2
	v_add_co_ci_u32_e64 v10, null, 0, v3, s0
	v_add_lshl_u32 v8, v5, v3, 2
	v_add_lshl_u32 v9, v9, v3, 2
	v_cmp_eq_u32_e64 s0, 0, v2
	s_delay_alu instid0(VALU_DEP_4)
	v_lshlrev_b32_e32 v10, 2, v10
	v_and_b32_e32 v11, 0x7c, v4
	s_add_nc_u64 s[14:15], s[20:21], s[14:15]
	s_lshl_b64 s[18:19], s[24:25], 1
	s_mul_u64 s[20:21], s[24:25], s[10:11]
	s_lshl_b64 s[22:23], s[12:13], 1
	s_mul_u64 s[24:25], s[30:31], s[10:11]
	s_lshl_b64 s[4:5], s[4:5], 1
	s_lshl_b64 s[12:13], s[20:21], 1
	s_add_nc_u64 s[6:7], s[6:7], s[22:23]
	s_lshl_b64 s[20:21], s[30:31], 1
	s_lshl_b64 s[22:23], s[28:29], 1
	;; [unrolled: 1-line block ×3, first 2 shown]
	s_branch .LBB195_4
.LBB195_2:                              ;   in Loop: Header=BB195_4 Depth=1
	s_or_b32 exec_lo, exec_lo, s27
	s_lshl_b64 s[28:29], s[16:17], 1
	s_delay_alu instid0(SALU_CYCLE_1)
	s_add_nc_u64 s[28:29], s[8:9], s[28:29]
	global_store_d16_hi_b16 v12, v3, s[28:29]
.LBB195_3:                              ;   in Loop: Header=BB195_4 Depth=1
	s_wait_xcnt 0x0
	s_or_b32 exec_lo, exec_lo, s11
	s_add_co_i32 s16, s16, 0x10000
	s_delay_alu instid0(SALU_CYCLE_1)
	s_cmp_lt_u32 s16, s3
	s_cbranch_scc0 .LBB195_21
.LBB195_4:                              ; =>This Loop Header: Depth=1
                                        ;     Child Loop BB195_6 Depth 2
	v_mov_b32_e32 v13, 0
	s_mov_b32 s11, exec_lo
	v_cmpx_gt_i32_e64 s26, v0
	s_cbranch_execz .LBB195_8
; %bb.5:                                ;   in Loop: Header=BB195_4 Depth=1
	s_mul_u64 s[28:29], s[4:5], s[16:17]
	s_mul_u64 s[30:31], s[22:23], s[16:17]
	s_add_nc_u64 s[28:29], s[14:15], s[28:29]
	s_add_nc_u64 s[30:31], s[6:7], s[30:31]
	s_wait_dscnt 0x0
	v_mad_nc_u64_u32 v[2:3], s18, v0, s[28:29]
	v_mad_nc_u64_u32 v[4:5], s20, v0, s[30:31]
	v_ashrrev_i32_e32 v13, 31, v0
	s_mov_b32 s27, 0
	s_mov_b32 s28, 0
	s_delay_alu instid0(VALU_DEP_3) | instskip(NEXT) | instid1(VALU_DEP_3)
	v_mad_u32 v3, s19, v0, v3
	v_mad_u32 v5, s21, v0, v5
	s_delay_alu instid0(VALU_DEP_2) | instskip(NEXT) | instid1(VALU_DEP_2)
	v_mad_u32 v3, s18, v13, v3
	v_mad_u32 v5, s20, v13, v5
	v_mov_b32_e32 v13, 0
.LBB195_6:                              ;   Parent Loop BB195_4 Depth=1
                                        ; =>  This Inner Loop Header: Depth=2
	global_load_u16 v14, v[4:5], off
	global_load_u16 v15, v[2:3], off
	v_add_nc_u32_e32 v0, s10, v0
	s_add_co_i32 s29, s28, 1
	s_cmp_gt_u32 s28, 30
	s_wait_xcnt 0x0
	v_add_nc_u64_e32 v[2:3], s[12:13], v[2:3]
	s_cselect_b32 s28, -1, 0
	v_cmp_le_i32_e64 s2, s26, v0
	v_add_nc_u64_e32 v[4:5], s[24:25], v[4:5]
	s_or_b32 s2, s28, s2
	s_mov_b32 s28, s29
	s_and_b32 s2, exec_lo, s2
	s_delay_alu instid0(SALU_CYCLE_1)
	s_or_b32 s27, s2, s27
	s_wait_loadcnt 0x0
	v_fma_mix_f32_bf16 v13, v15, v14, v13 op_sel_hi:[1,1,0]
	s_and_not1_b32 exec_lo, exec_lo, s27
	s_cbranch_execnz .LBB195_6
; %bb.7:                                ;   in Loop: Header=BB195_4 Depth=1
	s_or_b32 exec_lo, exec_lo, s27
.LBB195_8:                              ;   in Loop: Header=BB195_4 Depth=1
	s_delay_alu instid0(SALU_CYCLE_1)
	s_or_b32 exec_lo, exec_lo, s11
	s_and_saveexec_b32 s2, vcc_lo
; %bb.9:                                ;   in Loop: Header=BB195_4 Depth=1
	ds_store_b32 v1, v12
; %bb.10:                               ;   in Loop: Header=BB195_4 Depth=1
	s_or_b32 exec_lo, exec_lo, s2
	s_wait_dscnt 0x0
	ds_bpermute_b32 v2, v6, v13
	s_wait_dscnt 0x0
	s_barrier_signal -1
	s_barrier_wait -1
	v_add_f32_e32 v2, v13, v2
	ds_bpermute_b32 v3, v7, v2
	s_wait_dscnt 0x0
	v_add_f32_e32 v2, v2, v3
	ds_bpermute_b32 v3, v8, v2
	s_wait_dscnt 0x0
	;; [unrolled: 3-line block ×3, first 2 shown]
	v_add_f32_e32 v2, v2, v3
	ds_bpermute_b32 v3, v10, v2
	s_and_saveexec_b32 s2, s0
	s_cbranch_execz .LBB195_12
; %bb.11:                               ;   in Loop: Header=BB195_4 Depth=1
	s_wait_dscnt 0x0
	v_add_f32_e32 v2, v2, v3
	ds_store_b32 v11, v2
.LBB195_12:                             ;   in Loop: Header=BB195_4 Depth=1
	s_or_b32 exec_lo, exec_lo, s2
	v_mov_b32_e32 v2, 0
	s_wait_dscnt 0x0
	s_barrier_signal -1
	s_barrier_wait -1
	s_and_saveexec_b32 s2, vcc_lo
	s_cbranch_execnz .LBB195_15
; %bb.13:                               ;   in Loop: Header=BB195_4 Depth=1
	s_or_b32 exec_lo, exec_lo, s2
	s_and_saveexec_b32 s2, vcc_lo
	s_cbranch_execnz .LBB195_16
.LBB195_14:                             ;   in Loop: Header=BB195_4 Depth=1
	s_or_b32 exec_lo, exec_lo, s2
	s_and_saveexec_b32 s11, s1
	s_cbranch_execz .LBB195_3
	s_branch .LBB195_17
.LBB195_15:                             ;   in Loop: Header=BB195_4 Depth=1
	ds_load_b32 v2, v1
	s_or_b32 exec_lo, exec_lo, s2
	s_and_saveexec_b32 s2, vcc_lo
	s_cbranch_execz .LBB195_14
.LBB195_16:                             ;   in Loop: Header=BB195_4 Depth=1
	s_wait_dscnt 0x0
	ds_bpermute_b32 v3, v6, v2
	s_wait_dscnt 0x0
	v_add_f32_e32 v2, v2, v3
	ds_bpermute_b32 v3, v7, v2
	s_wait_dscnt 0x0
	v_add_f32_e32 v2, v2, v3
	;; [unrolled: 3-line block ×5, first 2 shown]
	s_or_b32 exec_lo, exec_lo, s2
	s_and_saveexec_b32 s11, s1
	s_cbranch_execz .LBB195_3
.LBB195_17:                             ;   in Loop: Header=BB195_4 Depth=1
	s_wait_dscnt 0x0
	v_and_b32_e32 v3, 0x7f800000, v2
	s_delay_alu instid0(VALU_DEP_1) | instskip(SKIP_1) | instid1(SALU_CYCLE_1)
	v_cmp_ne_u32_e64 s2, 0x7f800000, v3
                                        ; implicit-def: $vgpr3
	s_and_saveexec_b32 s27, s2
	s_xor_b32 s2, exec_lo, s27
; %bb.18:                               ;   in Loop: Header=BB195_4 Depth=1
	v_bfe_u32 v3, v2, 16, 1
	s_delay_alu instid0(VALU_DEP_1)
	v_add3_u32 v3, v2, v3, 0x7fff
                                        ; implicit-def: $vgpr2
; %bb.19:                               ;   in Loop: Header=BB195_4 Depth=1
	s_and_not1_saveexec_b32 s27, s2
	s_cbranch_execz .LBB195_2
; %bb.20:                               ;   in Loop: Header=BB195_4 Depth=1
	v_and_b32_e32 v3, 0xffff, v2
	v_or_b32_e32 v4, 0x10000, v2
	s_delay_alu instid0(VALU_DEP_2) | instskip(NEXT) | instid1(VALU_DEP_1)
	v_cmp_eq_u32_e64 s2, 0, v3
	v_cndmask_b32_e64 v3, v4, v2, s2
	s_branch .LBB195_2
.LBB195_21:
	s_endpgm
	.section	.rodata,"a",@progbits
	.p2align	6, 0x0
	.amdhsa_kernel _ZL18rocblas_dot_kernelIiLb1ELi1024ELi32ELb1E16rocblas_bfloat16PKS0_fEviT5_lT_lS3_lS4_liPT6_PT4_
		.amdhsa_group_segment_fixed_size 128
		.amdhsa_private_segment_fixed_size 0
		.amdhsa_kernarg_size 352
		.amdhsa_user_sgpr_count 2
		.amdhsa_user_sgpr_dispatch_ptr 0
		.amdhsa_user_sgpr_queue_ptr 0
		.amdhsa_user_sgpr_kernarg_segment_ptr 1
		.amdhsa_user_sgpr_dispatch_id 0
		.amdhsa_user_sgpr_kernarg_preload_length 0
		.amdhsa_user_sgpr_kernarg_preload_offset 0
		.amdhsa_user_sgpr_private_segment_size 0
		.amdhsa_wavefront_size32 1
		.amdhsa_uses_dynamic_stack 0
		.amdhsa_enable_private_segment 0
		.amdhsa_system_sgpr_workgroup_id_x 1
		.amdhsa_system_sgpr_workgroup_id_y 0
		.amdhsa_system_sgpr_workgroup_id_z 1
		.amdhsa_system_sgpr_workgroup_info 0
		.amdhsa_system_vgpr_workitem_id 0
		.amdhsa_next_free_vgpr 16
		.amdhsa_next_free_sgpr 32
		.amdhsa_named_barrier_count 0
		.amdhsa_reserve_vcc 1
		.amdhsa_float_round_mode_32 0
		.amdhsa_float_round_mode_16_64 0
		.amdhsa_float_denorm_mode_32 3
		.amdhsa_float_denorm_mode_16_64 3
		.amdhsa_fp16_overflow 0
		.amdhsa_memory_ordered 1
		.amdhsa_forward_progress 1
		.amdhsa_inst_pref_size 9
		.amdhsa_round_robin_scheduling 0
		.amdhsa_exception_fp_ieee_invalid_op 0
		.amdhsa_exception_fp_denorm_src 0
		.amdhsa_exception_fp_ieee_div_zero 0
		.amdhsa_exception_fp_ieee_overflow 0
		.amdhsa_exception_fp_ieee_underflow 0
		.amdhsa_exception_fp_ieee_inexact 0
		.amdhsa_exception_int_div_zero 0
	.end_amdhsa_kernel
	.section	.text._ZL18rocblas_dot_kernelIiLb1ELi1024ELi32ELb1E16rocblas_bfloat16PKS0_fEviT5_lT_lS3_lS4_liPT6_PT4_,"axG",@progbits,_ZL18rocblas_dot_kernelIiLb1ELi1024ELi32ELb1E16rocblas_bfloat16PKS0_fEviT5_lT_lS3_lS4_liPT6_PT4_,comdat
.Lfunc_end195:
	.size	_ZL18rocblas_dot_kernelIiLb1ELi1024ELi32ELb1E16rocblas_bfloat16PKS0_fEviT5_lT_lS3_lS4_liPT6_PT4_, .Lfunc_end195-_ZL18rocblas_dot_kernelIiLb1ELi1024ELi32ELb1E16rocblas_bfloat16PKS0_fEviT5_lT_lS3_lS4_liPT6_PT4_
                                        ; -- End function
	.set _ZL18rocblas_dot_kernelIiLb1ELi1024ELi32ELb1E16rocblas_bfloat16PKS0_fEviT5_lT_lS3_lS4_liPT6_PT4_.num_vgpr, 16
	.set _ZL18rocblas_dot_kernelIiLb1ELi1024ELi32ELb1E16rocblas_bfloat16PKS0_fEviT5_lT_lS3_lS4_liPT6_PT4_.num_agpr, 0
	.set _ZL18rocblas_dot_kernelIiLb1ELi1024ELi32ELb1E16rocblas_bfloat16PKS0_fEviT5_lT_lS3_lS4_liPT6_PT4_.numbered_sgpr, 32
	.set _ZL18rocblas_dot_kernelIiLb1ELi1024ELi32ELb1E16rocblas_bfloat16PKS0_fEviT5_lT_lS3_lS4_liPT6_PT4_.num_named_barrier, 0
	.set _ZL18rocblas_dot_kernelIiLb1ELi1024ELi32ELb1E16rocblas_bfloat16PKS0_fEviT5_lT_lS3_lS4_liPT6_PT4_.private_seg_size, 0
	.set _ZL18rocblas_dot_kernelIiLb1ELi1024ELi32ELb1E16rocblas_bfloat16PKS0_fEviT5_lT_lS3_lS4_liPT6_PT4_.uses_vcc, 1
	.set _ZL18rocblas_dot_kernelIiLb1ELi1024ELi32ELb1E16rocblas_bfloat16PKS0_fEviT5_lT_lS3_lS4_liPT6_PT4_.uses_flat_scratch, 0
	.set _ZL18rocblas_dot_kernelIiLb1ELi1024ELi32ELb1E16rocblas_bfloat16PKS0_fEviT5_lT_lS3_lS4_liPT6_PT4_.has_dyn_sized_stack, 0
	.set _ZL18rocblas_dot_kernelIiLb1ELi1024ELi32ELb1E16rocblas_bfloat16PKS0_fEviT5_lT_lS3_lS4_liPT6_PT4_.has_recursion, 0
	.set _ZL18rocblas_dot_kernelIiLb1ELi1024ELi32ELb1E16rocblas_bfloat16PKS0_fEviT5_lT_lS3_lS4_liPT6_PT4_.has_indirect_call, 0
	.section	.AMDGPU.csdata,"",@progbits
; Kernel info:
; codeLenInByte = 1060
; TotalNumSgprs: 34
; NumVgprs: 16
; ScratchSize: 0
; MemoryBound: 0
; FloatMode: 240
; IeeeMode: 1
; LDSByteSize: 128 bytes/workgroup (compile time only)
; SGPRBlocks: 0
; VGPRBlocks: 0
; NumSGPRsForWavesPerEU: 34
; NumVGPRsForWavesPerEU: 16
; NamedBarCnt: 0
; Occupancy: 16
; WaveLimiterHint : 0
; COMPUTE_PGM_RSRC2:SCRATCH_EN: 0
; COMPUTE_PGM_RSRC2:USER_SGPR: 2
; COMPUTE_PGM_RSRC2:TRAP_HANDLER: 0
; COMPUTE_PGM_RSRC2:TGID_X_EN: 1
; COMPUTE_PGM_RSRC2:TGID_Y_EN: 0
; COMPUTE_PGM_RSRC2:TGID_Z_EN: 1
; COMPUTE_PGM_RSRC2:TIDIG_COMP_CNT: 0
	.section	.text._ZL24rocblas_dot_kernel_magsqIiLb1ELi1024ELi32ELb1E16rocblas_bfloat16PKS0_fEviT5_lT_liPT6_PT4_,"axG",@progbits,_ZL24rocblas_dot_kernel_magsqIiLb1ELi1024ELi32ELb1E16rocblas_bfloat16PKS0_fEviT5_lT_liPT6_PT4_,comdat
	.globl	_ZL24rocblas_dot_kernel_magsqIiLb1ELi1024ELi32ELb1E16rocblas_bfloat16PKS0_fEviT5_lT_liPT6_PT4_ ; -- Begin function _ZL24rocblas_dot_kernel_magsqIiLb1ELi1024ELi32ELb1E16rocblas_bfloat16PKS0_fEviT5_lT_liPT6_PT4_
	.p2align	8
	.type	_ZL24rocblas_dot_kernel_magsqIiLb1ELi1024ELi32ELb1E16rocblas_bfloat16PKS0_fEviT5_lT_liPT6_PT4_,@function
_ZL24rocblas_dot_kernel_magsqIiLb1ELi1024ELi32ELb1E16rocblas_bfloat16PKS0_fEviT5_lT_liPT6_PT4_: ; @_ZL24rocblas_dot_kernel_magsqIiLb1ELi1024ELi32ELb1E16rocblas_bfloat16PKS0_fEviT5_lT_liPT6_PT4_
; %bb.0:
	s_load_b32 s3, s[0:1], 0x28
	s_bfe_u32 s2, ttmp6, 0x40014
	s_lshr_b32 s4, ttmp7, 16
	s_add_co_i32 s2, s2, 1
	s_bfe_u32 s5, ttmp6, 0x40008
	s_mul_i32 s2, s4, s2
	s_getreg_b32 s6, hwreg(HW_REG_IB_STS2, 6, 4)
	s_add_co_i32 s5, s5, s2
	s_cmp_eq_u32 s6, 0
	s_mov_b32 s9, 0
	s_cselect_b32 s8, s4, s5
	s_wait_kmcnt 0x0
	s_cmp_ge_u32 s8, s3
	s_cbranch_scc1 .LBB196_21
; %bb.1:
	v_mbcnt_lo_u32_b32 v3, -1, 0
	s_clause 0x4
	s_load_b32 s16, s[0:1], 0x18
	s_load_b96 s[4:6], s[0:1], 0x38
	s_load_b128 s[12:15], s[0:1], 0x8
	s_load_b64 s[20:21], s[0:1], 0x20
	s_load_b32 s18, s[0:1], 0x0
	v_dual_lshrrev_b32 v9, 3, v0 :: v_dual_bitop2_b32 v2, 31, v0 bitop3:0x40
	s_wait_xcnt 0x0
	v_cmp_gt_u32_e64 s0, 24, v3
	v_lshl_or_b32 v4, v3, 2, 64
	v_cmp_eq_u32_e64 s1, 0, v0
	v_mov_b32_e32 v10, 0
	v_and_b32_e32 v9, 0x7c, v9
	v_cndmask_b32_e64 v5, 0, 8, s0
	v_cmp_gt_u32_e64 s0, 28, v3
	v_cmp_gt_u32_e32 vcc_lo, 32, v0
	s_delay_alu instid0(VALU_DEP_3) | instskip(NEXT) | instid1(VALU_DEP_3)
	v_add_lshl_u32 v5, v5, v3, 2
	v_cndmask_b32_e64 v6, 0, 4, s0
	v_cmp_gt_u32_e64 s0, 30, v3
	s_wait_kmcnt 0x0
	s_lshl_b64 s[10:11], s[14:15], 1
	s_lshl_b32 s6, s6, 10
	v_cndmask_b32_e64 v7, 0, 2, s0
	v_cmp_ne_u32_e64 s0, 31, v3
	s_ashr_i32 s17, s16, 31
	s_ashr_i32 s7, s6, 31
	v_add_lshl_u32 v6, v6, v3, 2
	v_add_lshl_u32 v7, v7, v3, 2
	v_add_co_ci_u32_e64 v8, null, 0, v3, s0
	v_lshlrev_b32_e32 v1, 2, v2
	v_cmp_eq_u32_e64 s0, 0, v2
	s_add_nc_u64 s[10:11], s[12:13], s[10:11]
	v_lshlrev_b32_e32 v8, 2, v8
	s_lshl_b64 s[12:13], s[16:17], 1
	s_mul_u64 s[16:17], s[16:17], s[6:7]
	s_lshl_b64 s[14:15], s[20:21], 1
	s_lshl_b64 s[16:17], s[16:17], 1
	s_branch .LBB196_4
.LBB196_2:                              ;   in Loop: Header=BB196_4 Depth=1
	s_or_b32 exec_lo, exec_lo, s19
	s_lshl_b64 s[20:21], s[8:9], 1
	s_delay_alu instid0(SALU_CYCLE_1)
	s_add_nc_u64 s[20:21], s[4:5], s[20:21]
	global_store_d16_hi_b16 v10, v3, s[20:21]
.LBB196_3:                              ;   in Loop: Header=BB196_4 Depth=1
	s_wait_xcnt 0x0
	s_or_b32 exec_lo, exec_lo, s7
	s_add_co_i32 s8, s8, 0x10000
	s_delay_alu instid0(SALU_CYCLE_1)
	s_cmp_lt_u32 s8, s3
	s_cbranch_scc0 .LBB196_21
.LBB196_4:                              ; =>This Loop Header: Depth=1
                                        ;     Child Loop BB196_6 Depth 2
	v_mov_b32_e32 v11, 0
	s_mov_b32 s7, exec_lo
	v_cmpx_gt_i32_e64 s18, v0
	s_cbranch_execz .LBB196_8
; %bb.5:                                ;   in Loop: Header=BB196_4 Depth=1
	s_mul_u64 s[20:21], s[14:15], s[8:9]
	v_ashrrev_i32_e32 v11, 31, v0
	s_add_nc_u64 s[20:21], s[10:11], s[20:21]
	s_mov_b32 s19, 0
	s_wait_dscnt 0x0
	v_mad_nc_u64_u32 v[2:3], s12, v0, s[20:21]
	s_mov_b32 s20, 0
	s_delay_alu instid0(VALU_DEP_1) | instskip(NEXT) | instid1(VALU_DEP_1)
	v_mad_u32 v3, s13, v0, v3
	v_mad_u32 v3, s12, v11, v3
	v_mov_b32_e32 v11, 0
.LBB196_6:                              ;   Parent Loop BB196_4 Depth=1
                                        ; =>  This Inner Loop Header: Depth=2
	global_load_u16 v12, v[2:3], off
	v_add_nc_u32_e32 v0, s6, v0
	s_add_co_i32 s21, s20, 1
	s_cmp_gt_u32 s20, 30
	s_wait_xcnt 0x0
	v_add_nc_u64_e32 v[2:3], s[16:17], v[2:3]
	s_cselect_b32 s20, -1, 0
	v_cmp_le_i32_e64 s2, s18, v0
	s_or_b32 s2, s20, s2
	s_mov_b32 s20, s21
	s_and_b32 s2, exec_lo, s2
	s_delay_alu instid0(SALU_CYCLE_1)
	s_or_b32 s19, s2, s19
	s_wait_loadcnt 0x0
	v_fma_mix_f32_bf16 v11, v12, v12, v11 op_sel_hi:[1,1,0]
	s_and_not1_b32 exec_lo, exec_lo, s19
	s_cbranch_execnz .LBB196_6
; %bb.7:                                ;   in Loop: Header=BB196_4 Depth=1
	s_or_b32 exec_lo, exec_lo, s19
.LBB196_8:                              ;   in Loop: Header=BB196_4 Depth=1
	s_delay_alu instid0(SALU_CYCLE_1)
	s_or_b32 exec_lo, exec_lo, s7
	s_and_saveexec_b32 s2, vcc_lo
; %bb.9:                                ;   in Loop: Header=BB196_4 Depth=1
	ds_store_b32 v1, v10
; %bb.10:                               ;   in Loop: Header=BB196_4 Depth=1
	s_or_b32 exec_lo, exec_lo, s2
	s_wait_dscnt 0x0
	ds_bpermute_b32 v2, v4, v11
	s_wait_dscnt 0x0
	s_barrier_signal -1
	s_barrier_wait -1
	v_add_f32_e32 v2, v11, v2
	ds_bpermute_b32 v3, v5, v2
	s_wait_dscnt 0x0
	v_add_f32_e32 v2, v2, v3
	ds_bpermute_b32 v3, v6, v2
	s_wait_dscnt 0x0
	;; [unrolled: 3-line block ×3, first 2 shown]
	v_add_f32_e32 v2, v2, v3
	ds_bpermute_b32 v3, v8, v2
	s_and_saveexec_b32 s2, s0
	s_cbranch_execz .LBB196_12
; %bb.11:                               ;   in Loop: Header=BB196_4 Depth=1
	s_wait_dscnt 0x0
	v_add_f32_e32 v2, v2, v3
	ds_store_b32 v9, v2
.LBB196_12:                             ;   in Loop: Header=BB196_4 Depth=1
	s_or_b32 exec_lo, exec_lo, s2
	v_mov_b32_e32 v2, 0
	s_wait_dscnt 0x0
	s_barrier_signal -1
	s_barrier_wait -1
	s_and_saveexec_b32 s2, vcc_lo
	s_cbranch_execnz .LBB196_15
; %bb.13:                               ;   in Loop: Header=BB196_4 Depth=1
	s_or_b32 exec_lo, exec_lo, s2
	s_and_saveexec_b32 s2, vcc_lo
	s_cbranch_execnz .LBB196_16
.LBB196_14:                             ;   in Loop: Header=BB196_4 Depth=1
	s_or_b32 exec_lo, exec_lo, s2
	s_and_saveexec_b32 s7, s1
	s_cbranch_execz .LBB196_3
	s_branch .LBB196_17
.LBB196_15:                             ;   in Loop: Header=BB196_4 Depth=1
	ds_load_b32 v2, v1
	s_or_b32 exec_lo, exec_lo, s2
	s_and_saveexec_b32 s2, vcc_lo
	s_cbranch_execz .LBB196_14
.LBB196_16:                             ;   in Loop: Header=BB196_4 Depth=1
	s_wait_dscnt 0x0
	ds_bpermute_b32 v3, v4, v2
	s_wait_dscnt 0x0
	v_add_f32_e32 v2, v2, v3
	ds_bpermute_b32 v3, v5, v2
	s_wait_dscnt 0x0
	v_add_f32_e32 v2, v2, v3
	;; [unrolled: 3-line block ×5, first 2 shown]
	s_or_b32 exec_lo, exec_lo, s2
	s_and_saveexec_b32 s7, s1
	s_cbranch_execz .LBB196_3
.LBB196_17:                             ;   in Loop: Header=BB196_4 Depth=1
	s_wait_dscnt 0x0
	v_and_b32_e32 v3, 0x7f800000, v2
	s_delay_alu instid0(VALU_DEP_1) | instskip(SKIP_1) | instid1(SALU_CYCLE_1)
	v_cmp_ne_u32_e64 s2, 0x7f800000, v3
                                        ; implicit-def: $vgpr3
	s_and_saveexec_b32 s19, s2
	s_xor_b32 s2, exec_lo, s19
; %bb.18:                               ;   in Loop: Header=BB196_4 Depth=1
	v_bfe_u32 v3, v2, 16, 1
	s_delay_alu instid0(VALU_DEP_1)
	v_add3_u32 v3, v2, v3, 0x7fff
                                        ; implicit-def: $vgpr2
; %bb.19:                               ;   in Loop: Header=BB196_4 Depth=1
	s_and_not1_saveexec_b32 s19, s2
	s_cbranch_execz .LBB196_2
; %bb.20:                               ;   in Loop: Header=BB196_4 Depth=1
	v_and_b32_e32 v3, 0xffff, v2
	v_or_b32_e32 v11, 0x10000, v2
	s_delay_alu instid0(VALU_DEP_2) | instskip(NEXT) | instid1(VALU_DEP_1)
	v_cmp_eq_u32_e64 s2, 0, v3
	v_cndmask_b32_e64 v3, v11, v2, s2
	s_branch .LBB196_2
.LBB196_21:
	s_endpgm
	.section	.rodata,"a",@progbits
	.p2align	6, 0x0
	.amdhsa_kernel _ZL24rocblas_dot_kernel_magsqIiLb1ELi1024ELi32ELb1E16rocblas_bfloat16PKS0_fEviT5_lT_liPT6_PT4_
		.amdhsa_group_segment_fixed_size 128
		.amdhsa_private_segment_fixed_size 0
		.amdhsa_kernarg_size 320
		.amdhsa_user_sgpr_count 2
		.amdhsa_user_sgpr_dispatch_ptr 0
		.amdhsa_user_sgpr_queue_ptr 0
		.amdhsa_user_sgpr_kernarg_segment_ptr 1
		.amdhsa_user_sgpr_dispatch_id 0
		.amdhsa_user_sgpr_kernarg_preload_length 0
		.amdhsa_user_sgpr_kernarg_preload_offset 0
		.amdhsa_user_sgpr_private_segment_size 0
		.amdhsa_wavefront_size32 1
		.amdhsa_uses_dynamic_stack 0
		.amdhsa_enable_private_segment 0
		.amdhsa_system_sgpr_workgroup_id_x 1
		.amdhsa_system_sgpr_workgroup_id_y 0
		.amdhsa_system_sgpr_workgroup_id_z 1
		.amdhsa_system_sgpr_workgroup_info 0
		.amdhsa_system_vgpr_workitem_id 0
		.amdhsa_next_free_vgpr 13
		.amdhsa_next_free_sgpr 22
		.amdhsa_named_barrier_count 0
		.amdhsa_reserve_vcc 1
		.amdhsa_float_round_mode_32 0
		.amdhsa_float_round_mode_16_64 0
		.amdhsa_float_denorm_mode_32 3
		.amdhsa_float_denorm_mode_16_64 3
		.amdhsa_fp16_overflow 0
		.amdhsa_memory_ordered 1
		.amdhsa_forward_progress 1
		.amdhsa_inst_pref_size 8
		.amdhsa_round_robin_scheduling 0
		.amdhsa_exception_fp_ieee_invalid_op 0
		.amdhsa_exception_fp_denorm_src 0
		.amdhsa_exception_fp_ieee_div_zero 0
		.amdhsa_exception_fp_ieee_overflow 0
		.amdhsa_exception_fp_ieee_underflow 0
		.amdhsa_exception_fp_ieee_inexact 0
		.amdhsa_exception_int_div_zero 0
	.end_amdhsa_kernel
	.section	.text._ZL24rocblas_dot_kernel_magsqIiLb1ELi1024ELi32ELb1E16rocblas_bfloat16PKS0_fEviT5_lT_liPT6_PT4_,"axG",@progbits,_ZL24rocblas_dot_kernel_magsqIiLb1ELi1024ELi32ELb1E16rocblas_bfloat16PKS0_fEviT5_lT_liPT6_PT4_,comdat
.Lfunc_end196:
	.size	_ZL24rocblas_dot_kernel_magsqIiLb1ELi1024ELi32ELb1E16rocblas_bfloat16PKS0_fEviT5_lT_liPT6_PT4_, .Lfunc_end196-_ZL24rocblas_dot_kernel_magsqIiLb1ELi1024ELi32ELb1E16rocblas_bfloat16PKS0_fEviT5_lT_liPT6_PT4_
                                        ; -- End function
	.set _ZL24rocblas_dot_kernel_magsqIiLb1ELi1024ELi32ELb1E16rocblas_bfloat16PKS0_fEviT5_lT_liPT6_PT4_.num_vgpr, 13
	.set _ZL24rocblas_dot_kernel_magsqIiLb1ELi1024ELi32ELb1E16rocblas_bfloat16PKS0_fEviT5_lT_liPT6_PT4_.num_agpr, 0
	.set _ZL24rocblas_dot_kernel_magsqIiLb1ELi1024ELi32ELb1E16rocblas_bfloat16PKS0_fEviT5_lT_liPT6_PT4_.numbered_sgpr, 22
	.set _ZL24rocblas_dot_kernel_magsqIiLb1ELi1024ELi32ELb1E16rocblas_bfloat16PKS0_fEviT5_lT_liPT6_PT4_.num_named_barrier, 0
	.set _ZL24rocblas_dot_kernel_magsqIiLb1ELi1024ELi32ELb1E16rocblas_bfloat16PKS0_fEviT5_lT_liPT6_PT4_.private_seg_size, 0
	.set _ZL24rocblas_dot_kernel_magsqIiLb1ELi1024ELi32ELb1E16rocblas_bfloat16PKS0_fEviT5_lT_liPT6_PT4_.uses_vcc, 1
	.set _ZL24rocblas_dot_kernel_magsqIiLb1ELi1024ELi32ELb1E16rocblas_bfloat16PKS0_fEviT5_lT_liPT6_PT4_.uses_flat_scratch, 0
	.set _ZL24rocblas_dot_kernel_magsqIiLb1ELi1024ELi32ELb1E16rocblas_bfloat16PKS0_fEviT5_lT_liPT6_PT4_.has_dyn_sized_stack, 0
	.set _ZL24rocblas_dot_kernel_magsqIiLb1ELi1024ELi32ELb1E16rocblas_bfloat16PKS0_fEviT5_lT_liPT6_PT4_.has_recursion, 0
	.set _ZL24rocblas_dot_kernel_magsqIiLb1ELi1024ELi32ELb1E16rocblas_bfloat16PKS0_fEviT5_lT_liPT6_PT4_.has_indirect_call, 0
	.section	.AMDGPU.csdata,"",@progbits
; Kernel info:
; codeLenInByte = 956
; TotalNumSgprs: 24
; NumVgprs: 13
; ScratchSize: 0
; MemoryBound: 0
; FloatMode: 240
; IeeeMode: 1
; LDSByteSize: 128 bytes/workgroup (compile time only)
; SGPRBlocks: 0
; VGPRBlocks: 0
; NumSGPRsForWavesPerEU: 24
; NumVGPRsForWavesPerEU: 13
; NamedBarCnt: 0
; Occupancy: 16
; WaveLimiterHint : 0
; COMPUTE_PGM_RSRC2:SCRATCH_EN: 0
; COMPUTE_PGM_RSRC2:USER_SGPR: 2
; COMPUTE_PGM_RSRC2:TRAP_HANDLER: 0
; COMPUTE_PGM_RSRC2:TGID_X_EN: 1
; COMPUTE_PGM_RSRC2:TGID_Y_EN: 0
; COMPUTE_PGM_RSRC2:TGID_Z_EN: 1
; COMPUTE_PGM_RSRC2:TIDIG_COMP_CNT: 0
	.section	.text._ZL38rocblas_dot_kernel_gfx942_float_doubleIiLi1024E16rocblas_bfloat16PKS0_fEviT2_lT_lS3_lS4_lPT3_PT1_,"axG",@progbits,_ZL38rocblas_dot_kernel_gfx942_float_doubleIiLi1024E16rocblas_bfloat16PKS0_fEviT2_lT_lS3_lS4_lPT3_PT1_,comdat
	.globl	_ZL38rocblas_dot_kernel_gfx942_float_doubleIiLi1024E16rocblas_bfloat16PKS0_fEviT2_lT_lS3_lS4_lPT3_PT1_ ; -- Begin function _ZL38rocblas_dot_kernel_gfx942_float_doubleIiLi1024E16rocblas_bfloat16PKS0_fEviT2_lT_lS3_lS4_lPT3_PT1_
	.p2align	8
	.type	_ZL38rocblas_dot_kernel_gfx942_float_doubleIiLi1024E16rocblas_bfloat16PKS0_fEviT2_lT_lS3_lS4_lPT3_PT1_,@function
_ZL38rocblas_dot_kernel_gfx942_float_doubleIiLi1024E16rocblas_bfloat16PKS0_fEviT2_lT_lS3_lS4_lPT3_PT1_: ; @_ZL38rocblas_dot_kernel_gfx942_float_doubleIiLi1024E16rocblas_bfloat16PKS0_fEviT2_lT_lS3_lS4_lPT3_PT1_
; %bb.0:
	s_endpgm
	.section	.rodata,"a",@progbits
	.p2align	6, 0x0
	.amdhsa_kernel _ZL38rocblas_dot_kernel_gfx942_float_doubleIiLi1024E16rocblas_bfloat16PKS0_fEviT2_lT_lS3_lS4_lPT3_PT1_
		.amdhsa_group_segment_fixed_size 0
		.amdhsa_private_segment_fixed_size 0
		.amdhsa_kernarg_size 88
		.amdhsa_user_sgpr_count 2
		.amdhsa_user_sgpr_dispatch_ptr 0
		.amdhsa_user_sgpr_queue_ptr 0
		.amdhsa_user_sgpr_kernarg_segment_ptr 1
		.amdhsa_user_sgpr_dispatch_id 0
		.amdhsa_user_sgpr_kernarg_preload_length 0
		.amdhsa_user_sgpr_kernarg_preload_offset 0
		.amdhsa_user_sgpr_private_segment_size 0
		.amdhsa_wavefront_size32 1
		.amdhsa_uses_dynamic_stack 0
		.amdhsa_enable_private_segment 0
		.amdhsa_system_sgpr_workgroup_id_x 1
		.amdhsa_system_sgpr_workgroup_id_y 0
		.amdhsa_system_sgpr_workgroup_id_z 0
		.amdhsa_system_sgpr_workgroup_info 0
		.amdhsa_system_vgpr_workitem_id 0
		.amdhsa_next_free_vgpr 1
		.amdhsa_next_free_sgpr 1
		.amdhsa_named_barrier_count 0
		.amdhsa_reserve_vcc 0
		.amdhsa_float_round_mode_32 0
		.amdhsa_float_round_mode_16_64 0
		.amdhsa_float_denorm_mode_32 3
		.amdhsa_float_denorm_mode_16_64 3
		.amdhsa_fp16_overflow 0
		.amdhsa_memory_ordered 1
		.amdhsa_forward_progress 1
		.amdhsa_inst_pref_size 1
		.amdhsa_round_robin_scheduling 0
		.amdhsa_exception_fp_ieee_invalid_op 0
		.amdhsa_exception_fp_denorm_src 0
		.amdhsa_exception_fp_ieee_div_zero 0
		.amdhsa_exception_fp_ieee_overflow 0
		.amdhsa_exception_fp_ieee_underflow 0
		.amdhsa_exception_fp_ieee_inexact 0
		.amdhsa_exception_int_div_zero 0
	.end_amdhsa_kernel
	.section	.text._ZL38rocblas_dot_kernel_gfx942_float_doubleIiLi1024E16rocblas_bfloat16PKS0_fEviT2_lT_lS3_lS4_lPT3_PT1_,"axG",@progbits,_ZL38rocblas_dot_kernel_gfx942_float_doubleIiLi1024E16rocblas_bfloat16PKS0_fEviT2_lT_lS3_lS4_lPT3_PT1_,comdat
.Lfunc_end197:
	.size	_ZL38rocblas_dot_kernel_gfx942_float_doubleIiLi1024E16rocblas_bfloat16PKS0_fEviT2_lT_lS3_lS4_lPT3_PT1_, .Lfunc_end197-_ZL38rocblas_dot_kernel_gfx942_float_doubleIiLi1024E16rocblas_bfloat16PKS0_fEviT2_lT_lS3_lS4_lPT3_PT1_
                                        ; -- End function
	.set _ZL38rocblas_dot_kernel_gfx942_float_doubleIiLi1024E16rocblas_bfloat16PKS0_fEviT2_lT_lS3_lS4_lPT3_PT1_.num_vgpr, 0
	.set _ZL38rocblas_dot_kernel_gfx942_float_doubleIiLi1024E16rocblas_bfloat16PKS0_fEviT2_lT_lS3_lS4_lPT3_PT1_.num_agpr, 0
	.set _ZL38rocblas_dot_kernel_gfx942_float_doubleIiLi1024E16rocblas_bfloat16PKS0_fEviT2_lT_lS3_lS4_lPT3_PT1_.numbered_sgpr, 0
	.set _ZL38rocblas_dot_kernel_gfx942_float_doubleIiLi1024E16rocblas_bfloat16PKS0_fEviT2_lT_lS3_lS4_lPT3_PT1_.num_named_barrier, 0
	.set _ZL38rocblas_dot_kernel_gfx942_float_doubleIiLi1024E16rocblas_bfloat16PKS0_fEviT2_lT_lS3_lS4_lPT3_PT1_.private_seg_size, 0
	.set _ZL38rocblas_dot_kernel_gfx942_float_doubleIiLi1024E16rocblas_bfloat16PKS0_fEviT2_lT_lS3_lS4_lPT3_PT1_.uses_vcc, 0
	.set _ZL38rocblas_dot_kernel_gfx942_float_doubleIiLi1024E16rocblas_bfloat16PKS0_fEviT2_lT_lS3_lS4_lPT3_PT1_.uses_flat_scratch, 0
	.set _ZL38rocblas_dot_kernel_gfx942_float_doubleIiLi1024E16rocblas_bfloat16PKS0_fEviT2_lT_lS3_lS4_lPT3_PT1_.has_dyn_sized_stack, 0
	.set _ZL38rocblas_dot_kernel_gfx942_float_doubleIiLi1024E16rocblas_bfloat16PKS0_fEviT2_lT_lS3_lS4_lPT3_PT1_.has_recursion, 0
	.set _ZL38rocblas_dot_kernel_gfx942_float_doubleIiLi1024E16rocblas_bfloat16PKS0_fEviT2_lT_lS3_lS4_lPT3_PT1_.has_indirect_call, 0
	.section	.AMDGPU.csdata,"",@progbits
; Kernel info:
; codeLenInByte = 4
; TotalNumSgprs: 0
; NumVgprs: 0
; ScratchSize: 0
; MemoryBound: 0
; FloatMode: 240
; IeeeMode: 1
; LDSByteSize: 0 bytes/workgroup (compile time only)
; SGPRBlocks: 0
; VGPRBlocks: 0
; NumSGPRsForWavesPerEU: 1
; NumVGPRsForWavesPerEU: 1
; NamedBarCnt: 0
; Occupancy: 16
; WaveLimiterHint : 0
; COMPUTE_PGM_RSRC2:SCRATCH_EN: 0
; COMPUTE_PGM_RSRC2:USER_SGPR: 2
; COMPUTE_PGM_RSRC2:TRAP_HANDLER: 0
; COMPUTE_PGM_RSRC2:TGID_X_EN: 1
; COMPUTE_PGM_RSRC2:TGID_Y_EN: 0
; COMPUTE_PGM_RSRC2:TGID_Z_EN: 0
; COMPUTE_PGM_RSRC2:TIDIG_COMP_CNT: 0
	.section	.text._ZL30rocblas_reduction_kernel_part2ILi1024ELi4E25rocblas_finalize_identityf16rocblas_bfloat16EviPT2_PT3_,"axG",@progbits,_ZL30rocblas_reduction_kernel_part2ILi1024ELi4E25rocblas_finalize_identityf16rocblas_bfloat16EviPT2_PT3_,comdat
	.globl	_ZL30rocblas_reduction_kernel_part2ILi1024ELi4E25rocblas_finalize_identityf16rocblas_bfloat16EviPT2_PT3_ ; -- Begin function _ZL30rocblas_reduction_kernel_part2ILi1024ELi4E25rocblas_finalize_identityf16rocblas_bfloat16EviPT2_PT3_
	.p2align	8
	.type	_ZL30rocblas_reduction_kernel_part2ILi1024ELi4E25rocblas_finalize_identityf16rocblas_bfloat16EviPT2_PT3_,@function
_ZL30rocblas_reduction_kernel_part2ILi1024ELi4E25rocblas_finalize_identityf16rocblas_bfloat16EviPT2_PT3_: ; @_ZL30rocblas_reduction_kernel_part2ILi1024ELi4E25rocblas_finalize_identityf16rocblas_bfloat16EviPT2_PT3_
; %bb.0:
	s_clause 0x1
	s_load_b32 s6, s[0:1], 0x0
	s_load_b64 s[8:9], s[0:1], 0x8
	s_bfe_u32 s2, ttmp6, 0x4000c
	s_and_b32 s3, ttmp6, 15
	s_add_co_i32 s2, s2, 1
	s_getreg_b32 s4, hwreg(HW_REG_IB_STS2, 6, 4)
	s_mul_i32 s2, ttmp9, s2
	v_dual_lshlrev_b32 v1, 2, v0 :: v_dual_mov_b32 v3, 0
	s_add_co_i32 s3, s3, s2
	s_wait_kmcnt 0x0
	s_ashr_i32 s7, s6, 31
	s_cmp_eq_u32 s4, 0
	s_mov_b32 s4, exec_lo
	s_cselect_b32 s2, ttmp9, s3
	s_lshr_b32 s3, s7, 30
	s_delay_alu instid0(SALU_CYCLE_1) | instskip(NEXT) | instid1(SALU_CYCLE_1)
	s_add_co_i32 s3, s6, s3
	s_and_b32 s12, s3, -4
	s_mov_b32 s3, 0
	s_delay_alu instid0(SALU_CYCLE_1)
	s_mul_u64 s[10:11], s[6:7], s[2:3]
	v_cmpx_gt_i32_e64 s12, v1
	s_cbranch_execz .LBB198_4
; %bb.1:
	v_dual_mov_b32 v3, 0 :: v_dual_lshlrev_b32 v2, 4, v0
	s_lshl_b64 s[14:15], s[10:11], 2
	s_mov_b32 s5, s3
	s_add_nc_u64 s[14:15], s[8:9], s[14:15]
	s_delay_alu instid0(VALU_DEP_1) | instid1(SALU_CYCLE_1)
	v_add_nc_u64_e32 v[4:5], s[14:15], v[2:3]
	s_delay_alu instid0(VALU_DEP_1)
	v_add_nc_u64_e32 v[4:5], 8, v[4:5]
.LBB198_2:                              ; =>This Inner Loop Header: Depth=1
	global_load_b128 v[6:9], v[4:5], off offset:-8
	s_wait_xcnt 0x0
	v_add_nc_u64_e32 v[4:5], 0x4000, v[4:5]
	v_add_nc_u32_e32 v1, 0x1000, v1
	s_delay_alu instid0(VALU_DEP_1) | instskip(SKIP_3) | instid1(VALU_DEP_1)
	v_cmp_le_i32_e32 vcc_lo, s12, v1
	s_or_b32 s5, vcc_lo, s5
	s_wait_loadcnt 0x0
	v_add_f32_e32 v2, v3, v6
	v_add_f32_e32 v2, v2, v7
	s_delay_alu instid0(VALU_DEP_1) | instskip(NEXT) | instid1(VALU_DEP_1)
	v_add_f32_e32 v2, v2, v8
	v_add_f32_e32 v3, v2, v9
	s_and_not1_b32 exec_lo, exec_lo, s5
	s_cbranch_execnz .LBB198_2
; %bb.3:
	s_or_b32 exec_lo, exec_lo, s5
.LBB198_4:
	s_delay_alu instid0(SALU_CYCLE_1) | instskip(SKIP_3) | instid1(SALU_CYCLE_1)
	s_or_b32 exec_lo, exec_lo, s4
	s_load_b64 s[4:5], s[0:1], 0x10
	s_wait_xcnt 0x0
	s_sub_co_i32 s0, s6, s12
	v_cmp_gt_u32_e32 vcc_lo, s0, v0
	s_and_saveexec_b32 s0, vcc_lo
	s_cbranch_execz .LBB198_6
; %bb.5:
	v_xad_u32 v1, v0, -1, s6
	s_lshl_b64 s[6:7], s[10:11], 2
	s_delay_alu instid0(SALU_CYCLE_1)
	s_add_nc_u64 s[6:7], s[8:9], s[6:7]
	global_load_b32 v1, v1, s[6:7] scale_offset
	s_wait_loadcnt 0x0
	v_add_f32_e32 v3, v3, v1
.LBB198_6:
	s_or_b32 exec_lo, exec_lo, s0
	v_and_b32_e32 v5, 31, v0
	v_cmp_gt_u32_e32 vcc_lo, 32, v0
	s_delay_alu instid0(VALU_DEP_2)
	v_lshlrev_b32_e32 v1, 2, v5
	s_and_saveexec_b32 s0, vcc_lo
; %bb.7:
	v_mov_b32_e32 v2, 0
	ds_store_b32 v1, v2
; %bb.8:
	s_or_b32 exec_lo, exec_lo, s0
	v_mbcnt_lo_u32_b32 v7, -1, 0
	s_mov_b32 s1, exec_lo
	s_wait_dscnt 0x0
	s_barrier_signal -1
	s_barrier_wait -1
	v_lshl_or_b32 v2, v7, 2, 64
	v_cmp_gt_u32_e64 s0, 24, v7
	ds_bpermute_b32 v6, v2, v3
	v_cndmask_b32_e64 v4, 0, 8, s0
	v_cmp_gt_u32_e64 s0, 28, v7
	s_delay_alu instid0(VALU_DEP_2) | instskip(SKIP_2) | instid1(VALU_DEP_3)
	v_add_lshl_u32 v4, v4, v7, 2
	s_wait_dscnt 0x0
	v_add_f32_e32 v6, v3, v6
	v_cndmask_b32_e64 v3, 0, 4, s0
	v_cmp_gt_u32_e64 s0, 30, v7
	ds_bpermute_b32 v8, v4, v6
	v_add_lshl_u32 v3, v3, v7, 2
	s_wait_dscnt 0x0
	v_add_f32_e32 v8, v6, v8
	v_cndmask_b32_e64 v6, 0, 2, s0
	v_cmp_ne_u32_e64 s0, 31, v7
	s_delay_alu instid0(VALU_DEP_2) | instskip(NEXT) | instid1(VALU_DEP_2)
	v_add_lshl_u32 v6, v6, v7, 2
	v_add_co_ci_u32_e64 v7, null, 0, v7, s0
	s_delay_alu instid0(VALU_DEP_1)
	v_lshlrev_b32_e32 v7, 2, v7
	ds_bpermute_b32 v9, v3, v8
	s_wait_dscnt 0x0
	v_add_f32_e32 v8, v8, v9
	ds_bpermute_b32 v9, v6, v8
	s_wait_dscnt 0x0
	v_add_f32_e32 v8, v8, v9
	ds_bpermute_b32 v9, v7, v8
	v_cmpx_eq_u32_e32 0, v5
	s_cbranch_execz .LBB198_10
; %bb.9:
	s_wait_dscnt 0x0
	v_dual_add_f32 v8, v8, v9 :: v_dual_lshrrev_b32 v5, 3, v0
	s_delay_alu instid0(VALU_DEP_1)
	v_and_b32_e32 v5, 0x7c, v5
	ds_store_b32 v5, v8
.LBB198_10:
	s_or_b32 exec_lo, exec_lo, s1
	v_mov_b32_e32 v5, 0
	s_wait_dscnt 0x0
	s_barrier_signal -1
	s_barrier_wait -1
	s_and_saveexec_b32 s0, vcc_lo
; %bb.11:
	ds_load_b32 v5, v1
; %bb.12:
	s_or_b32 exec_lo, exec_lo, s0
	s_and_saveexec_b32 s0, vcc_lo
	s_cbranch_execz .LBB198_14
; %bb.13:
	s_wait_dscnt 0x0
	ds_bpermute_b32 v1, v2, v5
	s_wait_dscnt 0x0
	v_add_f32_e32 v1, v5, v1
	ds_bpermute_b32 v2, v4, v1
	s_wait_dscnt 0x0
	v_add_f32_e32 v1, v1, v2
	;; [unrolled: 3-line block ×5, first 2 shown]
.LBB198_14:
	s_or_b32 exec_lo, exec_lo, s0
	s_delay_alu instid0(SALU_CYCLE_1)
	s_mov_b32 s0, exec_lo
	v_cmpx_eq_u32_e32 0, v0
	s_cbranch_execz .LBB198_20
; %bb.15:
	s_wait_dscnt 0x0
	v_and_b32_e32 v0, 0x7f800000, v5
	s_delay_alu instid0(VALU_DEP_1) | instskip(SKIP_1) | instid1(SALU_CYCLE_1)
	v_cmp_ne_u32_e32 vcc_lo, 0x7f800000, v0
                                        ; implicit-def: $vgpr0
	s_and_saveexec_b32 s0, vcc_lo
	s_xor_b32 s0, exec_lo, s0
; %bb.16:
	v_bfe_u32 v0, v5, 16, 1
	s_delay_alu instid0(VALU_DEP_1)
	v_add3_u32 v0, v5, v0, 0x7fff
                                        ; implicit-def: $vgpr5
; %bb.17:
	s_and_not1_saveexec_b32 s0, s0
; %bb.18:
	v_and_b32_e32 v0, 0xffff, v5
	v_or_b32_e32 v1, 0x10000, v5
	s_delay_alu instid0(VALU_DEP_2) | instskip(NEXT) | instid1(VALU_DEP_2)
	v_cmp_eq_u32_e32 vcc_lo, 0, v0
	v_cndmask_b32_e32 v0, v1, v5, vcc_lo
; %bb.19:
	s_or_b32 exec_lo, exec_lo, s0
	v_mov_b32_e32 v1, 0
	s_lshl_b64 s[0:1], s[2:3], 1
	s_wait_kmcnt 0x0
	s_add_nc_u64 s[0:1], s[4:5], s[0:1]
	global_store_d16_hi_b16 v1, v0, s[0:1]
.LBB198_20:
	s_endpgm
	.section	.rodata,"a",@progbits
	.p2align	6, 0x0
	.amdhsa_kernel _ZL30rocblas_reduction_kernel_part2ILi1024ELi4E25rocblas_finalize_identityf16rocblas_bfloat16EviPT2_PT3_
		.amdhsa_group_segment_fixed_size 128
		.amdhsa_private_segment_fixed_size 0
		.amdhsa_kernarg_size 24
		.amdhsa_user_sgpr_count 2
		.amdhsa_user_sgpr_dispatch_ptr 0
		.amdhsa_user_sgpr_queue_ptr 0
		.amdhsa_user_sgpr_kernarg_segment_ptr 1
		.amdhsa_user_sgpr_dispatch_id 0
		.amdhsa_user_sgpr_kernarg_preload_length 0
		.amdhsa_user_sgpr_kernarg_preload_offset 0
		.amdhsa_user_sgpr_private_segment_size 0
		.amdhsa_wavefront_size32 1
		.amdhsa_uses_dynamic_stack 0
		.amdhsa_enable_private_segment 0
		.amdhsa_system_sgpr_workgroup_id_x 1
		.amdhsa_system_sgpr_workgroup_id_y 0
		.amdhsa_system_sgpr_workgroup_id_z 0
		.amdhsa_system_sgpr_workgroup_info 0
		.amdhsa_system_vgpr_workitem_id 0
		.amdhsa_next_free_vgpr 10
		.amdhsa_next_free_sgpr 16
		.amdhsa_named_barrier_count 0
		.amdhsa_reserve_vcc 1
		.amdhsa_float_round_mode_32 0
		.amdhsa_float_round_mode_16_64 0
		.amdhsa_float_denorm_mode_32 3
		.amdhsa_float_denorm_mode_16_64 3
		.amdhsa_fp16_overflow 0
		.amdhsa_memory_ordered 1
		.amdhsa_forward_progress 1
		.amdhsa_inst_pref_size 7
		.amdhsa_round_robin_scheduling 0
		.amdhsa_exception_fp_ieee_invalid_op 0
		.amdhsa_exception_fp_denorm_src 0
		.amdhsa_exception_fp_ieee_div_zero 0
		.amdhsa_exception_fp_ieee_overflow 0
		.amdhsa_exception_fp_ieee_underflow 0
		.amdhsa_exception_fp_ieee_inexact 0
		.amdhsa_exception_int_div_zero 0
	.end_amdhsa_kernel
	.section	.text._ZL30rocblas_reduction_kernel_part2ILi1024ELi4E25rocblas_finalize_identityf16rocblas_bfloat16EviPT2_PT3_,"axG",@progbits,_ZL30rocblas_reduction_kernel_part2ILi1024ELi4E25rocblas_finalize_identityf16rocblas_bfloat16EviPT2_PT3_,comdat
.Lfunc_end198:
	.size	_ZL30rocblas_reduction_kernel_part2ILi1024ELi4E25rocblas_finalize_identityf16rocblas_bfloat16EviPT2_PT3_, .Lfunc_end198-_ZL30rocblas_reduction_kernel_part2ILi1024ELi4E25rocblas_finalize_identityf16rocblas_bfloat16EviPT2_PT3_
                                        ; -- End function
	.set _ZL30rocblas_reduction_kernel_part2ILi1024ELi4E25rocblas_finalize_identityf16rocblas_bfloat16EviPT2_PT3_.num_vgpr, 10
	.set _ZL30rocblas_reduction_kernel_part2ILi1024ELi4E25rocblas_finalize_identityf16rocblas_bfloat16EviPT2_PT3_.num_agpr, 0
	.set _ZL30rocblas_reduction_kernel_part2ILi1024ELi4E25rocblas_finalize_identityf16rocblas_bfloat16EviPT2_PT3_.numbered_sgpr, 16
	.set _ZL30rocblas_reduction_kernel_part2ILi1024ELi4E25rocblas_finalize_identityf16rocblas_bfloat16EviPT2_PT3_.num_named_barrier, 0
	.set _ZL30rocblas_reduction_kernel_part2ILi1024ELi4E25rocblas_finalize_identityf16rocblas_bfloat16EviPT2_PT3_.private_seg_size, 0
	.set _ZL30rocblas_reduction_kernel_part2ILi1024ELi4E25rocblas_finalize_identityf16rocblas_bfloat16EviPT2_PT3_.uses_vcc, 1
	.set _ZL30rocblas_reduction_kernel_part2ILi1024ELi4E25rocblas_finalize_identityf16rocblas_bfloat16EviPT2_PT3_.uses_flat_scratch, 0
	.set _ZL30rocblas_reduction_kernel_part2ILi1024ELi4E25rocblas_finalize_identityf16rocblas_bfloat16EviPT2_PT3_.has_dyn_sized_stack, 0
	.set _ZL30rocblas_reduction_kernel_part2ILi1024ELi4E25rocblas_finalize_identityf16rocblas_bfloat16EviPT2_PT3_.has_recursion, 0
	.set _ZL30rocblas_reduction_kernel_part2ILi1024ELi4E25rocblas_finalize_identityf16rocblas_bfloat16EviPT2_PT3_.has_indirect_call, 0
	.section	.AMDGPU.csdata,"",@progbits
; Kernel info:
; codeLenInByte = 872
; TotalNumSgprs: 18
; NumVgprs: 10
; ScratchSize: 0
; MemoryBound: 0
; FloatMode: 240
; IeeeMode: 1
; LDSByteSize: 128 bytes/workgroup (compile time only)
; SGPRBlocks: 0
; VGPRBlocks: 0
; NumSGPRsForWavesPerEU: 18
; NumVGPRsForWavesPerEU: 10
; NamedBarCnt: 0
; Occupancy: 16
; WaveLimiterHint : 0
; COMPUTE_PGM_RSRC2:SCRATCH_EN: 0
; COMPUTE_PGM_RSRC2:USER_SGPR: 2
; COMPUTE_PGM_RSRC2:TRAP_HANDLER: 0
; COMPUTE_PGM_RSRC2:TGID_X_EN: 1
; COMPUTE_PGM_RSRC2:TGID_Y_EN: 0
; COMPUTE_PGM_RSRC2:TGID_Z_EN: 0
; COMPUTE_PGM_RSRC2:TIDIG_COMP_CNT: 0
	.section	.text._ZL23rocblas_dot_kernel_inc1ILb0ELi512ELi8ELb1E16rocblas_bfloat16PKS0_fEviT4_llS3_lliPT5_PT3_,"axG",@progbits,_ZL23rocblas_dot_kernel_inc1ILb0ELi512ELi8ELb1E16rocblas_bfloat16PKS0_fEviT4_llS3_lliPT5_PT3_,comdat
	.globl	_ZL23rocblas_dot_kernel_inc1ILb0ELi512ELi8ELb1E16rocblas_bfloat16PKS0_fEviT4_llS3_lliPT5_PT3_ ; -- Begin function _ZL23rocblas_dot_kernel_inc1ILb0ELi512ELi8ELb1E16rocblas_bfloat16PKS0_fEviT4_llS3_lliPT5_PT3_
	.p2align	8
	.type	_ZL23rocblas_dot_kernel_inc1ILb0ELi512ELi8ELb1E16rocblas_bfloat16PKS0_fEviT4_llS3_lliPT5_PT3_,@function
_ZL23rocblas_dot_kernel_inc1ILb0ELi512ELi8ELb1E16rocblas_bfloat16PKS0_fEviT4_llS3_lliPT5_PT3_: ; @_ZL23rocblas_dot_kernel_inc1ILb0ELi512ELi8ELb1E16rocblas_bfloat16PKS0_fEviT4_llS3_lliPT5_PT3_
; %bb.0:
	s_load_b32 s28, s[0:1], 0x38
	s_bfe_u32 s2, ttmp6, 0x40014
	s_lshr_b32 s3, ttmp7, 16
	s_add_co_i32 s2, s2, 1
	s_bfe_u32 s5, ttmp6, 0x40008
	s_mul_i32 s4, s3, s2
	s_getreg_b32 s2, hwreg(HW_REG_IB_STS2, 6, 4)
	s_add_co_i32 s5, s5, s4
	s_cmp_eq_u32 s2, 0
	s_mov_b32 s17, 0
	s_cselect_b32 s16, s3, s5
	s_wait_kmcnt 0x0
	s_cmp_ge_u32 s16, s28
	s_cbranch_scc1 .LBB199_24
; %bb.1:
	v_mbcnt_lo_u32_b32 v3, -1, 0
	s_clause 0x6
	s_load_b32 s18, s[0:1], 0x50
	s_load_b64 s[22:23], s[0:1], 0x8
	s_load_b32 s29, s[0:1], 0x0
	s_load_b64 s[24:25], s[0:1], 0x20
	s_load_b128 s[8:11], s[0:1], 0x10
	s_load_b128 s[4:7], s[0:1], 0x40
	;; [unrolled: 1-line block ×3, first 2 shown]
	s_wait_xcnt 0x0
	s_bfe_u32 s0, ttmp6, 0x4000c
	s_and_b32 s1, ttmp6, 15
	s_add_co_i32 s3, s0, 1
	v_cmp_gt_u32_e32 vcc_lo, 24, v3
	s_mul_i32 s3, ttmp9, s3
	v_dual_lshrrev_b32 v10, 3, v0 :: v_dual_bitop2_b32 v1, 31, v0 bitop3:0x40
	s_add_co_i32 s1, s1, s3
	v_cndmask_b32_e64 v6, 0, 8, vcc_lo
	v_cmp_gt_u32_e32 vcc_lo, 28, v3
	s_cmp_eq_u32 s2, 0
	s_mov_b32 s27, s17
	s_cselect_b32 s26, ttmp9, s1
	s_wait_kmcnt 0x0
	s_cmp_lg_u32 s18, 1
	v_cndmask_b32_e64 v7, 0, 4, vcc_lo
	v_cmp_gt_u32_e32 vcc_lo, 30, v3
	s_cselect_b32 s30, -1, 0
	s_lshl_b32 s20, s18, 9
	v_cmp_gt_u32_e64 s0, 32, v0
	s_lshl_b64 s[12:13], s[12:13], 1
	v_cndmask_b32_e64 v8, 0, 2, vcc_lo
	v_cmp_ne_u32_e32 vcc_lo, 31, v3
	v_dual_lshlrev_b32 v4, 2, v1 :: v_dual_bitop2_b32 v10, 60, v10 bitop3:0x40
	v_lshl_or_b32 v2, s26, 9, v0
	v_lshl_or_b32 v5, v3, 2, 64
	v_add_co_ci_u32_e64 v9, null, 0, v3, vcc_lo
	v_add_lshl_u32 v6, v6, v3, 2
	v_add_lshl_u32 v7, v7, v3, 2
	;; [unrolled: 1-line block ×3, first 2 shown]
	s_delay_alu instid0(VALU_DEP_4)
	v_dual_lshlrev_b32 v9, 2, v9 :: v_dual_mov_b32 v11, 0
	v_cmp_eq_u32_e64 s1, 0, v1
	v_cmp_gt_u32_e64 s2, 16, v0
	v_cmp_eq_u32_e64 s3, 0, v0
	s_lshl_b64 s[26:27], s[26:27], 2
	s_add_nc_u64 s[12:13], s[24:25], s[12:13]
	s_ashr_i32 s21, s20, 31
	s_lshl_b64 s[24:25], s[8:9], 1
	s_mov_b32 s19, s17
	s_add_nc_u64 s[4:5], s[4:5], s[26:27]
	s_lshl_b64 s[14:15], s[14:15], 1
	s_lshl_b64 s[8:9], s[20:21], 1
	s_add_nc_u64 s[22:23], s[22:23], s[24:25]
	s_lshl_b64 s[10:11], s[10:11], 1
	s_branch .LBB199_4
.LBB199_2:                              ;   in Loop: Header=BB199_4 Depth=1
	s_or_b32 exec_lo, exec_lo, s24
	s_lshl_b64 s[24:25], s[16:17], 1
	s_delay_alu instid0(SALU_CYCLE_1)
	s_add_nc_u64 s[24:25], s[6:7], s[24:25]
	global_store_d16_hi_b16 v11, v1, s[24:25]
.LBB199_3:                              ;   in Loop: Header=BB199_4 Depth=1
	s_wait_xcnt 0x0
	s_or_b32 exec_lo, exec_lo, s21
	s_add_co_i32 s16, s16, 0x10000
	s_delay_alu instid0(SALU_CYCLE_1)
	s_cmp_lt_u32 s16, s28
	s_cbranch_scc0 .LBB199_24
.LBB199_4:                              ; =>This Loop Header: Depth=1
                                        ;     Child Loop BB199_6 Depth 2
	v_mov_b32_e32 v3, 0
	s_mov_b32 s21, exec_lo
	v_cmpx_gt_i32_e64 s29, v2
	s_cbranch_execz .LBB199_8
; %bb.5:                                ;   in Loop: Header=BB199_4 Depth=1
	v_ashrrev_i32_e32 v3, 31, v2
	s_mul_u64 s[24:25], s[14:15], s[16:17]
	s_mul_u64 s[26:27], s[10:11], s[16:17]
	s_add_nc_u64 s[24:25], s[12:13], s[24:25]
	s_add_nc_u64 s[26:27], s[22:23], s[26:27]
	s_wait_dscnt 0x0
	v_lshlrev_b64_e32 v[0:1], 1, v[2:3]
	v_mov_b32_e32 v3, 0
	s_mov_b32 s31, 0
	s_mov_b32 s33, 0
.LBB199_6:                              ;   Parent Loop BB199_4 Depth=1
                                        ; =>  This Inner Loop Header: Depth=2
	s_delay_alu instid0(VALU_DEP_2)
	v_add_nc_u64_e32 v[12:13], s[24:25], v[0:1]
	v_add_nc_u64_e32 v[14:15], s[26:27], v[0:1]
	v_add_nc_u32_e32 v2, s20, v2
	s_add_co_i32 s34, s33, 1
	s_cmp_gt_u32 s33, 6
	v_add_nc_u64_e32 v[0:1], s[8:9], v[0:1]
	s_cselect_b32 s33, -1, 0
	global_load_u16 v16, v[12:13], off
	global_load_u16 v17, v[14:15], off
	v_cmp_le_i32_e32 vcc_lo, s29, v2
	s_or_b32 s33, s33, vcc_lo
	s_delay_alu instid0(SALU_CYCLE_1) | instskip(NEXT) | instid1(SALU_CYCLE_1)
	s_and_b32 s33, exec_lo, s33
	s_or_b32 s31, s33, s31
	s_mov_b32 s33, s34
	s_wait_loadcnt 0x0
	v_fma_mix_f32_bf16 v3, v17, v16, v3 op_sel_hi:[1,1,0]
	s_wait_xcnt 0x0
	s_and_not1_b32 exec_lo, exec_lo, s31
	s_cbranch_execnz .LBB199_6
; %bb.7:                                ;   in Loop: Header=BB199_4 Depth=1
	s_or_b32 exec_lo, exec_lo, s31
.LBB199_8:                              ;   in Loop: Header=BB199_4 Depth=1
	s_delay_alu instid0(SALU_CYCLE_1)
	s_or_b32 exec_lo, exec_lo, s21
	s_and_saveexec_b32 s21, s0
; %bb.9:                                ;   in Loop: Header=BB199_4 Depth=1
	ds_store_b32 v4, v11
; %bb.10:                               ;   in Loop: Header=BB199_4 Depth=1
	s_or_b32 exec_lo, exec_lo, s21
	s_wait_dscnt 0x0
	ds_bpermute_b32 v0, v5, v3
	s_wait_dscnt 0x0
	s_barrier_signal -1
	s_barrier_wait -1
	v_add_f32_e32 v0, v3, v0
	ds_bpermute_b32 v1, v6, v0
	s_wait_dscnt 0x0
	v_add_f32_e32 v0, v0, v1
	ds_bpermute_b32 v1, v7, v0
	s_wait_dscnt 0x0
	;; [unrolled: 3-line block ×3, first 2 shown]
	v_add_f32_e32 v0, v0, v1
	ds_bpermute_b32 v1, v9, v0
	s_and_saveexec_b32 s21, s1
	s_cbranch_execz .LBB199_12
; %bb.11:                               ;   in Loop: Header=BB199_4 Depth=1
	s_wait_dscnt 0x0
	v_add_f32_e32 v0, v0, v1
	ds_store_b32 v10, v0
.LBB199_12:                             ;   in Loop: Header=BB199_4 Depth=1
	s_or_b32 exec_lo, exec_lo, s21
	v_mov_b32_e32 v0, 0
	s_wait_dscnt 0x0
	s_barrier_signal -1
	s_barrier_wait -1
	s_and_saveexec_b32 s21, s2
	s_cbranch_execnz .LBB199_15
; %bb.13:                               ;   in Loop: Header=BB199_4 Depth=1
	s_or_b32 exec_lo, exec_lo, s21
	s_and_saveexec_b32 s21, s0
	s_cbranch_execnz .LBB199_16
.LBB199_14:                             ;   in Loop: Header=BB199_4 Depth=1
	s_or_b32 exec_lo, exec_lo, s21
	s_and_saveexec_b32 s21, s3
	s_cbranch_execz .LBB199_3
	s_branch .LBB199_17
.LBB199_15:                             ;   in Loop: Header=BB199_4 Depth=1
	ds_load_b32 v0, v4
	s_or_b32 exec_lo, exec_lo, s21
	s_and_saveexec_b32 s21, s0
	s_cbranch_execz .LBB199_14
.LBB199_16:                             ;   in Loop: Header=BB199_4 Depth=1
	s_wait_dscnt 0x0
	ds_bpermute_b32 v1, v6, v0
	s_wait_dscnt 0x0
	v_add_f32_e32 v0, v0, v1
	ds_bpermute_b32 v1, v7, v0
	s_wait_dscnt 0x0
	v_add_f32_e32 v0, v0, v1
	;; [unrolled: 3-line block ×4, first 2 shown]
	s_or_b32 exec_lo, exec_lo, s21
	s_and_saveexec_b32 s21, s3
	s_cbranch_execz .LBB199_3
.LBB199_17:                             ;   in Loop: Header=BB199_4 Depth=1
	s_and_b32 vcc_lo, exec_lo, s30
	s_mov_b32 s24, -1
	s_cbranch_vccz .LBB199_19
; %bb.18:                               ;   in Loop: Header=BB199_4 Depth=1
	s_mul_u64 s[24:25], s[18:19], s[16:17]
	s_delay_alu instid0(SALU_CYCLE_1) | instskip(NEXT) | instid1(SALU_CYCLE_1)
	s_lshl_b64 s[24:25], s[24:25], 2
	s_add_nc_u64 s[26:27], s[4:5], s[24:25]
	s_mov_b32 s24, 0
	s_wait_dscnt 0x0
	global_store_b32 v11, v0, s[26:27]
.LBB199_19:                             ;   in Loop: Header=BB199_4 Depth=1
	s_and_not1_b32 vcc_lo, exec_lo, s24
	s_cbranch_vccnz .LBB199_3
; %bb.20:                               ;   in Loop: Header=BB199_4 Depth=1
	s_wait_dscnt 0x0
	v_and_b32_e32 v1, 0x7f800000, v0
	s_delay_alu instid0(VALU_DEP_1) | instskip(SKIP_2) | instid1(SALU_CYCLE_1)
	v_cmp_ne_u32_e32 vcc_lo, 0x7f800000, v1
                                        ; implicit-def: $vgpr1
	s_wait_xcnt 0x0
	s_and_saveexec_b32 s24, vcc_lo
	s_xor_b32 s24, exec_lo, s24
; %bb.21:                               ;   in Loop: Header=BB199_4 Depth=1
	v_bfe_u32 v1, v0, 16, 1
	s_delay_alu instid0(VALU_DEP_1)
	v_add3_u32 v1, v0, v1, 0x7fff
                                        ; implicit-def: $vgpr0
; %bb.22:                               ;   in Loop: Header=BB199_4 Depth=1
	s_and_not1_saveexec_b32 s24, s24
	s_cbranch_execz .LBB199_2
; %bb.23:                               ;   in Loop: Header=BB199_4 Depth=1
	v_and_b32_e32 v1, 0xffff, v0
	v_or_b32_e32 v3, 0x10000, v0
	s_delay_alu instid0(VALU_DEP_2) | instskip(NEXT) | instid1(VALU_DEP_2)
	v_cmp_eq_u32_e32 vcc_lo, 0, v1
	v_cndmask_b32_e32 v1, v3, v0, vcc_lo
	s_branch .LBB199_2
.LBB199_24:
	s_endpgm
	.section	.rodata,"a",@progbits
	.p2align	6, 0x0
	.amdhsa_kernel _ZL23rocblas_dot_kernel_inc1ILb0ELi512ELi8ELb1E16rocblas_bfloat16PKS0_fEviT4_llS3_lliPT5_PT3_
		.amdhsa_group_segment_fixed_size 128
		.amdhsa_private_segment_fixed_size 0
		.amdhsa_kernarg_size 336
		.amdhsa_user_sgpr_count 2
		.amdhsa_user_sgpr_dispatch_ptr 0
		.amdhsa_user_sgpr_queue_ptr 0
		.amdhsa_user_sgpr_kernarg_segment_ptr 1
		.amdhsa_user_sgpr_dispatch_id 0
		.amdhsa_user_sgpr_kernarg_preload_length 0
		.amdhsa_user_sgpr_kernarg_preload_offset 0
		.amdhsa_user_sgpr_private_segment_size 0
		.amdhsa_wavefront_size32 1
		.amdhsa_uses_dynamic_stack 0
		.amdhsa_enable_private_segment 0
		.amdhsa_system_sgpr_workgroup_id_x 1
		.amdhsa_system_sgpr_workgroup_id_y 0
		.amdhsa_system_sgpr_workgroup_id_z 1
		.amdhsa_system_sgpr_workgroup_info 0
		.amdhsa_system_vgpr_workitem_id 0
		.amdhsa_next_free_vgpr 18
		.amdhsa_next_free_sgpr 35
		.amdhsa_named_barrier_count 0
		.amdhsa_reserve_vcc 1
		.amdhsa_float_round_mode_32 0
		.amdhsa_float_round_mode_16_64 0
		.amdhsa_float_denorm_mode_32 3
		.amdhsa_float_denorm_mode_16_64 3
		.amdhsa_fp16_overflow 0
		.amdhsa_memory_ordered 1
		.amdhsa_forward_progress 1
		.amdhsa_inst_pref_size 9
		.amdhsa_round_robin_scheduling 0
		.amdhsa_exception_fp_ieee_invalid_op 0
		.amdhsa_exception_fp_denorm_src 0
		.amdhsa_exception_fp_ieee_div_zero 0
		.amdhsa_exception_fp_ieee_overflow 0
		.amdhsa_exception_fp_ieee_underflow 0
		.amdhsa_exception_fp_ieee_inexact 0
		.amdhsa_exception_int_div_zero 0
	.end_amdhsa_kernel
	.section	.text._ZL23rocblas_dot_kernel_inc1ILb0ELi512ELi8ELb1E16rocblas_bfloat16PKS0_fEviT4_llS3_lliPT5_PT3_,"axG",@progbits,_ZL23rocblas_dot_kernel_inc1ILb0ELi512ELi8ELb1E16rocblas_bfloat16PKS0_fEviT4_llS3_lliPT5_PT3_,comdat
.Lfunc_end199:
	.size	_ZL23rocblas_dot_kernel_inc1ILb0ELi512ELi8ELb1E16rocblas_bfloat16PKS0_fEviT4_llS3_lliPT5_PT3_, .Lfunc_end199-_ZL23rocblas_dot_kernel_inc1ILb0ELi512ELi8ELb1E16rocblas_bfloat16PKS0_fEviT4_llS3_lliPT5_PT3_
                                        ; -- End function
	.set _ZL23rocblas_dot_kernel_inc1ILb0ELi512ELi8ELb1E16rocblas_bfloat16PKS0_fEviT4_llS3_lliPT5_PT3_.num_vgpr, 18
	.set _ZL23rocblas_dot_kernel_inc1ILb0ELi512ELi8ELb1E16rocblas_bfloat16PKS0_fEviT4_llS3_lliPT5_PT3_.num_agpr, 0
	.set _ZL23rocblas_dot_kernel_inc1ILb0ELi512ELi8ELb1E16rocblas_bfloat16PKS0_fEviT4_llS3_lliPT5_PT3_.numbered_sgpr, 35
	.set _ZL23rocblas_dot_kernel_inc1ILb0ELi512ELi8ELb1E16rocblas_bfloat16PKS0_fEviT4_llS3_lliPT5_PT3_.num_named_barrier, 0
	.set _ZL23rocblas_dot_kernel_inc1ILb0ELi512ELi8ELb1E16rocblas_bfloat16PKS0_fEviT4_llS3_lliPT5_PT3_.private_seg_size, 0
	.set _ZL23rocblas_dot_kernel_inc1ILb0ELi512ELi8ELb1E16rocblas_bfloat16PKS0_fEviT4_llS3_lliPT5_PT3_.uses_vcc, 1
	.set _ZL23rocblas_dot_kernel_inc1ILb0ELi512ELi8ELb1E16rocblas_bfloat16PKS0_fEviT4_llS3_lliPT5_PT3_.uses_flat_scratch, 0
	.set _ZL23rocblas_dot_kernel_inc1ILb0ELi512ELi8ELb1E16rocblas_bfloat16PKS0_fEviT4_llS3_lliPT5_PT3_.has_dyn_sized_stack, 0
	.set _ZL23rocblas_dot_kernel_inc1ILb0ELi512ELi8ELb1E16rocblas_bfloat16PKS0_fEviT4_llS3_lliPT5_PT3_.has_recursion, 0
	.set _ZL23rocblas_dot_kernel_inc1ILb0ELi512ELi8ELb1E16rocblas_bfloat16PKS0_fEviT4_llS3_lliPT5_PT3_.has_indirect_call, 0
	.section	.AMDGPU.csdata,"",@progbits
; Kernel info:
; codeLenInByte = 1072
; TotalNumSgprs: 37
; NumVgprs: 18
; ScratchSize: 0
; MemoryBound: 0
; FloatMode: 240
; IeeeMode: 1
; LDSByteSize: 128 bytes/workgroup (compile time only)
; SGPRBlocks: 0
; VGPRBlocks: 1
; NumSGPRsForWavesPerEU: 37
; NumVGPRsForWavesPerEU: 18
; NamedBarCnt: 0
; Occupancy: 16
; WaveLimiterHint : 0
; COMPUTE_PGM_RSRC2:SCRATCH_EN: 0
; COMPUTE_PGM_RSRC2:USER_SGPR: 2
; COMPUTE_PGM_RSRC2:TRAP_HANDLER: 0
; COMPUTE_PGM_RSRC2:TGID_X_EN: 1
; COMPUTE_PGM_RSRC2:TGID_Y_EN: 0
; COMPUTE_PGM_RSRC2:TGID_Z_EN: 1
; COMPUTE_PGM_RSRC2:TIDIG_COMP_CNT: 0
	.section	.text._ZL18rocblas_dot_kernelIiLb0ELi512ELi8ELb1E16rocblas_bfloat16PKS0_fEviT5_lT_lS3_lS4_liPT6_PT4_,"axG",@progbits,_ZL18rocblas_dot_kernelIiLb0ELi512ELi8ELb1E16rocblas_bfloat16PKS0_fEviT5_lT_lS3_lS4_liPT6_PT4_,comdat
	.globl	_ZL18rocblas_dot_kernelIiLb0ELi512ELi8ELb1E16rocblas_bfloat16PKS0_fEviT5_lT_lS3_lS4_liPT6_PT4_ ; -- Begin function _ZL18rocblas_dot_kernelIiLb0ELi512ELi8ELb1E16rocblas_bfloat16PKS0_fEviT5_lT_lS3_lS4_liPT6_PT4_
	.p2align	8
	.type	_ZL18rocblas_dot_kernelIiLb0ELi512ELi8ELb1E16rocblas_bfloat16PKS0_fEviT5_lT_lS3_lS4_liPT6_PT4_,@function
_ZL18rocblas_dot_kernelIiLb0ELi512ELi8ELb1E16rocblas_bfloat16PKS0_fEviT5_lT_lS3_lS4_liPT6_PT4_: ; @_ZL18rocblas_dot_kernelIiLb0ELi512ELi8ELb1E16rocblas_bfloat16PKS0_fEviT5_lT_lS3_lS4_liPT6_PT4_
; %bb.0:
	s_load_b32 s30, s[0:1], 0x48
	s_bfe_u32 s2, ttmp6, 0x40014
	s_lshr_b32 s3, ttmp7, 16
	s_add_co_i32 s2, s2, 1
	s_bfe_u32 s5, ttmp6, 0x40008
	s_mul_i32 s4, s3, s2
	s_getreg_b32 s2, hwreg(HW_REG_IB_STS2, 6, 4)
	s_add_co_i32 s5, s5, s4
	s_cmp_eq_u32 s2, 0
	s_mov_b32 s21, 0
	s_cselect_b32 s20, s3, s5
	s_wait_kmcnt 0x0
	s_cmp_ge_u32 s20, s30
	s_cbranch_scc1 .LBB200_24
; %bb.1:
	v_mbcnt_lo_u32_b32 v2, -1, 0
	s_clause 0x7
	s_load_b32 s24, s[0:1], 0x18
	s_load_b96 s[16:18], s[0:1], 0x30
	s_load_b32 s22, s[0:1], 0x60
	s_load_b128 s[8:11], s[0:1], 0x20
	s_load_b128 s[12:15], s[0:1], 0x8
	s_load_b32 s31, s[0:1], 0x0
	s_load_b128 s[4:7], s[0:1], 0x50
	s_load_b64 s[26:27], s[0:1], 0x40
	s_wait_xcnt 0x0
	s_bfe_u32 s0, ttmp6, 0x4000c
	s_and_b32 s1, ttmp6, 15
	s_add_co_i32 s3, s0, 1
	v_cmp_gt_u32_e32 vcc_lo, 24, v2
	s_mul_i32 s3, ttmp9, s3
	v_and_b32_e32 v1, 31, v0
	s_add_co_i32 s1, s1, s3
	s_mov_b32 s35, s21
	v_cndmask_b32_e64 v3, 0, 8, vcc_lo
	v_cmp_gt_u32_e32 vcc_lo, 28, v2
	v_cmp_gt_u32_e64 s0, 32, v0
	v_lshl_or_b32 v6, v2, 2, 64
	s_wait_kmcnt 0x0
	s_ashr_i32 s25, s24, 31
	s_ashr_i32 s29, s18, 31
	v_cndmask_b32_e64 v8, 0, 4, vcc_lo
	v_cmp_gt_u32_e32 vcc_lo, 30, v2
	s_cmp_eq_u32 s2, 0
	s_mov_b32 s28, s18
	s_cselect_b32 s34, ttmp9, s1
	s_cmp_lg_u32 s22, 1
	v_cndmask_b32_e64 v9, 0, 2, vcc_lo
	v_cmp_ne_u32_e32 vcc_lo, 31, v2
	s_cselect_b32 s33, -1, 0
	s_lshl_b32 s18, s22, 9
	v_add_lshl_u32 v7, v3, v2, 2
	v_lshrrev_b32_e32 v3, 3, v0
	v_add_co_ci_u32_e64 v10, null, 0, v2, vcc_lo
	s_lshl_b64 s[14:15], s[14:15], 1
	s_ashr_i32 s19, s18, 31
	v_lshl_or_b32 v4, s34, 9, v0
	s_lshl_b64 s[34:35], s[34:35], 2
	s_add_nc_u64 s[12:13], s[12:13], s[14:15]
	s_lshl_b64 s[14:15], s[24:25], 1
	s_mul_u64 s[24:25], s[24:25], s[18:19]
	v_dual_lshlrev_b32 v5, 2, v1 :: v_dual_lshlrev_b32 v10, 2, v10
	v_add_lshl_u32 v8, v8, v2, 2
	v_add_lshl_u32 v9, v9, v2, 2
	v_cmp_eq_u32_e64 s1, 0, v1
	v_dual_mov_b32 v12, 0 :: v_dual_bitop2_b32 v11, 60, v3 bitop3:0x40
	v_cmp_gt_u32_e64 s2, 16, v0
	v_cmp_eq_u32_e64 s3, 0, v0
	s_add_nc_u64 s[4:5], s[4:5], s[34:35]
	s_lshl_b64 s[34:35], s[16:17], 1
	s_lshl_b64 s[16:17], s[24:25], 1
	;; [unrolled: 1-line block ×3, first 2 shown]
	s_mul_u64 s[28:29], s[28:29], s[18:19]
	s_mov_b32 s23, s21
	s_lshl_b64 s[8:9], s[8:9], 1
	s_add_nc_u64 s[10:11], s[10:11], s[34:35]
	s_lshl_b64 s[26:27], s[26:27], 1
	s_lshl_b64 s[28:29], s[28:29], 1
	s_branch .LBB200_4
.LBB200_2:                              ;   in Loop: Header=BB200_4 Depth=1
	s_or_b32 exec_lo, exec_lo, s34
	s_lshl_b64 s[34:35], s[20:21], 1
	s_delay_alu instid0(SALU_CYCLE_1)
	s_add_nc_u64 s[34:35], s[6:7], s[34:35]
	global_store_d16_hi_b16 v12, v1, s[34:35]
.LBB200_3:                              ;   in Loop: Header=BB200_4 Depth=1
	s_wait_xcnt 0x0
	s_or_b32 exec_lo, exec_lo, s19
	s_add_co_i32 s20, s20, 0x10000
	s_delay_alu instid0(SALU_CYCLE_1)
	s_cmp_lt_u32 s20, s30
	s_cbranch_scc0 .LBB200_24
.LBB200_4:                              ; =>This Loop Header: Depth=1
                                        ;     Child Loop BB200_6 Depth 2
	v_mov_b32_e32 v13, 0
	s_mov_b32 s19, exec_lo
	v_cmpx_gt_i32_e64 s31, v4
	s_cbranch_execz .LBB200_8
; %bb.5:                                ;   in Loop: Header=BB200_4 Depth=1
	s_mul_u64 s[34:35], s[8:9], s[20:21]
	s_mul_u64 s[36:37], s[26:27], s[20:21]
	s_add_nc_u64 s[34:35], s[12:13], s[34:35]
	s_add_nc_u64 s[36:37], s[10:11], s[36:37]
	s_wait_dscnt 0x0
	v_mad_nc_u64_u32 v[0:1], s14, v4, s[34:35]
	v_mad_nc_u64_u32 v[2:3], s24, v4, s[36:37]
	v_ashrrev_i32_e32 v13, 31, v4
	s_mov_b32 s34, 0
	s_mov_b32 s35, 0
	s_delay_alu instid0(VALU_DEP_3) | instskip(NEXT) | instid1(VALU_DEP_3)
	v_mad_u32 v1, s15, v4, v1
	v_mad_u32 v3, s25, v4, v3
	s_delay_alu instid0(VALU_DEP_2) | instskip(NEXT) | instid1(VALU_DEP_2)
	v_mad_u32 v1, s14, v13, v1
	v_mad_u32 v3, s24, v13, v3
	v_mov_b32_e32 v13, 0
.LBB200_6:                              ;   Parent Loop BB200_4 Depth=1
                                        ; =>  This Inner Loop Header: Depth=2
	global_load_u16 v14, v[2:3], off
	global_load_u16 v15, v[0:1], off
	v_add_nc_u32_e32 v4, s18, v4
	s_add_co_i32 s36, s35, 1
	s_cmp_gt_u32 s35, 6
	s_wait_xcnt 0x0
	v_add_nc_u64_e32 v[0:1], s[16:17], v[0:1]
	s_cselect_b32 s35, -1, 0
	v_cmp_le_i32_e32 vcc_lo, s31, v4
	v_add_nc_u64_e32 v[2:3], s[28:29], v[2:3]
	s_or_b32 s35, s35, vcc_lo
	s_delay_alu instid0(SALU_CYCLE_1) | instskip(NEXT) | instid1(SALU_CYCLE_1)
	s_and_b32 s35, exec_lo, s35
	s_or_b32 s34, s35, s34
	s_mov_b32 s35, s36
	s_wait_loadcnt 0x0
	v_fma_mix_f32_bf16 v13, v15, v14, v13 op_sel_hi:[1,1,0]
	s_and_not1_b32 exec_lo, exec_lo, s34
	s_cbranch_execnz .LBB200_6
; %bb.7:                                ;   in Loop: Header=BB200_4 Depth=1
	s_or_b32 exec_lo, exec_lo, s34
.LBB200_8:                              ;   in Loop: Header=BB200_4 Depth=1
	s_delay_alu instid0(SALU_CYCLE_1)
	s_or_b32 exec_lo, exec_lo, s19
	s_and_saveexec_b32 s19, s0
; %bb.9:                                ;   in Loop: Header=BB200_4 Depth=1
	ds_store_b32 v5, v12
; %bb.10:                               ;   in Loop: Header=BB200_4 Depth=1
	s_or_b32 exec_lo, exec_lo, s19
	s_wait_dscnt 0x0
	ds_bpermute_b32 v0, v6, v13
	s_wait_dscnt 0x0
	s_barrier_signal -1
	s_barrier_wait -1
	v_add_f32_e32 v0, v13, v0
	ds_bpermute_b32 v1, v7, v0
	s_wait_dscnt 0x0
	v_add_f32_e32 v0, v0, v1
	ds_bpermute_b32 v1, v8, v0
	s_wait_dscnt 0x0
	;; [unrolled: 3-line block ×3, first 2 shown]
	v_add_f32_e32 v0, v0, v1
	ds_bpermute_b32 v1, v10, v0
	s_and_saveexec_b32 s19, s1
	s_cbranch_execz .LBB200_12
; %bb.11:                               ;   in Loop: Header=BB200_4 Depth=1
	s_wait_dscnt 0x0
	v_add_f32_e32 v0, v0, v1
	ds_store_b32 v11, v0
.LBB200_12:                             ;   in Loop: Header=BB200_4 Depth=1
	s_or_b32 exec_lo, exec_lo, s19
	v_mov_b32_e32 v0, 0
	s_wait_dscnt 0x0
	s_barrier_signal -1
	s_barrier_wait -1
	s_and_saveexec_b32 s19, s2
	s_cbranch_execnz .LBB200_15
; %bb.13:                               ;   in Loop: Header=BB200_4 Depth=1
	s_or_b32 exec_lo, exec_lo, s19
	s_and_saveexec_b32 s19, s0
	s_cbranch_execnz .LBB200_16
.LBB200_14:                             ;   in Loop: Header=BB200_4 Depth=1
	s_or_b32 exec_lo, exec_lo, s19
	s_and_saveexec_b32 s19, s3
	s_cbranch_execz .LBB200_3
	s_branch .LBB200_17
.LBB200_15:                             ;   in Loop: Header=BB200_4 Depth=1
	ds_load_b32 v0, v5
	s_or_b32 exec_lo, exec_lo, s19
	s_and_saveexec_b32 s19, s0
	s_cbranch_execz .LBB200_14
.LBB200_16:                             ;   in Loop: Header=BB200_4 Depth=1
	s_wait_dscnt 0x0
	ds_bpermute_b32 v1, v7, v0
	s_wait_dscnt 0x0
	v_add_f32_e32 v0, v0, v1
	ds_bpermute_b32 v1, v8, v0
	s_wait_dscnt 0x0
	v_add_f32_e32 v0, v0, v1
	;; [unrolled: 3-line block ×4, first 2 shown]
	s_or_b32 exec_lo, exec_lo, s19
	s_and_saveexec_b32 s19, s3
	s_cbranch_execz .LBB200_3
.LBB200_17:                             ;   in Loop: Header=BB200_4 Depth=1
	s_and_b32 vcc_lo, exec_lo, s33
	s_mov_b32 s34, -1
	s_cbranch_vccz .LBB200_19
; %bb.18:                               ;   in Loop: Header=BB200_4 Depth=1
	s_mul_u64 s[34:35], s[22:23], s[20:21]
	s_delay_alu instid0(SALU_CYCLE_1) | instskip(NEXT) | instid1(SALU_CYCLE_1)
	s_lshl_b64 s[34:35], s[34:35], 2
	s_add_nc_u64 s[36:37], s[4:5], s[34:35]
	s_mov_b32 s34, 0
	s_wait_dscnt 0x0
	global_store_b32 v12, v0, s[36:37]
.LBB200_19:                             ;   in Loop: Header=BB200_4 Depth=1
	s_and_not1_b32 vcc_lo, exec_lo, s34
	s_cbranch_vccnz .LBB200_3
; %bb.20:                               ;   in Loop: Header=BB200_4 Depth=1
	s_wait_dscnt 0x0
	v_and_b32_e32 v1, 0x7f800000, v0
	s_delay_alu instid0(VALU_DEP_1) | instskip(SKIP_2) | instid1(SALU_CYCLE_1)
	v_cmp_ne_u32_e32 vcc_lo, 0x7f800000, v1
                                        ; implicit-def: $vgpr1
	s_wait_xcnt 0x0
	s_and_saveexec_b32 s34, vcc_lo
	s_xor_b32 s34, exec_lo, s34
; %bb.21:                               ;   in Loop: Header=BB200_4 Depth=1
	v_bfe_u32 v1, v0, 16, 1
	s_delay_alu instid0(VALU_DEP_1)
	v_add3_u32 v1, v0, v1, 0x7fff
                                        ; implicit-def: $vgpr0
; %bb.22:                               ;   in Loop: Header=BB200_4 Depth=1
	s_and_not1_saveexec_b32 s34, s34
	s_cbranch_execz .LBB200_2
; %bb.23:                               ;   in Loop: Header=BB200_4 Depth=1
	v_and_b32_e32 v1, 0xffff, v0
	v_or_b32_e32 v2, 0x10000, v0
	s_delay_alu instid0(VALU_DEP_2) | instskip(NEXT) | instid1(VALU_DEP_2)
	v_cmp_eq_u32_e32 vcc_lo, 0, v1
	v_cndmask_b32_e32 v1, v2, v0, vcc_lo
	s_branch .LBB200_2
.LBB200_24:
	s_endpgm
	.section	.rodata,"a",@progbits
	.p2align	6, 0x0
	.amdhsa_kernel _ZL18rocblas_dot_kernelIiLb0ELi512ELi8ELb1E16rocblas_bfloat16PKS0_fEviT5_lT_lS3_lS4_liPT6_PT4_
		.amdhsa_group_segment_fixed_size 128
		.amdhsa_private_segment_fixed_size 0
		.amdhsa_kernarg_size 352
		.amdhsa_user_sgpr_count 2
		.amdhsa_user_sgpr_dispatch_ptr 0
		.amdhsa_user_sgpr_queue_ptr 0
		.amdhsa_user_sgpr_kernarg_segment_ptr 1
		.amdhsa_user_sgpr_dispatch_id 0
		.amdhsa_user_sgpr_kernarg_preload_length 0
		.amdhsa_user_sgpr_kernarg_preload_offset 0
		.amdhsa_user_sgpr_private_segment_size 0
		.amdhsa_wavefront_size32 1
		.amdhsa_uses_dynamic_stack 0
		.amdhsa_enable_private_segment 0
		.amdhsa_system_sgpr_workgroup_id_x 1
		.amdhsa_system_sgpr_workgroup_id_y 0
		.amdhsa_system_sgpr_workgroup_id_z 1
		.amdhsa_system_sgpr_workgroup_info 0
		.amdhsa_system_vgpr_workitem_id 0
		.amdhsa_next_free_vgpr 16
		.amdhsa_next_free_sgpr 38
		.amdhsa_named_barrier_count 0
		.amdhsa_reserve_vcc 1
		.amdhsa_float_round_mode_32 0
		.amdhsa_float_round_mode_16_64 0
		.amdhsa_float_denorm_mode_32 3
		.amdhsa_float_denorm_mode_16_64 3
		.amdhsa_fp16_overflow 0
		.amdhsa_memory_ordered 1
		.amdhsa_forward_progress 1
		.amdhsa_inst_pref_size 9
		.amdhsa_round_robin_scheduling 0
		.amdhsa_exception_fp_ieee_invalid_op 0
		.amdhsa_exception_fp_denorm_src 0
		.amdhsa_exception_fp_ieee_div_zero 0
		.amdhsa_exception_fp_ieee_overflow 0
		.amdhsa_exception_fp_ieee_underflow 0
		.amdhsa_exception_fp_ieee_inexact 0
		.amdhsa_exception_int_div_zero 0
	.end_amdhsa_kernel
	.section	.text._ZL18rocblas_dot_kernelIiLb0ELi512ELi8ELb1E16rocblas_bfloat16PKS0_fEviT5_lT_lS3_lS4_liPT6_PT4_,"axG",@progbits,_ZL18rocblas_dot_kernelIiLb0ELi512ELi8ELb1E16rocblas_bfloat16PKS0_fEviT5_lT_lS3_lS4_liPT6_PT4_,comdat
.Lfunc_end200:
	.size	_ZL18rocblas_dot_kernelIiLb0ELi512ELi8ELb1E16rocblas_bfloat16PKS0_fEviT5_lT_lS3_lS4_liPT6_PT4_, .Lfunc_end200-_ZL18rocblas_dot_kernelIiLb0ELi512ELi8ELb1E16rocblas_bfloat16PKS0_fEviT5_lT_lS3_lS4_liPT6_PT4_
                                        ; -- End function
	.set _ZL18rocblas_dot_kernelIiLb0ELi512ELi8ELb1E16rocblas_bfloat16PKS0_fEviT5_lT_lS3_lS4_liPT6_PT4_.num_vgpr, 16
	.set _ZL18rocblas_dot_kernelIiLb0ELi512ELi8ELb1E16rocblas_bfloat16PKS0_fEviT5_lT_lS3_lS4_liPT6_PT4_.num_agpr, 0
	.set _ZL18rocblas_dot_kernelIiLb0ELi512ELi8ELb1E16rocblas_bfloat16PKS0_fEviT5_lT_lS3_lS4_liPT6_PT4_.numbered_sgpr, 38
	.set _ZL18rocblas_dot_kernelIiLb0ELi512ELi8ELb1E16rocblas_bfloat16PKS0_fEviT5_lT_lS3_lS4_liPT6_PT4_.num_named_barrier, 0
	.set _ZL18rocblas_dot_kernelIiLb0ELi512ELi8ELb1E16rocblas_bfloat16PKS0_fEviT5_lT_lS3_lS4_liPT6_PT4_.private_seg_size, 0
	.set _ZL18rocblas_dot_kernelIiLb0ELi512ELi8ELb1E16rocblas_bfloat16PKS0_fEviT5_lT_lS3_lS4_liPT6_PT4_.uses_vcc, 1
	.set _ZL18rocblas_dot_kernelIiLb0ELi512ELi8ELb1E16rocblas_bfloat16PKS0_fEviT5_lT_lS3_lS4_liPT6_PT4_.uses_flat_scratch, 0
	.set _ZL18rocblas_dot_kernelIiLb0ELi512ELi8ELb1E16rocblas_bfloat16PKS0_fEviT5_lT_lS3_lS4_liPT6_PT4_.has_dyn_sized_stack, 0
	.set _ZL18rocblas_dot_kernelIiLb0ELi512ELi8ELb1E16rocblas_bfloat16PKS0_fEviT5_lT_lS3_lS4_liPT6_PT4_.has_recursion, 0
	.set _ZL18rocblas_dot_kernelIiLb0ELi512ELi8ELb1E16rocblas_bfloat16PKS0_fEviT5_lT_lS3_lS4_liPT6_PT4_.has_indirect_call, 0
	.section	.AMDGPU.csdata,"",@progbits
; Kernel info:
; codeLenInByte = 1148
; TotalNumSgprs: 40
; NumVgprs: 16
; ScratchSize: 0
; MemoryBound: 0
; FloatMode: 240
; IeeeMode: 1
; LDSByteSize: 128 bytes/workgroup (compile time only)
; SGPRBlocks: 0
; VGPRBlocks: 0
; NumSGPRsForWavesPerEU: 40
; NumVGPRsForWavesPerEU: 16
; NamedBarCnt: 0
; Occupancy: 16
; WaveLimiterHint : 0
; COMPUTE_PGM_RSRC2:SCRATCH_EN: 0
; COMPUTE_PGM_RSRC2:USER_SGPR: 2
; COMPUTE_PGM_RSRC2:TRAP_HANDLER: 0
; COMPUTE_PGM_RSRC2:TGID_X_EN: 1
; COMPUTE_PGM_RSRC2:TGID_Y_EN: 0
; COMPUTE_PGM_RSRC2:TGID_Z_EN: 1
; COMPUTE_PGM_RSRC2:TIDIG_COMP_CNT: 0
	.section	.text._ZL24rocblas_dot_kernel_magsqIiLb0ELi512ELi8ELb1E16rocblas_bfloat16PKS0_fEviT5_lT_liPT6_PT4_,"axG",@progbits,_ZL24rocblas_dot_kernel_magsqIiLb0ELi512ELi8ELb1E16rocblas_bfloat16PKS0_fEviT5_lT_liPT6_PT4_,comdat
	.globl	_ZL24rocblas_dot_kernel_magsqIiLb0ELi512ELi8ELb1E16rocblas_bfloat16PKS0_fEviT5_lT_liPT6_PT4_ ; -- Begin function _ZL24rocblas_dot_kernel_magsqIiLb0ELi512ELi8ELb1E16rocblas_bfloat16PKS0_fEviT5_lT_liPT6_PT4_
	.p2align	8
	.type	_ZL24rocblas_dot_kernel_magsqIiLb0ELi512ELi8ELb1E16rocblas_bfloat16PKS0_fEviT5_lT_liPT6_PT4_,@function
_ZL24rocblas_dot_kernel_magsqIiLb0ELi512ELi8ELb1E16rocblas_bfloat16PKS0_fEviT5_lT_liPT6_PT4_: ; @_ZL24rocblas_dot_kernel_magsqIiLb0ELi512ELi8ELb1E16rocblas_bfloat16PKS0_fEviT5_lT_liPT6_PT4_
; %bb.0:
	s_load_b32 s22, s[0:1], 0x28
	s_bfe_u32 s2, ttmp6, 0x40014
	s_lshr_b32 s3, ttmp7, 16
	s_add_co_i32 s2, s2, 1
	s_bfe_u32 s5, ttmp6, 0x40008
	s_mul_i32 s4, s3, s2
	s_getreg_b32 s2, hwreg(HW_REG_IB_STS2, 6, 4)
	s_add_co_i32 s5, s5, s4
	s_cmp_eq_u32 s2, 0
	s_mov_b32 s13, 0
	s_cselect_b32 s12, s3, s5
	s_wait_kmcnt 0x0
	s_cmp_ge_u32 s12, s22
	s_cbranch_scc1 .LBB201_24
; %bb.1:
	v_mbcnt_lo_u32_b32 v7, -1, 0
	s_clause 0x5
	s_load_b32 s18, s[0:1], 0x18
	s_load_b128 s[4:7], s[0:1], 0x30
	s_load_b32 s14, s[0:1], 0x40
	s_load_b128 s[8:11], s[0:1], 0x8
	s_load_b64 s[20:21], s[0:1], 0x20
	s_load_b32 s23, s[0:1], 0x0
	s_wait_xcnt 0x0
	s_bfe_u32 s0, ttmp6, 0x4000c
	s_and_b32 s1, ttmp6, 15
	s_add_co_i32 s3, s0, 1
	v_cmp_gt_u32_e32 vcc_lo, 24, v7
	s_mul_i32 s3, ttmp9, s3
	v_dual_lshrrev_b32 v10, 3, v0 :: v_dual_bitop2_b32 v1, 31, v0 bitop3:0x40
	s_add_co_i32 s1, s1, s3
	v_cndmask_b32_e64 v5, 0, 8, vcc_lo
	v_cmp_gt_u32_e32 vcc_lo, 28, v7
	s_mov_b32 s27, s13
	v_cmp_gt_u32_e64 s0, 32, v0
	v_lshlrev_b32_e32 v2, 2, v1
	v_lshl_or_b32 v3, v7, 2, 64
	v_cndmask_b32_e64 v6, 0, 4, vcc_lo
	v_cmp_gt_u32_e32 vcc_lo, 30, v7
	s_wait_kmcnt 0x0
	s_ashr_i32 s19, s18, 31
	s_cmp_eq_u32 s2, 0
	v_add_lshl_u32 v5, v5, v7, 2
	s_cselect_b32 s26, ttmp9, s1
	v_cndmask_b32_e64 v8, 0, 2, vcc_lo
	v_cmp_ne_u32_e32 vcc_lo, 31, v7
	s_cmp_lg_u32 s14, 1
	v_lshl_or_b32 v4, s26, 9, v0
	s_cselect_b32 s24, -1, 0
	s_lshl_b32 s16, s14, 9
	v_add_co_ci_u32_e64 v9, null, 0, v7, vcc_lo
	s_lshl_b64 s[26:27], s[26:27], 2
	s_ashr_i32 s17, s16, 31
	v_add_lshl_u32 v6, v6, v7, 2
	v_add_lshl_u32 v7, v8, v7, 2
	v_lshlrev_b32_e32 v8, 2, v9
	v_cmp_eq_u32_e64 s1, 0, v1
	v_and_b32_e32 v9, 60, v10
	v_cmp_gt_u32_e64 s2, 16, v0
	v_cmp_eq_u32_e64 s3, 0, v0
	v_mov_b32_e32 v10, 0
	s_lshl_b64 s[10:11], s[10:11], 1
	s_add_nc_u64 s[4:5], s[4:5], s[26:27]
	s_mul_u64 s[26:27], s[18:19], s[16:17]
	s_mov_b32 s15, s13
	s_add_nc_u64 s[8:9], s[8:9], s[10:11]
	s_lshl_b64 s[10:11], s[18:19], 1
	s_lshl_b64 s[18:19], s[20:21], 1
	;; [unrolled: 1-line block ×3, first 2 shown]
	s_branch .LBB201_4
.LBB201_2:                              ;   in Loop: Header=BB201_4 Depth=1
	s_or_b32 exec_lo, exec_lo, s25
	s_lshl_b64 s[26:27], s[12:13], 1
	s_delay_alu instid0(SALU_CYCLE_1)
	s_add_nc_u64 s[26:27], s[6:7], s[26:27]
	global_store_d16_hi_b16 v10, v1, s[26:27]
.LBB201_3:                              ;   in Loop: Header=BB201_4 Depth=1
	s_wait_xcnt 0x0
	s_or_b32 exec_lo, exec_lo, s17
	s_add_co_i32 s12, s12, 0x10000
	s_delay_alu instid0(SALU_CYCLE_1)
	s_cmp_lt_u32 s12, s22
	s_cbranch_scc0 .LBB201_24
.LBB201_4:                              ; =>This Loop Header: Depth=1
                                        ;     Child Loop BB201_6 Depth 2
	v_mov_b32_e32 v11, 0
	s_mov_b32 s17, exec_lo
	v_cmpx_gt_i32_e64 s23, v4
	s_cbranch_execz .LBB201_8
; %bb.5:                                ;   in Loop: Header=BB201_4 Depth=1
	s_mul_u64 s[26:27], s[18:19], s[12:13]
	v_ashrrev_i32_e32 v11, 31, v4
	s_add_nc_u64 s[26:27], s[8:9], s[26:27]
	s_mov_b32 s25, 0
	s_wait_dscnt 0x0
	v_mad_nc_u64_u32 v[0:1], s10, v4, s[26:27]
	s_mov_b32 s26, 0
	s_delay_alu instid0(VALU_DEP_1) | instskip(NEXT) | instid1(VALU_DEP_1)
	v_mad_u32 v1, s11, v4, v1
	v_mad_u32 v1, s10, v11, v1
	v_mov_b32_e32 v11, 0
.LBB201_6:                              ;   Parent Loop BB201_4 Depth=1
                                        ; =>  This Inner Loop Header: Depth=2
	global_load_u16 v12, v[0:1], off
	v_add_nc_u32_e32 v4, s16, v4
	s_add_co_i32 s27, s26, 1
	s_cmp_gt_u32 s26, 6
	s_wait_xcnt 0x0
	v_add_nc_u64_e32 v[0:1], s[20:21], v[0:1]
	s_cselect_b32 s26, -1, 0
	v_cmp_le_i32_e32 vcc_lo, s23, v4
	s_or_b32 s26, s26, vcc_lo
	s_delay_alu instid0(SALU_CYCLE_1) | instskip(NEXT) | instid1(SALU_CYCLE_1)
	s_and_b32 s26, exec_lo, s26
	s_or_b32 s25, s26, s25
	s_mov_b32 s26, s27
	s_wait_loadcnt 0x0
	v_fma_mix_f32_bf16 v11, v12, v12, v11 op_sel_hi:[1,1,0]
	s_and_not1_b32 exec_lo, exec_lo, s25
	s_cbranch_execnz .LBB201_6
; %bb.7:                                ;   in Loop: Header=BB201_4 Depth=1
	s_or_b32 exec_lo, exec_lo, s25
.LBB201_8:                              ;   in Loop: Header=BB201_4 Depth=1
	s_delay_alu instid0(SALU_CYCLE_1)
	s_or_b32 exec_lo, exec_lo, s17
	s_and_saveexec_b32 s17, s0
; %bb.9:                                ;   in Loop: Header=BB201_4 Depth=1
	ds_store_b32 v2, v10
; %bb.10:                               ;   in Loop: Header=BB201_4 Depth=1
	s_or_b32 exec_lo, exec_lo, s17
	s_wait_dscnt 0x0
	ds_bpermute_b32 v0, v3, v11
	s_wait_dscnt 0x0
	s_barrier_signal -1
	s_barrier_wait -1
	v_add_f32_e32 v0, v11, v0
	ds_bpermute_b32 v1, v5, v0
	s_wait_dscnt 0x0
	v_add_f32_e32 v0, v0, v1
	ds_bpermute_b32 v1, v6, v0
	s_wait_dscnt 0x0
	;; [unrolled: 3-line block ×3, first 2 shown]
	v_add_f32_e32 v0, v0, v1
	ds_bpermute_b32 v1, v8, v0
	s_and_saveexec_b32 s17, s1
	s_cbranch_execz .LBB201_12
; %bb.11:                               ;   in Loop: Header=BB201_4 Depth=1
	s_wait_dscnt 0x0
	v_add_f32_e32 v0, v0, v1
	ds_store_b32 v9, v0
.LBB201_12:                             ;   in Loop: Header=BB201_4 Depth=1
	s_or_b32 exec_lo, exec_lo, s17
	v_mov_b32_e32 v0, 0
	s_wait_dscnt 0x0
	s_barrier_signal -1
	s_barrier_wait -1
	s_and_saveexec_b32 s17, s2
	s_cbranch_execnz .LBB201_15
; %bb.13:                               ;   in Loop: Header=BB201_4 Depth=1
	s_or_b32 exec_lo, exec_lo, s17
	s_and_saveexec_b32 s17, s0
	s_cbranch_execnz .LBB201_16
.LBB201_14:                             ;   in Loop: Header=BB201_4 Depth=1
	s_or_b32 exec_lo, exec_lo, s17
	s_and_saveexec_b32 s17, s3
	s_cbranch_execz .LBB201_3
	s_branch .LBB201_17
.LBB201_15:                             ;   in Loop: Header=BB201_4 Depth=1
	ds_load_b32 v0, v2
	s_or_b32 exec_lo, exec_lo, s17
	s_and_saveexec_b32 s17, s0
	s_cbranch_execz .LBB201_14
.LBB201_16:                             ;   in Loop: Header=BB201_4 Depth=1
	s_wait_dscnt 0x0
	ds_bpermute_b32 v1, v5, v0
	s_wait_dscnt 0x0
	v_add_f32_e32 v0, v0, v1
	ds_bpermute_b32 v1, v6, v0
	s_wait_dscnt 0x0
	v_add_f32_e32 v0, v0, v1
	;; [unrolled: 3-line block ×4, first 2 shown]
	s_or_b32 exec_lo, exec_lo, s17
	s_and_saveexec_b32 s17, s3
	s_cbranch_execz .LBB201_3
.LBB201_17:                             ;   in Loop: Header=BB201_4 Depth=1
	s_and_b32 vcc_lo, exec_lo, s24
	s_mov_b32 s25, -1
	s_cbranch_vccz .LBB201_19
; %bb.18:                               ;   in Loop: Header=BB201_4 Depth=1
	s_mul_u64 s[26:27], s[14:15], s[12:13]
	s_mov_b32 s25, 0
	s_lshl_b64 s[26:27], s[26:27], 2
	s_delay_alu instid0(SALU_CYCLE_1)
	s_add_nc_u64 s[26:27], s[4:5], s[26:27]
	s_wait_dscnt 0x0
	global_store_b32 v10, v0, s[26:27]
.LBB201_19:                             ;   in Loop: Header=BB201_4 Depth=1
	s_and_not1_b32 vcc_lo, exec_lo, s25
	s_cbranch_vccnz .LBB201_3
; %bb.20:                               ;   in Loop: Header=BB201_4 Depth=1
	s_wait_dscnt 0x0
	v_and_b32_e32 v1, 0x7f800000, v0
	s_delay_alu instid0(VALU_DEP_1) | instskip(SKIP_2) | instid1(SALU_CYCLE_1)
	v_cmp_ne_u32_e32 vcc_lo, 0x7f800000, v1
                                        ; implicit-def: $vgpr1
	s_wait_xcnt 0x0
	s_and_saveexec_b32 s25, vcc_lo
	s_xor_b32 s25, exec_lo, s25
; %bb.21:                               ;   in Loop: Header=BB201_4 Depth=1
	v_bfe_u32 v1, v0, 16, 1
	s_delay_alu instid0(VALU_DEP_1)
	v_add3_u32 v1, v0, v1, 0x7fff
                                        ; implicit-def: $vgpr0
; %bb.22:                               ;   in Loop: Header=BB201_4 Depth=1
	s_and_not1_saveexec_b32 s25, s25
	s_cbranch_execz .LBB201_2
; %bb.23:                               ;   in Loop: Header=BB201_4 Depth=1
	v_and_b32_e32 v1, 0xffff, v0
	v_or_b32_e32 v11, 0x10000, v0
	s_delay_alu instid0(VALU_DEP_2) | instskip(NEXT) | instid1(VALU_DEP_2)
	v_cmp_eq_u32_e32 vcc_lo, 0, v1
	v_cndmask_b32_e32 v1, v11, v0, vcc_lo
	s_branch .LBB201_2
.LBB201_24:
	s_endpgm
	.section	.rodata,"a",@progbits
	.p2align	6, 0x0
	.amdhsa_kernel _ZL24rocblas_dot_kernel_magsqIiLb0ELi512ELi8ELb1E16rocblas_bfloat16PKS0_fEviT5_lT_liPT6_PT4_
		.amdhsa_group_segment_fixed_size 128
		.amdhsa_private_segment_fixed_size 0
		.amdhsa_kernarg_size 320
		.amdhsa_user_sgpr_count 2
		.amdhsa_user_sgpr_dispatch_ptr 0
		.amdhsa_user_sgpr_queue_ptr 0
		.amdhsa_user_sgpr_kernarg_segment_ptr 1
		.amdhsa_user_sgpr_dispatch_id 0
		.amdhsa_user_sgpr_kernarg_preload_length 0
		.amdhsa_user_sgpr_kernarg_preload_offset 0
		.amdhsa_user_sgpr_private_segment_size 0
		.amdhsa_wavefront_size32 1
		.amdhsa_uses_dynamic_stack 0
		.amdhsa_enable_private_segment 0
		.amdhsa_system_sgpr_workgroup_id_x 1
		.amdhsa_system_sgpr_workgroup_id_y 0
		.amdhsa_system_sgpr_workgroup_id_z 1
		.amdhsa_system_sgpr_workgroup_info 0
		.amdhsa_system_vgpr_workitem_id 0
		.amdhsa_next_free_vgpr 13
		.amdhsa_next_free_sgpr 28
		.amdhsa_named_barrier_count 0
		.amdhsa_reserve_vcc 1
		.amdhsa_float_round_mode_32 0
		.amdhsa_float_round_mode_16_64 0
		.amdhsa_float_denorm_mode_32 3
		.amdhsa_float_denorm_mode_16_64 3
		.amdhsa_fp16_overflow 0
		.amdhsa_memory_ordered 1
		.amdhsa_forward_progress 1
		.amdhsa_inst_pref_size 9
		.amdhsa_round_robin_scheduling 0
		.amdhsa_exception_fp_ieee_invalid_op 0
		.amdhsa_exception_fp_denorm_src 0
		.amdhsa_exception_fp_ieee_div_zero 0
		.amdhsa_exception_fp_ieee_overflow 0
		.amdhsa_exception_fp_ieee_underflow 0
		.amdhsa_exception_fp_ieee_inexact 0
		.amdhsa_exception_int_div_zero 0
	.end_amdhsa_kernel
	.section	.text._ZL24rocblas_dot_kernel_magsqIiLb0ELi512ELi8ELb1E16rocblas_bfloat16PKS0_fEviT5_lT_liPT6_PT4_,"axG",@progbits,_ZL24rocblas_dot_kernel_magsqIiLb0ELi512ELi8ELb1E16rocblas_bfloat16PKS0_fEviT5_lT_liPT6_PT4_,comdat
.Lfunc_end201:
	.size	_ZL24rocblas_dot_kernel_magsqIiLb0ELi512ELi8ELb1E16rocblas_bfloat16PKS0_fEviT5_lT_liPT6_PT4_, .Lfunc_end201-_ZL24rocblas_dot_kernel_magsqIiLb0ELi512ELi8ELb1E16rocblas_bfloat16PKS0_fEviT5_lT_liPT6_PT4_
                                        ; -- End function
	.set _ZL24rocblas_dot_kernel_magsqIiLb0ELi512ELi8ELb1E16rocblas_bfloat16PKS0_fEviT5_lT_liPT6_PT4_.num_vgpr, 13
	.set _ZL24rocblas_dot_kernel_magsqIiLb0ELi512ELi8ELb1E16rocblas_bfloat16PKS0_fEviT5_lT_liPT6_PT4_.num_agpr, 0
	.set _ZL24rocblas_dot_kernel_magsqIiLb0ELi512ELi8ELb1E16rocblas_bfloat16PKS0_fEviT5_lT_liPT6_PT4_.numbered_sgpr, 28
	.set _ZL24rocblas_dot_kernel_magsqIiLb0ELi512ELi8ELb1E16rocblas_bfloat16PKS0_fEviT5_lT_liPT6_PT4_.num_named_barrier, 0
	.set _ZL24rocblas_dot_kernel_magsqIiLb0ELi512ELi8ELb1E16rocblas_bfloat16PKS0_fEviT5_lT_liPT6_PT4_.private_seg_size, 0
	.set _ZL24rocblas_dot_kernel_magsqIiLb0ELi512ELi8ELb1E16rocblas_bfloat16PKS0_fEviT5_lT_liPT6_PT4_.uses_vcc, 1
	.set _ZL24rocblas_dot_kernel_magsqIiLb0ELi512ELi8ELb1E16rocblas_bfloat16PKS0_fEviT5_lT_liPT6_PT4_.uses_flat_scratch, 0
	.set _ZL24rocblas_dot_kernel_magsqIiLb0ELi512ELi8ELb1E16rocblas_bfloat16PKS0_fEviT5_lT_liPT6_PT4_.has_dyn_sized_stack, 0
	.set _ZL24rocblas_dot_kernel_magsqIiLb0ELi512ELi8ELb1E16rocblas_bfloat16PKS0_fEviT5_lT_liPT6_PT4_.has_recursion, 0
	.set _ZL24rocblas_dot_kernel_magsqIiLb0ELi512ELi8ELb1E16rocblas_bfloat16PKS0_fEviT5_lT_liPT6_PT4_.has_indirect_call, 0
	.section	.AMDGPU.csdata,"",@progbits
; Kernel info:
; codeLenInByte = 1044
; TotalNumSgprs: 30
; NumVgprs: 13
; ScratchSize: 0
; MemoryBound: 0
; FloatMode: 240
; IeeeMode: 1
; LDSByteSize: 128 bytes/workgroup (compile time only)
; SGPRBlocks: 0
; VGPRBlocks: 0
; NumSGPRsForWavesPerEU: 30
; NumVGPRsForWavesPerEU: 13
; NamedBarCnt: 0
; Occupancy: 16
; WaveLimiterHint : 0
; COMPUTE_PGM_RSRC2:SCRATCH_EN: 0
; COMPUTE_PGM_RSRC2:USER_SGPR: 2
; COMPUTE_PGM_RSRC2:TRAP_HANDLER: 0
; COMPUTE_PGM_RSRC2:TGID_X_EN: 1
; COMPUTE_PGM_RSRC2:TGID_Y_EN: 0
; COMPUTE_PGM_RSRC2:TGID_Z_EN: 1
; COMPUTE_PGM_RSRC2:TIDIG_COMP_CNT: 0
	.section	.text._ZL30rocblas_reduction_kernel_part2ILi512ELi8E25rocblas_finalize_identityf16rocblas_bfloat16EviPT2_PT3_,"axG",@progbits,_ZL30rocblas_reduction_kernel_part2ILi512ELi8E25rocblas_finalize_identityf16rocblas_bfloat16EviPT2_PT3_,comdat
	.globl	_ZL30rocblas_reduction_kernel_part2ILi512ELi8E25rocblas_finalize_identityf16rocblas_bfloat16EviPT2_PT3_ ; -- Begin function _ZL30rocblas_reduction_kernel_part2ILi512ELi8E25rocblas_finalize_identityf16rocblas_bfloat16EviPT2_PT3_
	.p2align	8
	.type	_ZL30rocblas_reduction_kernel_part2ILi512ELi8E25rocblas_finalize_identityf16rocblas_bfloat16EviPT2_PT3_,@function
_ZL30rocblas_reduction_kernel_part2ILi512ELi8E25rocblas_finalize_identityf16rocblas_bfloat16EviPT2_PT3_: ; @_ZL30rocblas_reduction_kernel_part2ILi512ELi8E25rocblas_finalize_identityf16rocblas_bfloat16EviPT2_PT3_
; %bb.0:
	s_clause 0x1
	s_load_b32 s6, s[0:1], 0x0
	s_load_b64 s[8:9], s[0:1], 0x8
	s_bfe_u32 s2, ttmp6, 0x4000c
	s_and_b32 s3, ttmp6, 15
	s_add_co_i32 s2, s2, 1
	s_getreg_b32 s4, hwreg(HW_REG_IB_STS2, 6, 4)
	s_mul_i32 s2, ttmp9, s2
	v_dual_lshlrev_b32 v1, 3, v0 :: v_dual_mov_b32 v3, 0
	s_add_co_i32 s3, s3, s2
	s_wait_kmcnt 0x0
	s_ashr_i32 s7, s6, 31
	s_cmp_eq_u32 s4, 0
	s_mov_b32 s4, exec_lo
	s_cselect_b32 s2, ttmp9, s3
	s_lshr_b32 s3, s7, 29
	s_delay_alu instid0(SALU_CYCLE_1) | instskip(NEXT) | instid1(SALU_CYCLE_1)
	s_add_co_i32 s3, s6, s3
	s_and_b32 s12, s3, -8
	s_mov_b32 s3, 0
	s_delay_alu instid0(SALU_CYCLE_1)
	s_mul_u64 s[10:11], s[6:7], s[2:3]
	v_cmpx_gt_i32_e64 s12, v1
	s_cbranch_execz .LBB202_4
; %bb.1:
	v_dual_mov_b32 v3, 0 :: v_dual_lshlrev_b32 v2, 5, v0
	s_lshl_b64 s[14:15], s[10:11], 2
	s_mov_b32 s5, s3
	s_add_nc_u64 s[14:15], s[8:9], s[14:15]
	s_delay_alu instid0(VALU_DEP_1) | instid1(SALU_CYCLE_1)
	v_add_nc_u64_e32 v[4:5], s[14:15], v[2:3]
	s_delay_alu instid0(VALU_DEP_1)
	v_add_nc_u64_e32 v[4:5], 28, v[4:5]
.LBB202_2:                              ; =>This Inner Loop Header: Depth=1
	s_clause 0x1
	global_load_b128 v[6:9], v[4:5], off offset:-28
	global_load_b128 v[10:13], v[4:5], off offset:-12
	s_wait_xcnt 0x0
	v_add_nc_u64_e32 v[4:5], 0x4000, v[4:5]
	v_add_nc_u32_e32 v1, 0x1000, v1
	s_delay_alu instid0(VALU_DEP_1) | instskip(SKIP_3) | instid1(VALU_DEP_1)
	v_cmp_le_i32_e32 vcc_lo, s12, v1
	s_or_b32 s5, vcc_lo, s5
	s_wait_loadcnt 0x1
	v_add_f32_e32 v2, v3, v6
	v_add_f32_e32 v2, v2, v7
	s_delay_alu instid0(VALU_DEP_1) | instskip(NEXT) | instid1(VALU_DEP_1)
	v_add_f32_e32 v2, v2, v8
	v_add_f32_e32 v2, v2, v9
	s_wait_loadcnt 0x0
	s_delay_alu instid0(VALU_DEP_1) | instskip(NEXT) | instid1(VALU_DEP_1)
	v_add_f32_e32 v2, v2, v10
	v_add_f32_e32 v2, v2, v11
	s_delay_alu instid0(VALU_DEP_1) | instskip(NEXT) | instid1(VALU_DEP_1)
	v_add_f32_e32 v2, v2, v12
	v_add_f32_e32 v3, v2, v13
	s_and_not1_b32 exec_lo, exec_lo, s5
	s_cbranch_execnz .LBB202_2
; %bb.3:
	s_or_b32 exec_lo, exec_lo, s5
.LBB202_4:
	s_delay_alu instid0(SALU_CYCLE_1) | instskip(SKIP_3) | instid1(SALU_CYCLE_1)
	s_or_b32 exec_lo, exec_lo, s4
	s_load_b64 s[4:5], s[0:1], 0x10
	s_wait_xcnt 0x0
	s_sub_co_i32 s0, s6, s12
	v_cmp_gt_u32_e32 vcc_lo, s0, v0
	s_and_saveexec_b32 s0, vcc_lo
	s_cbranch_execz .LBB202_6
; %bb.5:
	v_xad_u32 v1, v0, -1, s6
	s_lshl_b64 s[6:7], s[10:11], 2
	s_delay_alu instid0(SALU_CYCLE_1)
	s_add_nc_u64 s[6:7], s[8:9], s[6:7]
	global_load_b32 v1, v1, s[6:7] scale_offset
	s_wait_loadcnt 0x0
	v_add_f32_e32 v3, v3, v1
.LBB202_6:
	s_or_b32 exec_lo, exec_lo, s0
	v_and_b32_e32 v4, 31, v0
	v_cmp_gt_u32_e32 vcc_lo, 32, v0
	s_delay_alu instid0(VALU_DEP_2)
	v_lshlrev_b32_e32 v1, 2, v4
	s_and_saveexec_b32 s0, vcc_lo
; %bb.7:
	v_mov_b32_e32 v2, 0
	ds_store_b32 v1, v2
; %bb.8:
	s_or_b32 exec_lo, exec_lo, s0
	v_mbcnt_lo_u32_b32 v6, -1, 0
	s_mov_b32 s1, exec_lo
	s_wait_dscnt 0x0
	s_barrier_signal -1
	s_barrier_wait -1
	v_lshl_or_b32 v2, v6, 2, 64
	v_cmp_gt_u32_e64 s0, 24, v6
	ds_bpermute_b32 v5, v2, v3
	v_cndmask_b32_e64 v2, 0, 8, s0
	v_cmp_gt_u32_e64 s0, 28, v6
	s_delay_alu instid0(VALU_DEP_2) | instskip(SKIP_2) | instid1(VALU_DEP_3)
	v_add_lshl_u32 v2, v2, v6, 2
	s_wait_dscnt 0x0
	v_add_f32_e32 v5, v3, v5
	v_cndmask_b32_e64 v3, 0, 4, s0
	v_cmp_gt_u32_e64 s0, 30, v6
	ds_bpermute_b32 v7, v2, v5
	v_add_lshl_u32 v3, v3, v6, 2
	s_wait_dscnt 0x0
	v_add_f32_e32 v7, v5, v7
	v_cndmask_b32_e64 v5, 0, 2, s0
	v_cmp_ne_u32_e64 s0, 31, v6
	ds_bpermute_b32 v8, v3, v7
	v_add_lshl_u32 v5, v5, v6, 2
	v_add_co_ci_u32_e64 v6, null, 0, v6, s0
	s_wait_dscnt 0x0
	s_delay_alu instid0(VALU_DEP_1)
	v_dual_add_f32 v7, v7, v8 :: v_dual_lshlrev_b32 v6, 2, v6
	ds_bpermute_b32 v8, v5, v7
	s_wait_dscnt 0x0
	v_add_f32_e32 v7, v7, v8
	ds_bpermute_b32 v8, v6, v7
	v_cmpx_eq_u32_e32 0, v4
	s_cbranch_execz .LBB202_10
; %bb.9:
	v_lshrrev_b32_e32 v4, 3, v0
	s_wait_dscnt 0x0
	v_add_f32_e32 v7, v7, v8
	s_delay_alu instid0(VALU_DEP_2)
	v_and_b32_e32 v4, 60, v4
	ds_store_b32 v4, v7
.LBB202_10:
	s_or_b32 exec_lo, exec_lo, s1
	v_mov_b32_e32 v4, 0
	s_mov_b32 s1, exec_lo
	s_wait_dscnt 0x0
	s_barrier_signal -1
	s_barrier_wait -1
	v_cmpx_gt_u32_e32 16, v0
; %bb.11:
	ds_load_b32 v4, v1
; %bb.12:
	s_or_b32 exec_lo, exec_lo, s1
	s_and_saveexec_b32 s0, vcc_lo
	s_cbranch_execz .LBB202_14
; %bb.13:
	s_wait_dscnt 0x0
	ds_bpermute_b32 v1, v2, v4
	s_wait_dscnt 0x0
	v_add_f32_e32 v1, v4, v1
	ds_bpermute_b32 v2, v3, v1
	s_wait_dscnt 0x0
	v_add_f32_e32 v1, v1, v2
	;; [unrolled: 3-line block ×4, first 2 shown]
.LBB202_14:
	s_or_b32 exec_lo, exec_lo, s0
	s_delay_alu instid0(SALU_CYCLE_1)
	s_mov_b32 s0, exec_lo
	v_cmpx_eq_u32_e32 0, v0
	s_cbranch_execz .LBB202_20
; %bb.15:
	s_wait_dscnt 0x0
	v_and_b32_e32 v0, 0x7f800000, v4
	s_delay_alu instid0(VALU_DEP_1) | instskip(SKIP_1) | instid1(SALU_CYCLE_1)
	v_cmp_ne_u32_e32 vcc_lo, 0x7f800000, v0
                                        ; implicit-def: $vgpr0
	s_and_saveexec_b32 s0, vcc_lo
	s_xor_b32 s0, exec_lo, s0
; %bb.16:
	v_bfe_u32 v0, v4, 16, 1
	s_delay_alu instid0(VALU_DEP_1)
	v_add3_u32 v0, v4, v0, 0x7fff
                                        ; implicit-def: $vgpr4
; %bb.17:
	s_and_not1_saveexec_b32 s0, s0
; %bb.18:
	v_and_b32_e32 v0, 0xffff, v4
	v_or_b32_e32 v1, 0x10000, v4
	s_delay_alu instid0(VALU_DEP_2) | instskip(NEXT) | instid1(VALU_DEP_2)
	v_cmp_eq_u32_e32 vcc_lo, 0, v0
	v_cndmask_b32_e32 v0, v1, v4, vcc_lo
; %bb.19:
	s_or_b32 exec_lo, exec_lo, s0
	v_mov_b32_e32 v1, 0
	s_lshl_b64 s[0:1], s[2:3], 1
	s_wait_kmcnt 0x0
	s_add_nc_u64 s[0:1], s[4:5], s[0:1]
	global_store_d16_hi_b16 v1, v0, s[0:1]
.LBB202_20:
	s_endpgm
	.section	.rodata,"a",@progbits
	.p2align	6, 0x0
	.amdhsa_kernel _ZL30rocblas_reduction_kernel_part2ILi512ELi8E25rocblas_finalize_identityf16rocblas_bfloat16EviPT2_PT3_
		.amdhsa_group_segment_fixed_size 128
		.amdhsa_private_segment_fixed_size 0
		.amdhsa_kernarg_size 24
		.amdhsa_user_sgpr_count 2
		.amdhsa_user_sgpr_dispatch_ptr 0
		.amdhsa_user_sgpr_queue_ptr 0
		.amdhsa_user_sgpr_kernarg_segment_ptr 1
		.amdhsa_user_sgpr_dispatch_id 0
		.amdhsa_user_sgpr_kernarg_preload_length 0
		.amdhsa_user_sgpr_kernarg_preload_offset 0
		.amdhsa_user_sgpr_private_segment_size 0
		.amdhsa_wavefront_size32 1
		.amdhsa_uses_dynamic_stack 0
		.amdhsa_enable_private_segment 0
		.amdhsa_system_sgpr_workgroup_id_x 1
		.amdhsa_system_sgpr_workgroup_id_y 0
		.amdhsa_system_sgpr_workgroup_id_z 0
		.amdhsa_system_sgpr_workgroup_info 0
		.amdhsa_system_vgpr_workitem_id 0
		.amdhsa_next_free_vgpr 14
		.amdhsa_next_free_sgpr 16
		.amdhsa_named_barrier_count 0
		.amdhsa_reserve_vcc 1
		.amdhsa_float_round_mode_32 0
		.amdhsa_float_round_mode_16_64 0
		.amdhsa_float_denorm_mode_32 3
		.amdhsa_float_denorm_mode_16_64 3
		.amdhsa_fp16_overflow 0
		.amdhsa_memory_ordered 1
		.amdhsa_forward_progress 1
		.amdhsa_inst_pref_size 7
		.amdhsa_round_robin_scheduling 0
		.amdhsa_exception_fp_ieee_invalid_op 0
		.amdhsa_exception_fp_denorm_src 0
		.amdhsa_exception_fp_ieee_div_zero 0
		.amdhsa_exception_fp_ieee_overflow 0
		.amdhsa_exception_fp_ieee_underflow 0
		.amdhsa_exception_fp_ieee_inexact 0
		.amdhsa_exception_int_div_zero 0
	.end_amdhsa_kernel
	.section	.text._ZL30rocblas_reduction_kernel_part2ILi512ELi8E25rocblas_finalize_identityf16rocblas_bfloat16EviPT2_PT3_,"axG",@progbits,_ZL30rocblas_reduction_kernel_part2ILi512ELi8E25rocblas_finalize_identityf16rocblas_bfloat16EviPT2_PT3_,comdat
.Lfunc_end202:
	.size	_ZL30rocblas_reduction_kernel_part2ILi512ELi8E25rocblas_finalize_identityf16rocblas_bfloat16EviPT2_PT3_, .Lfunc_end202-_ZL30rocblas_reduction_kernel_part2ILi512ELi8E25rocblas_finalize_identityf16rocblas_bfloat16EviPT2_PT3_
                                        ; -- End function
	.set _ZL30rocblas_reduction_kernel_part2ILi512ELi8E25rocblas_finalize_identityf16rocblas_bfloat16EviPT2_PT3_.num_vgpr, 14
	.set _ZL30rocblas_reduction_kernel_part2ILi512ELi8E25rocblas_finalize_identityf16rocblas_bfloat16EviPT2_PT3_.num_agpr, 0
	.set _ZL30rocblas_reduction_kernel_part2ILi512ELi8E25rocblas_finalize_identityf16rocblas_bfloat16EviPT2_PT3_.numbered_sgpr, 16
	.set _ZL30rocblas_reduction_kernel_part2ILi512ELi8E25rocblas_finalize_identityf16rocblas_bfloat16EviPT2_PT3_.num_named_barrier, 0
	.set _ZL30rocblas_reduction_kernel_part2ILi512ELi8E25rocblas_finalize_identityf16rocblas_bfloat16EviPT2_PT3_.private_seg_size, 0
	.set _ZL30rocblas_reduction_kernel_part2ILi512ELi8E25rocblas_finalize_identityf16rocblas_bfloat16EviPT2_PT3_.uses_vcc, 1
	.set _ZL30rocblas_reduction_kernel_part2ILi512ELi8E25rocblas_finalize_identityf16rocblas_bfloat16EviPT2_PT3_.uses_flat_scratch, 0
	.set _ZL30rocblas_reduction_kernel_part2ILi512ELi8E25rocblas_finalize_identityf16rocblas_bfloat16EviPT2_PT3_.has_dyn_sized_stack, 0
	.set _ZL30rocblas_reduction_kernel_part2ILi512ELi8E25rocblas_finalize_identityf16rocblas_bfloat16EviPT2_PT3_.has_recursion, 0
	.set _ZL30rocblas_reduction_kernel_part2ILi512ELi8E25rocblas_finalize_identityf16rocblas_bfloat16EviPT2_PT3_.has_indirect_call, 0
	.section	.AMDGPU.csdata,"",@progbits
; Kernel info:
; codeLenInByte = 896
; TotalNumSgprs: 18
; NumVgprs: 14
; ScratchSize: 0
; MemoryBound: 0
; FloatMode: 240
; IeeeMode: 1
; LDSByteSize: 128 bytes/workgroup (compile time only)
; SGPRBlocks: 0
; VGPRBlocks: 0
; NumSGPRsForWavesPerEU: 18
; NumVGPRsForWavesPerEU: 14
; NamedBarCnt: 0
; Occupancy: 16
; WaveLimiterHint : 0
; COMPUTE_PGM_RSRC2:SCRATCH_EN: 0
; COMPUTE_PGM_RSRC2:USER_SGPR: 2
; COMPUTE_PGM_RSRC2:TRAP_HANDLER: 0
; COMPUTE_PGM_RSRC2:TGID_X_EN: 1
; COMPUTE_PGM_RSRC2:TGID_Y_EN: 0
; COMPUTE_PGM_RSRC2:TGID_Z_EN: 0
; COMPUTE_PGM_RSRC2:TIDIG_COMP_CNT: 0
	.section	.text._ZL28rocblas_dot_batched_4_kernelIiLi32ELi4ELb1Ef16rocblas_bfloat16PKPKS0_EviT5_lT_lS5_lS6_liPT4_,"axG",@progbits,_ZL28rocblas_dot_batched_4_kernelIiLi32ELi4ELb1Ef16rocblas_bfloat16PKPKS0_EviT5_lT_lS5_lS6_liPT4_,comdat
	.globl	_ZL28rocblas_dot_batched_4_kernelIiLi32ELi4ELb1Ef16rocblas_bfloat16PKPKS0_EviT5_lT_lS5_lS6_liPT4_ ; -- Begin function _ZL28rocblas_dot_batched_4_kernelIiLi32ELi4ELb1Ef16rocblas_bfloat16PKPKS0_EviT5_lT_lS5_lS6_liPT4_
	.p2align	8
	.type	_ZL28rocblas_dot_batched_4_kernelIiLi32ELi4ELb1Ef16rocblas_bfloat16PKPKS0_EviT5_lT_lS5_lS6_liPT4_,@function
_ZL28rocblas_dot_batched_4_kernelIiLi32ELi4ELb1Ef16rocblas_bfloat16PKPKS0_EviT5_lT_lS5_lS6_liPT4_: ; @_ZL28rocblas_dot_batched_4_kernelIiLi32ELi4ELb1Ef16rocblas_bfloat16PKPKS0_EviT5_lT_lS5_lS6_liPT4_
; %bb.0:
	s_load_b32 s2, s[0:1], 0x48
	s_bfe_u32 s3, ttmp6, 0x4000c
	s_and_b32 s4, ttmp6, 15
	s_add_co_i32 s3, s3, 1
	v_bfe_u32 v1, v0, 10, 10
	s_mul_i32 s3, ttmp9, s3
	s_delay_alu instid0(SALU_CYCLE_1) | instskip(SKIP_1) | instid1(SALU_CYCLE_1)
	s_add_co_i32 s4, s4, s3
	s_getreg_b32 s3, hwreg(HW_REG_IB_STS2, 6, 4)
	s_cmp_eq_u32 s3, 0
	s_cselect_b32 s3, ttmp9, s4
	s_delay_alu instid0(SALU_CYCLE_1) | instskip(SKIP_1) | instid1(VALU_DEP_1)
	v_lshl_add_u32 v2, s3, 2, v1
	s_wait_kmcnt 0x0
	v_cmp_gt_u32_e32 vcc_lo, s2, v2
	s_and_saveexec_b32 s2, vcc_lo
	s_cbranch_execz .LBB203_11
; %bb.1:
	s_load_b32 s6, s[0:1], 0x0
	v_mov_b32_e32 v3, 0
	v_and_b32_e32 v0, 0x3ff, v0
	s_mov_b32 s7, exec_lo
	s_delay_alu instid0(VALU_DEP_2) | instskip(SKIP_1) | instid1(VALU_DEP_2)
	v_mov_b32_e32 v1, v3
	s_wait_kmcnt 0x0
	v_cmpx_gt_i32_e64 s6, v0
	s_cbranch_execz .LBB203_5
; %bb.2:
	s_clause 0x1
	s_load_b128 s[8:11], s[0:1], 0x8
	s_load_b128 s[12:15], s[0:1], 0x28
	v_lshlrev_b64_e32 v[4:5], 3, v[2:3]
	s_clause 0x1
	s_load_b32 s2, s[0:1], 0x18
	s_load_b32 s4, s[0:1], 0x38
	v_mov_b32_e32 v1, 0
	s_wait_kmcnt 0x0
	s_delay_alu instid0(VALU_DEP_2)
	v_add_nc_u64_e32 v[6:7], s[8:9], v[4:5]
	v_add_nc_u64_e32 v[4:5], s[12:13], v[4:5]
	s_ashr_i32 s3, s2, 31
	s_lshl_b64 s[8:9], s[10:11], 1
	s_ashr_i32 s5, s4, 31
	s_lshl_b64 s[10:11], s[14:15], 1
	global_load_b64 v[8:9], v[6:7], off
	global_load_b64 v[10:11], v[4:5], off
	s_wait_xcnt 0x0
	v_mul_u64_e32 v[4:5], s[2:3], v[0:1]
	s_lshl_b64 s[2:3], s[2:3], 6
	s_delay_alu instid0(VALU_DEP_1) | instskip(SKIP_2) | instid1(VALU_DEP_1)
	v_lshl_add_u64 v[4:5], v[4:5], 1, s[8:9]
	s_mov_b32 s8, 0
	s_wait_loadcnt 0x1
	v_add_nc_u64_e32 v[4:5], v[8:9], v[4:5]
	v_mov_b32_e32 v8, v0
	v_mul_u64_e32 v[6:7], s[4:5], v[0:1]
	s_lshl_b64 s[4:5], s[4:5], 6
	s_delay_alu instid0(VALU_DEP_1) | instskip(SKIP_1) | instid1(VALU_DEP_1)
	v_lshl_add_u64 v[6:7], v[6:7], 1, s[10:11]
	s_wait_loadcnt 0x0
	v_add_nc_u64_e32 v[6:7], v[10:11], v[6:7]
.LBB203_3:                              ; =>This Inner Loop Header: Depth=1
	flat_load_u16 v9, v[4:5]
	flat_load_u16 v10, v[6:7]
	v_add_nc_u32_e32 v8, 32, v8
	s_wait_xcnt 0x1
	v_add_nc_u64_e32 v[4:5], s[2:3], v[4:5]
	s_wait_xcnt 0x0
	v_add_nc_u64_e32 v[6:7], s[4:5], v[6:7]
	v_cmp_le_i32_e32 vcc_lo, s6, v8
	s_or_b32 s8, vcc_lo, s8
	s_wait_loadcnt_dscnt 0x0
	v_fma_mix_f32_bf16 v1, v10, v9, v1 op_sel_hi:[1,1,0]
	s_and_not1_b32 exec_lo, exec_lo, s8
	s_cbranch_execnz .LBB203_3
; %bb.4:
	s_or_b32 exec_lo, exec_lo, s8
.LBB203_5:
	s_delay_alu instid0(SALU_CYCLE_1) | instskip(SKIP_4) | instid1(VALU_DEP_1)
	s_or_b32 exec_lo, exec_lo, s7
	v_mbcnt_lo_u32_b32 v4, -1, 0
	s_load_b64 s[0:1], s[0:1], 0x50
	s_barrier_signal -1
	s_barrier_wait -1
	v_lshl_or_b32 v5, v4, 2, 64
	v_cmp_gt_u32_e32 vcc_lo, 24, v4
	ds_bpermute_b32 v5, v5, v1
	v_cndmask_b32_e64 v6, 0, 8, vcc_lo
	v_cmp_gt_u32_e32 vcc_lo, 28, v4
	s_delay_alu instid0(VALU_DEP_2)
	v_add_lshl_u32 v6, v6, v4, 2
	s_wait_dscnt 0x0
	v_add_f32_e32 v1, v1, v5
	ds_bpermute_b32 v5, v6, v1
	v_cndmask_b32_e64 v6, 0, 4, vcc_lo
	v_cmp_gt_u32_e32 vcc_lo, 30, v4
	s_delay_alu instid0(VALU_DEP_2)
	v_add_lshl_u32 v6, v6, v4, 2
	s_wait_dscnt 0x0
	v_add_f32_e32 v1, v1, v5
	ds_bpermute_b32 v5, v6, v1
	v_cndmask_b32_e64 v6, 0, 2, vcc_lo
	v_cmp_ne_u32_e32 vcc_lo, 31, v4
	s_delay_alu instid0(VALU_DEP_2) | instskip(SKIP_3) | instid1(VALU_DEP_2)
	v_add_lshl_u32 v6, v6, v4, 2
	v_add_co_ci_u32_e64 v4, null, 0, v4, vcc_lo
	v_cmp_eq_u32_e32 vcc_lo, 0, v0
	s_wait_dscnt 0x0
	v_dual_add_f32 v1, v1, v5 :: v_dual_lshlrev_b32 v4, 2, v4
	ds_bpermute_b32 v5, v6, v1
	s_wait_dscnt 0x0
	v_add_f32_e32 v1, v1, v5
	ds_bpermute_b32 v4, v4, v1
	s_and_b32 exec_lo, exec_lo, vcc_lo
	s_cbranch_execz .LBB203_11
; %bb.6:
	s_wait_dscnt 0x0
	v_add_f32_e32 v0, v1, v4
	s_delay_alu instid0(VALU_DEP_1) | instskip(NEXT) | instid1(VALU_DEP_1)
	v_and_b32_e32 v1, 0x7f800000, v0
	v_cmp_ne_u32_e32 vcc_lo, 0x7f800000, v1
                                        ; implicit-def: $vgpr1
	s_and_saveexec_b32 s2, vcc_lo
	s_delay_alu instid0(SALU_CYCLE_1)
	s_xor_b32 s2, exec_lo, s2
; %bb.7:
	v_bfe_u32 v1, v0, 16, 1
	s_delay_alu instid0(VALU_DEP_1)
	v_add3_u32 v1, v0, v1, 0x7fff
                                        ; implicit-def: $vgpr0
; %bb.8:
	s_and_not1_saveexec_b32 s2, s2
; %bb.9:
	v_and_b32_e32 v1, 0xffff, v0
	v_or_b32_e32 v4, 0x10000, v0
	s_delay_alu instid0(VALU_DEP_2) | instskip(NEXT) | instid1(VALU_DEP_2)
	v_cmp_eq_u32_e32 vcc_lo, 0, v1
	v_cndmask_b32_e32 v1, v4, v0, vcc_lo
; %bb.10:
	s_or_b32 exec_lo, exec_lo, s2
	s_wait_kmcnt 0x0
	v_lshl_add_u64 v[2:3], v[2:3], 1, s[0:1]
	global_store_d16_hi_b16 v[2:3], v1, off
.LBB203_11:
	s_endpgm
	.section	.rodata,"a",@progbits
	.p2align	6, 0x0
	.amdhsa_kernel _ZL28rocblas_dot_batched_4_kernelIiLi32ELi4ELb1Ef16rocblas_bfloat16PKPKS0_EviT5_lT_lS5_lS6_liPT4_
		.amdhsa_group_segment_fixed_size 0
		.amdhsa_private_segment_fixed_size 0
		.amdhsa_kernarg_size 88
		.amdhsa_user_sgpr_count 2
		.amdhsa_user_sgpr_dispatch_ptr 0
		.amdhsa_user_sgpr_queue_ptr 0
		.amdhsa_user_sgpr_kernarg_segment_ptr 1
		.amdhsa_user_sgpr_dispatch_id 0
		.amdhsa_user_sgpr_kernarg_preload_length 0
		.amdhsa_user_sgpr_kernarg_preload_offset 0
		.amdhsa_user_sgpr_private_segment_size 0
		.amdhsa_wavefront_size32 1
		.amdhsa_uses_dynamic_stack 0
		.amdhsa_enable_private_segment 0
		.amdhsa_system_sgpr_workgroup_id_x 1
		.amdhsa_system_sgpr_workgroup_id_y 0
		.amdhsa_system_sgpr_workgroup_id_z 0
		.amdhsa_system_sgpr_workgroup_info 0
		.amdhsa_system_vgpr_workitem_id 1
		.amdhsa_next_free_vgpr 12
		.amdhsa_next_free_sgpr 16
		.amdhsa_named_barrier_count 0
		.amdhsa_reserve_vcc 1
		.amdhsa_float_round_mode_32 0
		.amdhsa_float_round_mode_16_64 0
		.amdhsa_float_denorm_mode_32 3
		.amdhsa_float_denorm_mode_16_64 3
		.amdhsa_fp16_overflow 0
		.amdhsa_memory_ordered 1
		.amdhsa_forward_progress 1
		.amdhsa_inst_pref_size 6
		.amdhsa_round_robin_scheduling 0
		.amdhsa_exception_fp_ieee_invalid_op 0
		.amdhsa_exception_fp_denorm_src 0
		.amdhsa_exception_fp_ieee_div_zero 0
		.amdhsa_exception_fp_ieee_overflow 0
		.amdhsa_exception_fp_ieee_underflow 0
		.amdhsa_exception_fp_ieee_inexact 0
		.amdhsa_exception_int_div_zero 0
	.end_amdhsa_kernel
	.section	.text._ZL28rocblas_dot_batched_4_kernelIiLi32ELi4ELb1Ef16rocblas_bfloat16PKPKS0_EviT5_lT_lS5_lS6_liPT4_,"axG",@progbits,_ZL28rocblas_dot_batched_4_kernelIiLi32ELi4ELb1Ef16rocblas_bfloat16PKPKS0_EviT5_lT_lS5_lS6_liPT4_,comdat
.Lfunc_end203:
	.size	_ZL28rocblas_dot_batched_4_kernelIiLi32ELi4ELb1Ef16rocblas_bfloat16PKPKS0_EviT5_lT_lS5_lS6_liPT4_, .Lfunc_end203-_ZL28rocblas_dot_batched_4_kernelIiLi32ELi4ELb1Ef16rocblas_bfloat16PKPKS0_EviT5_lT_lS5_lS6_liPT4_
                                        ; -- End function
	.set _ZL28rocblas_dot_batched_4_kernelIiLi32ELi4ELb1Ef16rocblas_bfloat16PKPKS0_EviT5_lT_lS5_lS6_liPT4_.num_vgpr, 12
	.set _ZL28rocblas_dot_batched_4_kernelIiLi32ELi4ELb1Ef16rocblas_bfloat16PKPKS0_EviT5_lT_lS5_lS6_liPT4_.num_agpr, 0
	.set _ZL28rocblas_dot_batched_4_kernelIiLi32ELi4ELb1Ef16rocblas_bfloat16PKPKS0_EviT5_lT_lS5_lS6_liPT4_.numbered_sgpr, 16
	.set _ZL28rocblas_dot_batched_4_kernelIiLi32ELi4ELb1Ef16rocblas_bfloat16PKPKS0_EviT5_lT_lS5_lS6_liPT4_.num_named_barrier, 0
	.set _ZL28rocblas_dot_batched_4_kernelIiLi32ELi4ELb1Ef16rocblas_bfloat16PKPKS0_EviT5_lT_lS5_lS6_liPT4_.private_seg_size, 0
	.set _ZL28rocblas_dot_batched_4_kernelIiLi32ELi4ELb1Ef16rocblas_bfloat16PKPKS0_EviT5_lT_lS5_lS6_liPT4_.uses_vcc, 1
	.set _ZL28rocblas_dot_batched_4_kernelIiLi32ELi4ELb1Ef16rocblas_bfloat16PKPKS0_EviT5_lT_lS5_lS6_liPT4_.uses_flat_scratch, 0
	.set _ZL28rocblas_dot_batched_4_kernelIiLi32ELi4ELb1Ef16rocblas_bfloat16PKPKS0_EviT5_lT_lS5_lS6_liPT4_.has_dyn_sized_stack, 0
	.set _ZL28rocblas_dot_batched_4_kernelIiLi32ELi4ELb1Ef16rocblas_bfloat16PKPKS0_EviT5_lT_lS5_lS6_liPT4_.has_recursion, 0
	.set _ZL28rocblas_dot_batched_4_kernelIiLi32ELi4ELb1Ef16rocblas_bfloat16PKPKS0_EviT5_lT_lS5_lS6_liPT4_.has_indirect_call, 0
	.section	.AMDGPU.csdata,"",@progbits
; Kernel info:
; codeLenInByte = 720
; TotalNumSgprs: 18
; NumVgprs: 12
; ScratchSize: 0
; MemoryBound: 0
; FloatMode: 240
; IeeeMode: 1
; LDSByteSize: 0 bytes/workgroup (compile time only)
; SGPRBlocks: 0
; VGPRBlocks: 0
; NumSGPRsForWavesPerEU: 18
; NumVGPRsForWavesPerEU: 12
; NamedBarCnt: 0
; Occupancy: 16
; WaveLimiterHint : 0
; COMPUTE_PGM_RSRC2:SCRATCH_EN: 0
; COMPUTE_PGM_RSRC2:USER_SGPR: 2
; COMPUTE_PGM_RSRC2:TRAP_HANDLER: 0
; COMPUTE_PGM_RSRC2:TGID_X_EN: 1
; COMPUTE_PGM_RSRC2:TGID_Y_EN: 0
; COMPUTE_PGM_RSRC2:TGID_Z_EN: 0
; COMPUTE_PGM_RSRC2:TIDIG_COMP_CNT: 1
	.section	.text._ZL28rocblas_dot_batched_4_kernelIiLi64ELi4ELb1Ef16rocblas_bfloat16PKPKS0_EviT5_lT_lS5_lS6_liPT4_,"axG",@progbits,_ZL28rocblas_dot_batched_4_kernelIiLi64ELi4ELb1Ef16rocblas_bfloat16PKPKS0_EviT5_lT_lS5_lS6_liPT4_,comdat
	.globl	_ZL28rocblas_dot_batched_4_kernelIiLi64ELi4ELb1Ef16rocblas_bfloat16PKPKS0_EviT5_lT_lS5_lS6_liPT4_ ; -- Begin function _ZL28rocblas_dot_batched_4_kernelIiLi64ELi4ELb1Ef16rocblas_bfloat16PKPKS0_EviT5_lT_lS5_lS6_liPT4_
	.p2align	8
	.type	_ZL28rocblas_dot_batched_4_kernelIiLi64ELi4ELb1Ef16rocblas_bfloat16PKPKS0_EviT5_lT_lS5_lS6_liPT4_,@function
_ZL28rocblas_dot_batched_4_kernelIiLi64ELi4ELb1Ef16rocblas_bfloat16PKPKS0_EviT5_lT_lS5_lS6_liPT4_: ; @_ZL28rocblas_dot_batched_4_kernelIiLi64ELi4ELb1Ef16rocblas_bfloat16PKPKS0_EviT5_lT_lS5_lS6_liPT4_
; %bb.0:
	s_load_b32 s2, s[0:1], 0x48
	s_bfe_u32 s3, ttmp6, 0x4000c
	s_and_b32 s4, ttmp6, 15
	s_add_co_i32 s3, s3, 1
	v_bfe_u32 v1, v0, 10, 10
	s_mul_i32 s3, ttmp9, s3
	s_delay_alu instid0(SALU_CYCLE_1) | instskip(SKIP_1) | instid1(SALU_CYCLE_1)
	s_add_co_i32 s4, s4, s3
	s_getreg_b32 s3, hwreg(HW_REG_IB_STS2, 6, 4)
	s_cmp_eq_u32 s3, 0
	s_cselect_b32 s3, ttmp9, s4
	s_delay_alu instid0(SALU_CYCLE_1) | instskip(SKIP_1) | instid1(VALU_DEP_1)
	v_lshl_add_u32 v2, s3, 2, v1
	s_wait_kmcnt 0x0
	v_cmp_gt_u32_e32 vcc_lo, s2, v2
	s_and_saveexec_b32 s2, vcc_lo
	s_cbranch_execz .LBB204_11
; %bb.1:
	s_load_b32 s6, s[0:1], 0x0
	v_mov_b32_e32 v3, 0
	v_and_b32_e32 v0, 0x3ff, v0
	s_mov_b32 s7, exec_lo
	s_delay_alu instid0(VALU_DEP_2) | instskip(SKIP_1) | instid1(VALU_DEP_2)
	v_mov_b32_e32 v1, v3
	s_wait_kmcnt 0x0
	v_cmpx_gt_i32_e64 s6, v0
	s_cbranch_execz .LBB204_5
; %bb.2:
	s_clause 0x1
	s_load_b128 s[8:11], s[0:1], 0x8
	s_load_b128 s[12:15], s[0:1], 0x28
	v_lshlrev_b64_e32 v[4:5], 3, v[2:3]
	s_clause 0x1
	s_load_b32 s2, s[0:1], 0x18
	s_load_b32 s4, s[0:1], 0x38
	v_mov_b32_e32 v1, 0
	s_wait_kmcnt 0x0
	s_delay_alu instid0(VALU_DEP_2)
	v_add_nc_u64_e32 v[6:7], s[8:9], v[4:5]
	v_add_nc_u64_e32 v[4:5], s[12:13], v[4:5]
	s_ashr_i32 s3, s2, 31
	s_lshl_b64 s[8:9], s[10:11], 1
	s_ashr_i32 s5, s4, 31
	s_lshl_b64 s[10:11], s[14:15], 1
	global_load_b64 v[8:9], v[6:7], off
	global_load_b64 v[10:11], v[4:5], off
	s_wait_xcnt 0x0
	v_mul_u64_e32 v[4:5], s[2:3], v[0:1]
	s_lshl_b64 s[2:3], s[2:3], 7
	s_delay_alu instid0(VALU_DEP_1) | instskip(SKIP_2) | instid1(VALU_DEP_1)
	v_lshl_add_u64 v[4:5], v[4:5], 1, s[8:9]
	s_mov_b32 s8, 0
	s_wait_loadcnt 0x1
	v_add_nc_u64_e32 v[4:5], v[8:9], v[4:5]
	v_mov_b32_e32 v8, v0
	v_mul_u64_e32 v[6:7], s[4:5], v[0:1]
	s_lshl_b64 s[4:5], s[4:5], 7
	s_delay_alu instid0(VALU_DEP_1) | instskip(SKIP_1) | instid1(VALU_DEP_1)
	v_lshl_add_u64 v[6:7], v[6:7], 1, s[10:11]
	s_wait_loadcnt 0x0
	v_add_nc_u64_e32 v[6:7], v[10:11], v[6:7]
.LBB204_3:                              ; =>This Inner Loop Header: Depth=1
	flat_load_u16 v9, v[4:5]
	flat_load_u16 v10, v[6:7]
	v_add_nc_u32_e32 v8, 64, v8
	s_wait_xcnt 0x1
	v_add_nc_u64_e32 v[4:5], s[2:3], v[4:5]
	s_wait_xcnt 0x0
	v_add_nc_u64_e32 v[6:7], s[4:5], v[6:7]
	v_cmp_le_i32_e32 vcc_lo, s6, v8
	s_or_b32 s8, vcc_lo, s8
	s_wait_loadcnt_dscnt 0x0
	v_fma_mix_f32_bf16 v1, v10, v9, v1 op_sel_hi:[1,1,0]
	s_and_not1_b32 exec_lo, exec_lo, s8
	s_cbranch_execnz .LBB204_3
; %bb.4:
	s_or_b32 exec_lo, exec_lo, s8
.LBB204_5:
	s_delay_alu instid0(SALU_CYCLE_1) | instskip(SKIP_4) | instid1(VALU_DEP_1)
	s_or_b32 exec_lo, exec_lo, s7
	v_mbcnt_lo_u32_b32 v4, -1, 0
	s_load_b64 s[0:1], s[0:1], 0x50
	s_barrier_signal -1
	s_barrier_wait -1
	v_lshlrev_b32_e32 v5, 2, v4
	v_cmp_gt_u32_e32 vcc_lo, 24, v4
	ds_bpermute_b32 v6, v5, v1
	s_wait_dscnt 0x0
	v_dual_add_f32 v1, v1, v6 :: v_dual_bitop2_b32 v5, 64, v5 bitop3:0x54
	v_cndmask_b32_e64 v6, 0, 8, vcc_lo
	v_cmp_gt_u32_e32 vcc_lo, 28, v4
	ds_bpermute_b32 v5, v5, v1
	v_add_lshl_u32 v6, v6, v4, 2
	s_wait_dscnt 0x0
	v_add_f32_e32 v1, v1, v5
	ds_bpermute_b32 v5, v6, v1
	v_cndmask_b32_e64 v6, 0, 4, vcc_lo
	v_cmp_gt_u32_e32 vcc_lo, 30, v4
	s_delay_alu instid0(VALU_DEP_2)
	v_add_lshl_u32 v6, v6, v4, 2
	s_wait_dscnt 0x0
	v_add_f32_e32 v1, v1, v5
	ds_bpermute_b32 v5, v6, v1
	v_cndmask_b32_e64 v6, 0, 2, vcc_lo
	v_cmp_ne_u32_e32 vcc_lo, 31, v4
	s_delay_alu instid0(VALU_DEP_2) | instskip(SKIP_3) | instid1(VALU_DEP_2)
	v_add_lshl_u32 v6, v6, v4, 2
	v_add_co_ci_u32_e64 v4, null, 0, v4, vcc_lo
	v_cmp_eq_u32_e32 vcc_lo, 0, v0
	s_wait_dscnt 0x0
	v_dual_add_f32 v1, v1, v5 :: v_dual_lshlrev_b32 v4, 2, v4
	ds_bpermute_b32 v5, v6, v1
	s_wait_dscnt 0x0
	v_add_f32_e32 v1, v1, v5
	ds_bpermute_b32 v4, v4, v1
	s_and_b32 exec_lo, exec_lo, vcc_lo
	s_cbranch_execz .LBB204_11
; %bb.6:
	s_wait_dscnt 0x0
	v_add_f32_e32 v0, v1, v4
	s_delay_alu instid0(VALU_DEP_1) | instskip(NEXT) | instid1(VALU_DEP_1)
	v_and_b32_e32 v1, 0x7f800000, v0
	v_cmp_ne_u32_e32 vcc_lo, 0x7f800000, v1
                                        ; implicit-def: $vgpr1
	s_and_saveexec_b32 s2, vcc_lo
	s_delay_alu instid0(SALU_CYCLE_1)
	s_xor_b32 s2, exec_lo, s2
; %bb.7:
	v_bfe_u32 v1, v0, 16, 1
	s_delay_alu instid0(VALU_DEP_1)
	v_add3_u32 v1, v0, v1, 0x7fff
                                        ; implicit-def: $vgpr0
; %bb.8:
	s_and_not1_saveexec_b32 s2, s2
; %bb.9:
	v_and_b32_e32 v1, 0xffff, v0
	v_or_b32_e32 v4, 0x10000, v0
	s_delay_alu instid0(VALU_DEP_2) | instskip(NEXT) | instid1(VALU_DEP_2)
	v_cmp_eq_u32_e32 vcc_lo, 0, v1
	v_cndmask_b32_e32 v1, v4, v0, vcc_lo
; %bb.10:
	s_or_b32 exec_lo, exec_lo, s2
	s_wait_kmcnt 0x0
	v_lshl_add_u64 v[2:3], v[2:3], 1, s[0:1]
	global_store_d16_hi_b16 v[2:3], v1, off
.LBB204_11:
	s_endpgm
	.section	.rodata,"a",@progbits
	.p2align	6, 0x0
	.amdhsa_kernel _ZL28rocblas_dot_batched_4_kernelIiLi64ELi4ELb1Ef16rocblas_bfloat16PKPKS0_EviT5_lT_lS5_lS6_liPT4_
		.amdhsa_group_segment_fixed_size 0
		.amdhsa_private_segment_fixed_size 0
		.amdhsa_kernarg_size 88
		.amdhsa_user_sgpr_count 2
		.amdhsa_user_sgpr_dispatch_ptr 0
		.amdhsa_user_sgpr_queue_ptr 0
		.amdhsa_user_sgpr_kernarg_segment_ptr 1
		.amdhsa_user_sgpr_dispatch_id 0
		.amdhsa_user_sgpr_kernarg_preload_length 0
		.amdhsa_user_sgpr_kernarg_preload_offset 0
		.amdhsa_user_sgpr_private_segment_size 0
		.amdhsa_wavefront_size32 1
		.amdhsa_uses_dynamic_stack 0
		.amdhsa_enable_private_segment 0
		.amdhsa_system_sgpr_workgroup_id_x 1
		.amdhsa_system_sgpr_workgroup_id_y 0
		.amdhsa_system_sgpr_workgroup_id_z 0
		.amdhsa_system_sgpr_workgroup_info 0
		.amdhsa_system_vgpr_workitem_id 1
		.amdhsa_next_free_vgpr 12
		.amdhsa_next_free_sgpr 16
		.amdhsa_named_barrier_count 0
		.amdhsa_reserve_vcc 1
		.amdhsa_float_round_mode_32 0
		.amdhsa_float_round_mode_16_64 0
		.amdhsa_float_denorm_mode_32 3
		.amdhsa_float_denorm_mode_16_64 3
		.amdhsa_fp16_overflow 0
		.amdhsa_memory_ordered 1
		.amdhsa_forward_progress 1
		.amdhsa_inst_pref_size 6
		.amdhsa_round_robin_scheduling 0
		.amdhsa_exception_fp_ieee_invalid_op 0
		.amdhsa_exception_fp_denorm_src 0
		.amdhsa_exception_fp_ieee_div_zero 0
		.amdhsa_exception_fp_ieee_overflow 0
		.amdhsa_exception_fp_ieee_underflow 0
		.amdhsa_exception_fp_ieee_inexact 0
		.amdhsa_exception_int_div_zero 0
	.end_amdhsa_kernel
	.section	.text._ZL28rocblas_dot_batched_4_kernelIiLi64ELi4ELb1Ef16rocblas_bfloat16PKPKS0_EviT5_lT_lS5_lS6_liPT4_,"axG",@progbits,_ZL28rocblas_dot_batched_4_kernelIiLi64ELi4ELb1Ef16rocblas_bfloat16PKPKS0_EviT5_lT_lS5_lS6_liPT4_,comdat
.Lfunc_end204:
	.size	_ZL28rocblas_dot_batched_4_kernelIiLi64ELi4ELb1Ef16rocblas_bfloat16PKPKS0_EviT5_lT_lS5_lS6_liPT4_, .Lfunc_end204-_ZL28rocblas_dot_batched_4_kernelIiLi64ELi4ELb1Ef16rocblas_bfloat16PKPKS0_EviT5_lT_lS5_lS6_liPT4_
                                        ; -- End function
	.set _ZL28rocblas_dot_batched_4_kernelIiLi64ELi4ELb1Ef16rocblas_bfloat16PKPKS0_EviT5_lT_lS5_lS6_liPT4_.num_vgpr, 12
	.set _ZL28rocblas_dot_batched_4_kernelIiLi64ELi4ELb1Ef16rocblas_bfloat16PKPKS0_EviT5_lT_lS5_lS6_liPT4_.num_agpr, 0
	.set _ZL28rocblas_dot_batched_4_kernelIiLi64ELi4ELb1Ef16rocblas_bfloat16PKPKS0_EviT5_lT_lS5_lS6_liPT4_.numbered_sgpr, 16
	.set _ZL28rocblas_dot_batched_4_kernelIiLi64ELi4ELb1Ef16rocblas_bfloat16PKPKS0_EviT5_lT_lS5_lS6_liPT4_.num_named_barrier, 0
	.set _ZL28rocblas_dot_batched_4_kernelIiLi64ELi4ELb1Ef16rocblas_bfloat16PKPKS0_EviT5_lT_lS5_lS6_liPT4_.private_seg_size, 0
	.set _ZL28rocblas_dot_batched_4_kernelIiLi64ELi4ELb1Ef16rocblas_bfloat16PKPKS0_EviT5_lT_lS5_lS6_liPT4_.uses_vcc, 1
	.set _ZL28rocblas_dot_batched_4_kernelIiLi64ELi4ELb1Ef16rocblas_bfloat16PKPKS0_EviT5_lT_lS5_lS6_liPT4_.uses_flat_scratch, 0
	.set _ZL28rocblas_dot_batched_4_kernelIiLi64ELi4ELb1Ef16rocblas_bfloat16PKPKS0_EviT5_lT_lS5_lS6_liPT4_.has_dyn_sized_stack, 0
	.set _ZL28rocblas_dot_batched_4_kernelIiLi64ELi4ELb1Ef16rocblas_bfloat16PKPKS0_EviT5_lT_lS5_lS6_liPT4_.has_recursion, 0
	.set _ZL28rocblas_dot_batched_4_kernelIiLi64ELi4ELb1Ef16rocblas_bfloat16PKPKS0_EviT5_lT_lS5_lS6_liPT4_.has_indirect_call, 0
	.section	.AMDGPU.csdata,"",@progbits
; Kernel info:
; codeLenInByte = 736
; TotalNumSgprs: 18
; NumVgprs: 12
; ScratchSize: 0
; MemoryBound: 0
; FloatMode: 240
; IeeeMode: 1
; LDSByteSize: 0 bytes/workgroup (compile time only)
; SGPRBlocks: 0
; VGPRBlocks: 0
; NumSGPRsForWavesPerEU: 18
; NumVGPRsForWavesPerEU: 12
; NamedBarCnt: 0
; Occupancy: 16
; WaveLimiterHint : 0
; COMPUTE_PGM_RSRC2:SCRATCH_EN: 0
; COMPUTE_PGM_RSRC2:USER_SGPR: 2
; COMPUTE_PGM_RSRC2:TRAP_HANDLER: 0
; COMPUTE_PGM_RSRC2:TGID_X_EN: 1
; COMPUTE_PGM_RSRC2:TGID_Y_EN: 0
; COMPUTE_PGM_RSRC2:TGID_Z_EN: 0
; COMPUTE_PGM_RSRC2:TIDIG_COMP_CNT: 1
	.section	.text._ZL26rocblas_dot_kernel_inc1by2ILb1ELi1024ELi32ELb1E16rocblas_bfloat16PKPKS0_fEviT4_llS5_lliPT5_PT3_,"axG",@progbits,_ZL26rocblas_dot_kernel_inc1by2ILb1ELi1024ELi32ELb1E16rocblas_bfloat16PKPKS0_fEviT4_llS5_lliPT5_PT3_,comdat
	.globl	_ZL26rocblas_dot_kernel_inc1by2ILb1ELi1024ELi32ELb1E16rocblas_bfloat16PKPKS0_fEviT4_llS5_lliPT5_PT3_ ; -- Begin function _ZL26rocblas_dot_kernel_inc1by2ILb1ELi1024ELi32ELb1E16rocblas_bfloat16PKPKS0_fEviT4_llS5_lliPT5_PT3_
	.p2align	8
	.type	_ZL26rocblas_dot_kernel_inc1by2ILb1ELi1024ELi32ELb1E16rocblas_bfloat16PKPKS0_fEviT4_llS5_lliPT5_PT3_,@function
_ZL26rocblas_dot_kernel_inc1by2ILb1ELi1024ELi32ELb1E16rocblas_bfloat16PKPKS0_fEviT4_llS5_lliPT5_PT3_: ; @_ZL26rocblas_dot_kernel_inc1by2ILb1ELi1024ELi32ELb1E16rocblas_bfloat16PKPKS0_fEviT4_llS5_lliPT5_PT3_
; %bb.0:
	s_load_b32 s3, s[0:1], 0x38
	s_bfe_u32 s2, ttmp6, 0x40014
	s_lshr_b32 s4, ttmp7, 16
	s_add_co_i32 s2, s2, 1
	s_bfe_u32 s5, ttmp6, 0x40008
	s_mul_i32 s2, s4, s2
	s_getreg_b32 s6, hwreg(HW_REG_IB_STS2, 6, 4)
	s_add_co_i32 s5, s5, s2
	s_cmp_eq_u32 s6, 0
	s_mov_b32 s13, 0
	s_cselect_b32 s12, s4, s5
	s_wait_kmcnt 0x0
	s_cmp_ge_u32 s12, s3
	s_cbranch_scc1 .LBB205_23
; %bb.1:
	v_mbcnt_lo_u32_b32 v2, -1, 0
	s_clause 0x3
	s_load_b32 s16, s[0:1], 0x0
	s_load_b128 s[4:7], s[0:1], 0x8
	s_load_b64 s[14:15], s[0:1], 0x48
	s_load_b128 s[8:11], s[0:1], 0x20
	v_dual_lshrrev_b32 v3, 3, v0 :: v_dual_bitop2_b32 v1, 31, v0 bitop3:0x40
	s_wait_xcnt 0x0
	v_cmp_gt_u32_e64 s0, 24, v2
	v_lshl_or_b32 v7, v2, 2, 64
	v_cmp_eq_u32_e64 s1, 0, v0
	v_mov_b32_e32 v13, 0
	v_and_b32_e32 v12, 0x7c, v3
	v_cndmask_b32_e64 v4, 0, 8, s0
	v_cmp_gt_u32_e64 s0, 28, v2
	v_cmp_gt_u32_e32 vcc_lo, 32, v0
	s_delay_alu instid0(VALU_DEP_3) | instskip(NEXT) | instid1(VALU_DEP_3)
	v_add_lshl_u32 v8, v4, v2, 2
	v_cndmask_b32_e64 v5, 0, 4, s0
	v_cmp_gt_u32_e64 s0, 30, v2
	s_wait_kmcnt 0x0
	s_ashr_i32 s17, s16, 31
	s_add_co_i32 s22, s16, -1
	v_cndmask_b32_e64 v10, 0, 2, s0
	v_cmp_ne_u32_e64 s0, 31, v2
	v_add_lshl_u32 v9, v5, v2, 2
	s_bitcmp1_b32 s16, 0
	v_add_lshl_u32 v10, v10, v2, 2
	v_add_co_ci_u32_e64 v11, null, 0, v2, s0
	v_lshlrev_b32_e32 v6, 2, v1
	v_cmp_eq_u32_e64 s0, 0, v1
	s_cselect_b32 s23, -1, 0
	v_lshlrev_b32_e32 v11, 2, v11
	s_lshl_b64 s[6:7], s[6:7], 1
	s_lshl_b64 s[10:11], s[10:11], 1
	;; [unrolled: 1-line block ×3, first 2 shown]
	s_branch .LBB205_4
.LBB205_2:                              ;   in Loop: Header=BB205_4 Depth=1
	s_or_b32 exec_lo, exec_lo, s19
	s_lshl_b64 s[20:21], s[12:13], 1
	s_delay_alu instid0(SALU_CYCLE_1)
	s_add_nc_u64 s[20:21], s[14:15], s[20:21]
	global_store_d16_hi_b16 v13, v2, s[20:21]
.LBB205_3:                              ;   in Loop: Header=BB205_4 Depth=1
	s_wait_xcnt 0x0
	s_or_b32 exec_lo, exec_lo, s18
	s_add_co_i32 s12, s12, 0x10000
	s_delay_alu instid0(SALU_CYCLE_1)
	s_cmp_lt_u32 s12, s3
	s_cbranch_scc0 .LBB205_23
.LBB205_4:                              ; =>This Loop Header: Depth=1
                                        ;     Child Loop BB205_6 Depth 2
	s_load_b64 s[18:19], s[4:5], s12 offset:0x0 scale_offset
	s_load_b64 s[20:21], s[8:9], s12 offset:0x0 scale_offset
	s_wait_dscnt 0x0
	v_dual_mov_b32 v1, 0 :: v_dual_lshlrev_b32 v0, 1, v0
	s_mov_b32 s24, exec_lo
	s_wait_kmcnt 0x0
	s_add_nc_u64 s[18:19], s[18:19], s[6:7]
	s_add_nc_u64 s[20:21], s[20:21], s[10:11]
	v_cmpx_gt_i32_e64 s22, v0
	s_cbranch_execz .LBB205_8
; %bb.5:                                ;   in Loop: Header=BB205_4 Depth=1
	v_ashrrev_i32_e32 v1, 31, v0
	s_mov_b32 s25, 0
	s_mov_b32 s2, 0
	s_delay_alu instid0(VALU_DEP_1) | instskip(SKIP_1) | instid1(VALU_DEP_2)
	v_lshlrev_b64_e32 v[4:5], 1, v[0:1]
	v_mov_b32_e32 v1, 0
	v_add_nc_u64_e32 v[2:3], s[18:19], v[4:5]
	v_add_nc_u64_e32 v[4:5], s[20:21], v[4:5]
.LBB205_6:                              ;   Parent Loop BB205_4 Depth=1
                                        ; =>  This Inner Loop Header: Depth=2
	flat_load_b32 v14, v[4:5]
	flat_load_b32 v16, v[2:3]
	s_add_co_i32 s26, s2, 1
	s_cmp_gt_u32 s2, 30
	s_wait_xcnt 0x0
	v_add_nc_u64_e32 v[2:3], 0x1000, v[2:3]
	s_cselect_b32 s27, -1, 0
	v_add_nc_u64_e32 v[4:5], 0x1000, v[4:5]
	s_wait_loadcnt_dscnt 0x101
	v_and_b32_e32 v15, 0xffff0000, v14
	v_lshlrev_b32_e32 v14, 16, v14
	s_wait_loadcnt_dscnt 0x0
	v_and_b32_e32 v17, 0xffff0000, v16
	v_lshlrev_b32_e32 v16, 16, v16
	s_delay_alu instid0(VALU_DEP_1) | instskip(NEXT) | instid1(VALU_DEP_1)
	v_pk_mul_f32 v[14:15], v[14:15], v[16:17]
	v_dual_add_f32 v1, v1, v14 :: v_dual_add_nc_u32 v0, 0x800, v0
	s_delay_alu instid0(VALU_DEP_1) | instskip(NEXT) | instid1(VALU_DEP_2)
	v_cmp_le_i32_e64 s2, s22, v0
	v_add_f32_e32 v1, v1, v15
	s_or_b32 s2, s27, s2
	s_delay_alu instid0(SALU_CYCLE_1) | instskip(NEXT) | instid1(SALU_CYCLE_1)
	s_and_b32 s2, exec_lo, s2
	s_or_b32 s25, s2, s25
	s_mov_b32 s2, s26
	s_and_not1_b32 exec_lo, exec_lo, s25
	s_cbranch_execnz .LBB205_6
; %bb.7:                                ;   in Loop: Header=BB205_4 Depth=1
	s_or_b32 exec_lo, exec_lo, s25
.LBB205_8:                              ;   in Loop: Header=BB205_4 Depth=1
	s_delay_alu instid0(SALU_CYCLE_1) | instskip(SKIP_2) | instid1(SALU_CYCLE_1)
	s_or_b32 exec_lo, exec_lo, s24
	v_cmp_eq_u32_e64 s2, s22, v0
	s_and_b32 s24, s23, s2
	s_and_saveexec_b32 s2, s24
	s_cbranch_execz .LBB205_10
; %bb.9:                                ;   in Loop: Header=BB205_4 Depth=1
	s_add_nc_u64 s[20:21], s[20:21], s[16:17]
	s_add_nc_u64 s[18:19], s[18:19], s[16:17]
	s_clause 0x1
	flat_load_u16 v2, v13, s[20:21] offset:-2
	flat_load_u16 v3, v13, s[18:19] offset:-2
	s_wait_loadcnt_dscnt 0x0
	v_fma_mix_f32_bf16 v1, v3, v2, v1 op_sel_hi:[1,1,0]
.LBB205_10:                             ;   in Loop: Header=BB205_4 Depth=1
	s_wait_xcnt 0x0
	s_or_b32 exec_lo, exec_lo, s2
	s_and_saveexec_b32 s2, vcc_lo
; %bb.11:                               ;   in Loop: Header=BB205_4 Depth=1
	ds_store_b32 v6, v13
; %bb.12:                               ;   in Loop: Header=BB205_4 Depth=1
	s_or_b32 exec_lo, exec_lo, s2
	ds_bpermute_b32 v2, v7, v1
	s_wait_dscnt 0x0
	s_barrier_signal -1
	s_barrier_wait -1
	v_add_f32_e32 v1, v1, v2
	ds_bpermute_b32 v2, v8, v1
	s_wait_dscnt 0x0
	v_add_f32_e32 v1, v1, v2
	ds_bpermute_b32 v2, v9, v1
	s_wait_dscnt 0x0
	;; [unrolled: 3-line block ×3, first 2 shown]
	v_add_f32_e32 v1, v1, v2
	ds_bpermute_b32 v2, v11, v1
	s_and_saveexec_b32 s2, s0
	s_cbranch_execz .LBB205_14
; %bb.13:                               ;   in Loop: Header=BB205_4 Depth=1
	s_wait_dscnt 0x0
	v_add_f32_e32 v1, v1, v2
	ds_store_b32 v12, v1
.LBB205_14:                             ;   in Loop: Header=BB205_4 Depth=1
	s_or_b32 exec_lo, exec_lo, s2
	v_mov_b32_e32 v1, 0
	s_wait_dscnt 0x0
	s_barrier_signal -1
	s_barrier_wait -1
	s_and_saveexec_b32 s2, vcc_lo
	s_cbranch_execnz .LBB205_17
; %bb.15:                               ;   in Loop: Header=BB205_4 Depth=1
	s_or_b32 exec_lo, exec_lo, s2
	s_and_saveexec_b32 s2, vcc_lo
	s_cbranch_execnz .LBB205_18
.LBB205_16:                             ;   in Loop: Header=BB205_4 Depth=1
	s_or_b32 exec_lo, exec_lo, s2
	s_and_saveexec_b32 s18, s1
	s_cbranch_execz .LBB205_3
	s_branch .LBB205_19
.LBB205_17:                             ;   in Loop: Header=BB205_4 Depth=1
	ds_load_b32 v1, v6
	s_or_b32 exec_lo, exec_lo, s2
	s_and_saveexec_b32 s2, vcc_lo
	s_cbranch_execz .LBB205_16
.LBB205_18:                             ;   in Loop: Header=BB205_4 Depth=1
	s_wait_dscnt 0x0
	ds_bpermute_b32 v2, v7, v1
	s_wait_dscnt 0x0
	v_add_f32_e32 v1, v1, v2
	ds_bpermute_b32 v2, v8, v1
	s_wait_dscnt 0x0
	v_add_f32_e32 v1, v1, v2
	;; [unrolled: 3-line block ×5, first 2 shown]
	s_or_b32 exec_lo, exec_lo, s2
	s_and_saveexec_b32 s18, s1
	s_cbranch_execz .LBB205_3
.LBB205_19:                             ;   in Loop: Header=BB205_4 Depth=1
	s_wait_dscnt 0x0
	v_and_b32_e32 v2, 0x7f800000, v1
	s_delay_alu instid0(VALU_DEP_1) | instskip(SKIP_1) | instid1(SALU_CYCLE_1)
	v_cmp_ne_u32_e64 s2, 0x7f800000, v2
                                        ; implicit-def: $vgpr2
	s_and_saveexec_b32 s19, s2
	s_xor_b32 s2, exec_lo, s19
; %bb.20:                               ;   in Loop: Header=BB205_4 Depth=1
	v_bfe_u32 v2, v1, 16, 1
	s_delay_alu instid0(VALU_DEP_1)
	v_add3_u32 v2, v1, v2, 0x7fff
                                        ; implicit-def: $vgpr1
; %bb.21:                               ;   in Loop: Header=BB205_4 Depth=1
	s_and_not1_saveexec_b32 s19, s2
	s_cbranch_execz .LBB205_2
; %bb.22:                               ;   in Loop: Header=BB205_4 Depth=1
	v_and_b32_e32 v2, 0xffff, v1
	v_or_b32_e32 v3, 0x10000, v1
	s_delay_alu instid0(VALU_DEP_2) | instskip(NEXT) | instid1(VALU_DEP_1)
	v_cmp_eq_u32_e64 s2, 0, v2
	v_cndmask_b32_e64 v2, v3, v1, s2
	s_branch .LBB205_2
.LBB205_23:
	s_endpgm
	.section	.rodata,"a",@progbits
	.p2align	6, 0x0
	.amdhsa_kernel _ZL26rocblas_dot_kernel_inc1by2ILb1ELi1024ELi32ELb1E16rocblas_bfloat16PKPKS0_fEviT4_llS5_lliPT5_PT3_
		.amdhsa_group_segment_fixed_size 128
		.amdhsa_private_segment_fixed_size 0
		.amdhsa_kernarg_size 80
		.amdhsa_user_sgpr_count 2
		.amdhsa_user_sgpr_dispatch_ptr 0
		.amdhsa_user_sgpr_queue_ptr 0
		.amdhsa_user_sgpr_kernarg_segment_ptr 1
		.amdhsa_user_sgpr_dispatch_id 0
		.amdhsa_user_sgpr_kernarg_preload_length 0
		.amdhsa_user_sgpr_kernarg_preload_offset 0
		.amdhsa_user_sgpr_private_segment_size 0
		.amdhsa_wavefront_size32 1
		.amdhsa_uses_dynamic_stack 0
		.amdhsa_enable_private_segment 0
		.amdhsa_system_sgpr_workgroup_id_x 1
		.amdhsa_system_sgpr_workgroup_id_y 0
		.amdhsa_system_sgpr_workgroup_id_z 1
		.amdhsa_system_sgpr_workgroup_info 0
		.amdhsa_system_vgpr_workitem_id 0
		.amdhsa_next_free_vgpr 18
		.amdhsa_next_free_sgpr 28
		.amdhsa_named_barrier_count 0
		.amdhsa_reserve_vcc 1
		.amdhsa_float_round_mode_32 0
		.amdhsa_float_round_mode_16_64 0
		.amdhsa_float_denorm_mode_32 3
		.amdhsa_float_denorm_mode_16_64 3
		.amdhsa_fp16_overflow 0
		.amdhsa_memory_ordered 1
		.amdhsa_forward_progress 1
		.amdhsa_inst_pref_size 9
		.amdhsa_round_robin_scheduling 0
		.amdhsa_exception_fp_ieee_invalid_op 0
		.amdhsa_exception_fp_denorm_src 0
		.amdhsa_exception_fp_ieee_div_zero 0
		.amdhsa_exception_fp_ieee_overflow 0
		.amdhsa_exception_fp_ieee_underflow 0
		.amdhsa_exception_fp_ieee_inexact 0
		.amdhsa_exception_int_div_zero 0
	.end_amdhsa_kernel
	.section	.text._ZL26rocblas_dot_kernel_inc1by2ILb1ELi1024ELi32ELb1E16rocblas_bfloat16PKPKS0_fEviT4_llS5_lliPT5_PT3_,"axG",@progbits,_ZL26rocblas_dot_kernel_inc1by2ILb1ELi1024ELi32ELb1E16rocblas_bfloat16PKPKS0_fEviT4_llS5_lliPT5_PT3_,comdat
.Lfunc_end205:
	.size	_ZL26rocblas_dot_kernel_inc1by2ILb1ELi1024ELi32ELb1E16rocblas_bfloat16PKPKS0_fEviT4_llS5_lliPT5_PT3_, .Lfunc_end205-_ZL26rocblas_dot_kernel_inc1by2ILb1ELi1024ELi32ELb1E16rocblas_bfloat16PKPKS0_fEviT4_llS5_lliPT5_PT3_
                                        ; -- End function
	.set _ZL26rocblas_dot_kernel_inc1by2ILb1ELi1024ELi32ELb1E16rocblas_bfloat16PKPKS0_fEviT4_llS5_lliPT5_PT3_.num_vgpr, 18
	.set _ZL26rocblas_dot_kernel_inc1by2ILb1ELi1024ELi32ELb1E16rocblas_bfloat16PKPKS0_fEviT4_llS5_lliPT5_PT3_.num_agpr, 0
	.set _ZL26rocblas_dot_kernel_inc1by2ILb1ELi1024ELi32ELb1E16rocblas_bfloat16PKPKS0_fEviT4_llS5_lliPT5_PT3_.numbered_sgpr, 28
	.set _ZL26rocblas_dot_kernel_inc1by2ILb1ELi1024ELi32ELb1E16rocblas_bfloat16PKPKS0_fEviT4_llS5_lliPT5_PT3_.num_named_barrier, 0
	.set _ZL26rocblas_dot_kernel_inc1by2ILb1ELi1024ELi32ELb1E16rocblas_bfloat16PKPKS0_fEviT4_llS5_lliPT5_PT3_.private_seg_size, 0
	.set _ZL26rocblas_dot_kernel_inc1by2ILb1ELi1024ELi32ELb1E16rocblas_bfloat16PKPKS0_fEviT4_llS5_lliPT5_PT3_.uses_vcc, 1
	.set _ZL26rocblas_dot_kernel_inc1by2ILb1ELi1024ELi32ELb1E16rocblas_bfloat16PKPKS0_fEviT4_llS5_lliPT5_PT3_.uses_flat_scratch, 1
	.set _ZL26rocblas_dot_kernel_inc1by2ILb1ELi1024ELi32ELb1E16rocblas_bfloat16PKPKS0_fEviT4_llS5_lliPT5_PT3_.has_dyn_sized_stack, 0
	.set _ZL26rocblas_dot_kernel_inc1by2ILb1ELi1024ELi32ELb1E16rocblas_bfloat16PKPKS0_fEviT4_llS5_lliPT5_PT3_.has_recursion, 0
	.set _ZL26rocblas_dot_kernel_inc1by2ILb1ELi1024ELi32ELb1E16rocblas_bfloat16PKPKS0_fEviT4_llS5_lliPT5_PT3_.has_indirect_call, 0
	.section	.AMDGPU.csdata,"",@progbits
; Kernel info:
; codeLenInByte = 1096
; TotalNumSgprs: 30
; NumVgprs: 18
; ScratchSize: 0
; MemoryBound: 0
; FloatMode: 240
; IeeeMode: 1
; LDSByteSize: 128 bytes/workgroup (compile time only)
; SGPRBlocks: 0
; VGPRBlocks: 1
; NumSGPRsForWavesPerEU: 30
; NumVGPRsForWavesPerEU: 18
; NamedBarCnt: 0
; Occupancy: 16
; WaveLimiterHint : 1
; COMPUTE_PGM_RSRC2:SCRATCH_EN: 0
; COMPUTE_PGM_RSRC2:USER_SGPR: 2
; COMPUTE_PGM_RSRC2:TRAP_HANDLER: 0
; COMPUTE_PGM_RSRC2:TGID_X_EN: 1
; COMPUTE_PGM_RSRC2:TGID_Y_EN: 0
; COMPUTE_PGM_RSRC2:TGID_Z_EN: 1
; COMPUTE_PGM_RSRC2:TIDIG_COMP_CNT: 0
	.section	.text._ZL18rocblas_dot_kernelIiLb1ELi1024ELi32ELb1E16rocblas_bfloat16PKPKS0_fEviT5_lT_lS5_lS6_liPT6_PT4_,"axG",@progbits,_ZL18rocblas_dot_kernelIiLb1ELi1024ELi32ELb1E16rocblas_bfloat16PKPKS0_fEviT5_lT_lS5_lS6_liPT6_PT4_,comdat
	.globl	_ZL18rocblas_dot_kernelIiLb1ELi1024ELi32ELb1E16rocblas_bfloat16PKPKS0_fEviT5_lT_lS5_lS6_liPT6_PT4_ ; -- Begin function _ZL18rocblas_dot_kernelIiLb1ELi1024ELi32ELb1E16rocblas_bfloat16PKPKS0_fEviT5_lT_lS5_lS6_liPT6_PT4_
	.p2align	8
	.type	_ZL18rocblas_dot_kernelIiLb1ELi1024ELi32ELb1E16rocblas_bfloat16PKPKS0_fEviT5_lT_lS5_lS6_liPT6_PT4_,@function
_ZL18rocblas_dot_kernelIiLb1ELi1024ELi32ELb1E16rocblas_bfloat16PKPKS0_fEviT5_lT_lS5_lS6_liPT6_PT4_: ; @_ZL18rocblas_dot_kernelIiLb1ELi1024ELi32ELb1E16rocblas_bfloat16PKPKS0_fEviT5_lT_lS5_lS6_liPT6_PT4_
; %bb.0:
	s_load_b32 s3, s[0:1], 0x48
	s_bfe_u32 s2, ttmp6, 0x40014
	s_lshr_b32 s4, ttmp7, 16
	s_add_co_i32 s2, s2, 1
	s_bfe_u32 s5, ttmp6, 0x40008
	s_mul_i32 s2, s4, s2
	s_getreg_b32 s6, hwreg(HW_REG_IB_STS2, 6, 4)
	s_add_co_i32 s5, s5, s2
	s_cmp_eq_u32 s6, 0
	s_mov_b32 s17, 0
	s_cselect_b32 s16, s4, s5
	s_wait_kmcnt 0x0
	s_cmp_ge_u32 s16, s3
	s_cbranch_scc1 .LBB206_21
; %bb.1:
	v_mbcnt_lo_u32_b32 v3, -1, 0
	s_clause 0x5
	s_load_b32 s18, s[0:1], 0x18
	s_load_b32 s22, s[0:1], 0x38
	s_load_b96 s[12:14], s[0:1], 0x58
	s_load_b128 s[4:7], s[0:1], 0x28
	s_load_b128 s[8:11], s[0:1], 0x8
	s_load_b32 s26, s[0:1], 0x0
	v_and_b32_e32 v2, 31, v0
	s_wait_xcnt 0x0
	v_cmp_eq_u32_e64 s1, 0, v0
	v_cmp_gt_u32_e64 s0, 24, v3
	v_lshl_or_b32 v6, v3, 2, 64
	v_cmp_gt_u32_e32 vcc_lo, 32, v0
	v_mov_b32_e32 v12, 0
	s_delay_alu instid0(VALU_DEP_4) | instskip(SKIP_1) | instid1(VALU_DEP_2)
	v_cndmask_b32_e64 v4, 0, 8, s0
	v_cmp_gt_u32_e64 s0, 28, v3
	v_add_lshl_u32 v7, v4, v3, 2
	s_delay_alu instid0(VALU_DEP_2)
	v_cndmask_b32_e64 v5, 0, 4, s0
	v_cmp_gt_u32_e64 s0, 30, v3
	v_lshrrev_b32_e32 v4, 3, v0
	s_wait_kmcnt 0x0
	s_ashr_i32 s19, s18, 31
	s_lshl_b32 s14, s14, 10
	s_ashr_i32 s23, s22, 31
	v_cndmask_b32_e64 v9, 0, 2, s0
	v_cmp_ne_u32_e64 s0, 31, v3
	s_ashr_i32 s15, s14, 31
	v_lshlrev_b32_e32 v1, 2, v2
	v_add_lshl_u32 v8, v5, v3, 2
	v_add_lshl_u32 v9, v9, v3, 2
	v_add_co_ci_u32_e64 v10, null, 0, v3, s0
	v_cmp_eq_u32_e64 s0, 0, v2
	v_and_b32_e32 v11, 0x7c, v4
	s_mul_u64 s[20:21], s[18:19], s[14:15]
	v_lshlrev_b32_e32 v10, 2, v10
	s_mul_u64 s[24:25], s[22:23], s[14:15]
	s_lshl_b64 s[10:11], s[10:11], 1
	s_lshl_b64 s[18:19], s[18:19], 1
	;; [unrolled: 1-line block ×6, first 2 shown]
	s_branch .LBB206_4
.LBB206_2:                              ;   in Loop: Header=BB206_4 Depth=1
	s_or_b32 exec_lo, exec_lo, s27
	s_lshl_b64 s[28:29], s[16:17], 1
	s_delay_alu instid0(SALU_CYCLE_1)
	s_add_nc_u64 s[28:29], s[12:13], s[28:29]
	global_store_d16_hi_b16 v12, v3, s[28:29]
.LBB206_3:                              ;   in Loop: Header=BB206_4 Depth=1
	s_wait_xcnt 0x0
	s_or_b32 exec_lo, exec_lo, s15
	s_add_co_i32 s16, s16, 0x10000
	s_delay_alu instid0(SALU_CYCLE_1)
	s_cmp_lt_u32 s16, s3
	s_cbranch_scc0 .LBB206_21
.LBB206_4:                              ; =>This Loop Header: Depth=1
                                        ;     Child Loop BB206_6 Depth 2
	v_mov_b32_e32 v13, 0
	s_mov_b32 s15, exec_lo
	v_cmpx_gt_i32_e64 s26, v0
	s_cbranch_execz .LBB206_8
; %bb.5:                                ;   in Loop: Header=BB206_4 Depth=1
	s_lshl_b64 s[28:29], s[16:17], 3
	v_ashrrev_i32_e32 v13, 31, v0
	s_add_nc_u64 s[30:31], s[8:9], s[28:29]
	s_add_nc_u64 s[28:29], s[4:5], s[28:29]
	s_load_b64 s[34:35], s[30:31], 0x0
	s_load_b64 s[36:37], s[28:29], 0x0
	s_mov_b32 s27, 0
	s_wait_kmcnt 0x0
	s_wait_xcnt 0x0
	s_add_nc_u64 s[28:29], s[34:35], s[10:11]
	s_add_nc_u64 s[30:31], s[36:37], s[6:7]
	s_wait_dscnt 0x0
	v_mad_nc_u64_u32 v[2:3], s18, v0, s[28:29]
	v_mad_nc_u64_u32 v[4:5], s22, v0, s[30:31]
	s_mov_b32 s28, 0
	s_delay_alu instid0(VALU_DEP_2) | instskip(NEXT) | instid1(VALU_DEP_2)
	v_mad_u32 v3, s19, v0, v3
	v_mad_u32 v5, s23, v0, v5
	s_delay_alu instid0(VALU_DEP_2) | instskip(NEXT) | instid1(VALU_DEP_2)
	v_mad_u32 v3, s18, v13, v3
	v_mad_u32 v5, s22, v13, v5
	v_mov_b32_e32 v13, 0
.LBB206_6:                              ;   Parent Loop BB206_4 Depth=1
                                        ; =>  This Inner Loop Header: Depth=2
	flat_load_u16 v14, v[4:5]
	flat_load_u16 v15, v[2:3]
	v_add_nc_u32_e32 v0, s14, v0
	s_add_co_i32 s29, s28, 1
	s_cmp_gt_u32 s28, 30
	s_wait_xcnt 0x0
	v_add_nc_u64_e32 v[2:3], s[20:21], v[2:3]
	s_cselect_b32 s28, -1, 0
	v_cmp_le_i32_e64 s2, s26, v0
	v_add_nc_u64_e32 v[4:5], s[24:25], v[4:5]
	s_or_b32 s2, s28, s2
	s_mov_b32 s28, s29
	s_and_b32 s2, exec_lo, s2
	s_delay_alu instid0(SALU_CYCLE_1)
	s_or_b32 s27, s2, s27
	s_wait_loadcnt_dscnt 0x0
	v_fma_mix_f32_bf16 v13, v15, v14, v13 op_sel_hi:[1,1,0]
	s_and_not1_b32 exec_lo, exec_lo, s27
	s_cbranch_execnz .LBB206_6
; %bb.7:                                ;   in Loop: Header=BB206_4 Depth=1
	s_or_b32 exec_lo, exec_lo, s27
.LBB206_8:                              ;   in Loop: Header=BB206_4 Depth=1
	s_delay_alu instid0(SALU_CYCLE_1)
	s_or_b32 exec_lo, exec_lo, s15
	s_and_saveexec_b32 s2, vcc_lo
; %bb.9:                                ;   in Loop: Header=BB206_4 Depth=1
	ds_store_b32 v1, v12
; %bb.10:                               ;   in Loop: Header=BB206_4 Depth=1
	s_or_b32 exec_lo, exec_lo, s2
	s_wait_dscnt 0x0
	ds_bpermute_b32 v2, v6, v13
	s_wait_dscnt 0x0
	s_barrier_signal -1
	s_barrier_wait -1
	v_add_f32_e32 v2, v13, v2
	ds_bpermute_b32 v3, v7, v2
	s_wait_dscnt 0x0
	v_add_f32_e32 v2, v2, v3
	ds_bpermute_b32 v3, v8, v2
	s_wait_dscnt 0x0
	;; [unrolled: 3-line block ×3, first 2 shown]
	v_add_f32_e32 v2, v2, v3
	ds_bpermute_b32 v3, v10, v2
	s_and_saveexec_b32 s2, s0
	s_cbranch_execz .LBB206_12
; %bb.11:                               ;   in Loop: Header=BB206_4 Depth=1
	s_wait_dscnt 0x0
	v_add_f32_e32 v2, v2, v3
	ds_store_b32 v11, v2
.LBB206_12:                             ;   in Loop: Header=BB206_4 Depth=1
	s_or_b32 exec_lo, exec_lo, s2
	v_mov_b32_e32 v2, 0
	s_wait_dscnt 0x0
	s_barrier_signal -1
	s_barrier_wait -1
	s_and_saveexec_b32 s2, vcc_lo
	s_cbranch_execnz .LBB206_15
; %bb.13:                               ;   in Loop: Header=BB206_4 Depth=1
	s_or_b32 exec_lo, exec_lo, s2
	s_and_saveexec_b32 s2, vcc_lo
	s_cbranch_execnz .LBB206_16
.LBB206_14:                             ;   in Loop: Header=BB206_4 Depth=1
	s_or_b32 exec_lo, exec_lo, s2
	s_and_saveexec_b32 s15, s1
	s_cbranch_execz .LBB206_3
	s_branch .LBB206_17
.LBB206_15:                             ;   in Loop: Header=BB206_4 Depth=1
	ds_load_b32 v2, v1
	s_or_b32 exec_lo, exec_lo, s2
	s_and_saveexec_b32 s2, vcc_lo
	s_cbranch_execz .LBB206_14
.LBB206_16:                             ;   in Loop: Header=BB206_4 Depth=1
	s_wait_dscnt 0x0
	ds_bpermute_b32 v3, v6, v2
	s_wait_dscnt 0x0
	v_add_f32_e32 v2, v2, v3
	ds_bpermute_b32 v3, v7, v2
	s_wait_dscnt 0x0
	v_add_f32_e32 v2, v2, v3
	;; [unrolled: 3-line block ×5, first 2 shown]
	s_or_b32 exec_lo, exec_lo, s2
	s_and_saveexec_b32 s15, s1
	s_cbranch_execz .LBB206_3
.LBB206_17:                             ;   in Loop: Header=BB206_4 Depth=1
	s_wait_dscnt 0x0
	v_and_b32_e32 v3, 0x7f800000, v2
	s_delay_alu instid0(VALU_DEP_1) | instskip(SKIP_1) | instid1(SALU_CYCLE_1)
	v_cmp_ne_u32_e64 s2, 0x7f800000, v3
                                        ; implicit-def: $vgpr3
	s_and_saveexec_b32 s27, s2
	s_xor_b32 s2, exec_lo, s27
; %bb.18:                               ;   in Loop: Header=BB206_4 Depth=1
	v_bfe_u32 v3, v2, 16, 1
	s_delay_alu instid0(VALU_DEP_1)
	v_add3_u32 v3, v2, v3, 0x7fff
                                        ; implicit-def: $vgpr2
; %bb.19:                               ;   in Loop: Header=BB206_4 Depth=1
	s_and_not1_saveexec_b32 s27, s2
	s_cbranch_execz .LBB206_2
; %bb.20:                               ;   in Loop: Header=BB206_4 Depth=1
	v_and_b32_e32 v3, 0xffff, v2
	v_or_b32_e32 v4, 0x10000, v2
	s_delay_alu instid0(VALU_DEP_2) | instskip(NEXT) | instid1(VALU_DEP_1)
	v_cmp_eq_u32_e64 s2, 0, v3
	v_cndmask_b32_e64 v3, v4, v2, s2
	s_branch .LBB206_2
.LBB206_21:
	s_endpgm
	.section	.rodata,"a",@progbits
	.p2align	6, 0x0
	.amdhsa_kernel _ZL18rocblas_dot_kernelIiLb1ELi1024ELi32ELb1E16rocblas_bfloat16PKPKS0_fEviT5_lT_lS5_lS6_liPT6_PT4_
		.amdhsa_group_segment_fixed_size 128
		.amdhsa_private_segment_fixed_size 0
		.amdhsa_kernarg_size 352
		.amdhsa_user_sgpr_count 2
		.amdhsa_user_sgpr_dispatch_ptr 0
		.amdhsa_user_sgpr_queue_ptr 0
		.amdhsa_user_sgpr_kernarg_segment_ptr 1
		.amdhsa_user_sgpr_dispatch_id 0
		.amdhsa_user_sgpr_kernarg_preload_length 0
		.amdhsa_user_sgpr_kernarg_preload_offset 0
		.amdhsa_user_sgpr_private_segment_size 0
		.amdhsa_wavefront_size32 1
		.amdhsa_uses_dynamic_stack 0
		.amdhsa_enable_private_segment 0
		.amdhsa_system_sgpr_workgroup_id_x 1
		.amdhsa_system_sgpr_workgroup_id_y 0
		.amdhsa_system_sgpr_workgroup_id_z 1
		.amdhsa_system_sgpr_workgroup_info 0
		.amdhsa_system_vgpr_workitem_id 0
		.amdhsa_next_free_vgpr 16
		.amdhsa_next_free_sgpr 38
		.amdhsa_named_barrier_count 0
		.amdhsa_reserve_vcc 1
		.amdhsa_float_round_mode_32 0
		.amdhsa_float_round_mode_16_64 0
		.amdhsa_float_denorm_mode_32 3
		.amdhsa_float_denorm_mode_16_64 3
		.amdhsa_fp16_overflow 0
		.amdhsa_memory_ordered 1
		.amdhsa_forward_progress 1
		.amdhsa_inst_pref_size 9
		.amdhsa_round_robin_scheduling 0
		.amdhsa_exception_fp_ieee_invalid_op 0
		.amdhsa_exception_fp_denorm_src 0
		.amdhsa_exception_fp_ieee_div_zero 0
		.amdhsa_exception_fp_ieee_overflow 0
		.amdhsa_exception_fp_ieee_underflow 0
		.amdhsa_exception_fp_ieee_inexact 0
		.amdhsa_exception_int_div_zero 0
	.end_amdhsa_kernel
	.section	.text._ZL18rocblas_dot_kernelIiLb1ELi1024ELi32ELb1E16rocblas_bfloat16PKPKS0_fEviT5_lT_lS5_lS6_liPT6_PT4_,"axG",@progbits,_ZL18rocblas_dot_kernelIiLb1ELi1024ELi32ELb1E16rocblas_bfloat16PKPKS0_fEviT5_lT_lS5_lS6_liPT6_PT4_,comdat
.Lfunc_end206:
	.size	_ZL18rocblas_dot_kernelIiLb1ELi1024ELi32ELb1E16rocblas_bfloat16PKPKS0_fEviT5_lT_lS5_lS6_liPT6_PT4_, .Lfunc_end206-_ZL18rocblas_dot_kernelIiLb1ELi1024ELi32ELb1E16rocblas_bfloat16PKPKS0_fEviT5_lT_lS5_lS6_liPT6_PT4_
                                        ; -- End function
	.set _ZL18rocblas_dot_kernelIiLb1ELi1024ELi32ELb1E16rocblas_bfloat16PKPKS0_fEviT5_lT_lS5_lS6_liPT6_PT4_.num_vgpr, 16
	.set _ZL18rocblas_dot_kernelIiLb1ELi1024ELi32ELb1E16rocblas_bfloat16PKPKS0_fEviT5_lT_lS5_lS6_liPT6_PT4_.num_agpr, 0
	.set _ZL18rocblas_dot_kernelIiLb1ELi1024ELi32ELb1E16rocblas_bfloat16PKPKS0_fEviT5_lT_lS5_lS6_liPT6_PT4_.numbered_sgpr, 38
	.set _ZL18rocblas_dot_kernelIiLb1ELi1024ELi32ELb1E16rocblas_bfloat16PKPKS0_fEviT5_lT_lS5_lS6_liPT6_PT4_.num_named_barrier, 0
	.set _ZL18rocblas_dot_kernelIiLb1ELi1024ELi32ELb1E16rocblas_bfloat16PKPKS0_fEviT5_lT_lS5_lS6_liPT6_PT4_.private_seg_size, 0
	.set _ZL18rocblas_dot_kernelIiLb1ELi1024ELi32ELb1E16rocblas_bfloat16PKPKS0_fEviT5_lT_lS5_lS6_liPT6_PT4_.uses_vcc, 1
	.set _ZL18rocblas_dot_kernelIiLb1ELi1024ELi32ELb1E16rocblas_bfloat16PKPKS0_fEviT5_lT_lS5_lS6_liPT6_PT4_.uses_flat_scratch, 0
	.set _ZL18rocblas_dot_kernelIiLb1ELi1024ELi32ELb1E16rocblas_bfloat16PKPKS0_fEviT5_lT_lS5_lS6_liPT6_PT4_.has_dyn_sized_stack, 0
	.set _ZL18rocblas_dot_kernelIiLb1ELi1024ELi32ELb1E16rocblas_bfloat16PKPKS0_fEviT5_lT_lS5_lS6_liPT6_PT4_.has_recursion, 0
	.set _ZL18rocblas_dot_kernelIiLb1ELi1024ELi32ELb1E16rocblas_bfloat16PKPKS0_fEviT5_lT_lS5_lS6_liPT6_PT4_.has_indirect_call, 0
	.section	.AMDGPU.csdata,"",@progbits
; Kernel info:
; codeLenInByte = 1056
; TotalNumSgprs: 40
; NumVgprs: 16
; ScratchSize: 0
; MemoryBound: 0
; FloatMode: 240
; IeeeMode: 1
; LDSByteSize: 128 bytes/workgroup (compile time only)
; SGPRBlocks: 0
; VGPRBlocks: 0
; NumSGPRsForWavesPerEU: 40
; NumVGPRsForWavesPerEU: 16
; NamedBarCnt: 0
; Occupancy: 16
; WaveLimiterHint : 0
; COMPUTE_PGM_RSRC2:SCRATCH_EN: 0
; COMPUTE_PGM_RSRC2:USER_SGPR: 2
; COMPUTE_PGM_RSRC2:TRAP_HANDLER: 0
; COMPUTE_PGM_RSRC2:TGID_X_EN: 1
; COMPUTE_PGM_RSRC2:TGID_Y_EN: 0
; COMPUTE_PGM_RSRC2:TGID_Z_EN: 1
; COMPUTE_PGM_RSRC2:TIDIG_COMP_CNT: 0
	.section	.text._ZL24rocblas_dot_kernel_magsqIiLb1ELi1024ELi32ELb1E16rocblas_bfloat16PKPKS0_fEviT5_lT_liPT6_PT4_,"axG",@progbits,_ZL24rocblas_dot_kernel_magsqIiLb1ELi1024ELi32ELb1E16rocblas_bfloat16PKPKS0_fEviT5_lT_liPT6_PT4_,comdat
	.globl	_ZL24rocblas_dot_kernel_magsqIiLb1ELi1024ELi32ELb1E16rocblas_bfloat16PKPKS0_fEviT5_lT_liPT6_PT4_ ; -- Begin function _ZL24rocblas_dot_kernel_magsqIiLb1ELi1024ELi32ELb1E16rocblas_bfloat16PKPKS0_fEviT5_lT_liPT6_PT4_
	.p2align	8
	.type	_ZL24rocblas_dot_kernel_magsqIiLb1ELi1024ELi32ELb1E16rocblas_bfloat16PKPKS0_fEviT5_lT_liPT6_PT4_,@function
_ZL24rocblas_dot_kernel_magsqIiLb1ELi1024ELi32ELb1E16rocblas_bfloat16PKPKS0_fEviT5_lT_liPT6_PT4_: ; @_ZL24rocblas_dot_kernel_magsqIiLb1ELi1024ELi32ELb1E16rocblas_bfloat16PKPKS0_fEviT5_lT_liPT6_PT4_
; %bb.0:
	s_load_b32 s3, s[0:1], 0x28
	s_bfe_u32 s2, ttmp6, 0x40014
	s_lshr_b32 s4, ttmp7, 16
	s_add_co_i32 s2, s2, 1
	s_bfe_u32 s5, ttmp6, 0x40008
	s_mul_i32 s2, s4, s2
	s_getreg_b32 s6, hwreg(HW_REG_IB_STS2, 6, 4)
	s_add_co_i32 s5, s5, s2
	s_cmp_eq_u32 s6, 0
	s_mov_b32 s13, 0
	s_cselect_b32 s12, s4, s5
	s_wait_kmcnt 0x0
	s_cmp_ge_u32 s12, s3
	s_cbranch_scc1 .LBB207_21
; %bb.1:
	v_mbcnt_lo_u32_b32 v3, -1, 0
	s_clause 0x3
	s_load_b32 s14, s[0:1], 0x18
	s_load_b96 s[8:10], s[0:1], 0x38
	s_load_b128 s[4:7], s[0:1], 0x8
	s_load_b32 s18, s[0:1], 0x0
	v_dual_lshrrev_b32 v9, 3, v0 :: v_dual_bitop2_b32 v2, 31, v0 bitop3:0x40
	s_wait_xcnt 0x0
	v_cmp_gt_u32_e64 s0, 24, v3
	v_lshl_or_b32 v4, v3, 2, 64
	v_cmp_eq_u32_e64 s1, 0, v0
	v_mov_b32_e32 v10, 0
	v_and_b32_e32 v9, 0x7c, v9
	v_cndmask_b32_e64 v5, 0, 8, s0
	v_cmp_gt_u32_e64 s0, 28, v3
	v_cmp_gt_u32_e32 vcc_lo, 32, v0
	s_delay_alu instid0(VALU_DEP_3) | instskip(NEXT) | instid1(VALU_DEP_3)
	v_add_lshl_u32 v5, v5, v3, 2
	v_cndmask_b32_e64 v6, 0, 4, s0
	v_cmp_gt_u32_e64 s0, 30, v3
	s_wait_kmcnt 0x0
	s_ashr_i32 s15, s14, 31
	s_lshl_b32 s10, s10, 10
	v_cndmask_b32_e64 v7, 0, 2, s0
	v_cmp_ne_u32_e64 s0, 31, v3
	s_ashr_i32 s11, s10, 31
	v_add_lshl_u32 v6, v6, v3, 2
	s_mul_u64 s[16:17], s[14:15], s[10:11]
	v_add_lshl_u32 v7, v7, v3, 2
	v_add_co_ci_u32_e64 v8, null, 0, v3, s0
	v_lshlrev_b32_e32 v1, 2, v2
	v_cmp_eq_u32_e64 s0, 0, v2
	s_lshl_b64 s[6:7], s[6:7], 1
	v_lshlrev_b32_e32 v8, 2, v8
	s_lshl_b64 s[14:15], s[14:15], 1
	s_lshl_b64 s[16:17], s[16:17], 1
	s_branch .LBB207_4
.LBB207_2:                              ;   in Loop: Header=BB207_4 Depth=1
	s_or_b32 exec_lo, exec_lo, s19
	s_lshl_b64 s[20:21], s[12:13], 1
	s_delay_alu instid0(SALU_CYCLE_1)
	s_add_nc_u64 s[20:21], s[8:9], s[20:21]
	global_store_d16_hi_b16 v10, v3, s[20:21]
.LBB207_3:                              ;   in Loop: Header=BB207_4 Depth=1
	s_wait_xcnt 0x0
	s_or_b32 exec_lo, exec_lo, s11
	s_add_co_i32 s12, s12, 0x10000
	s_delay_alu instid0(SALU_CYCLE_1)
	s_cmp_lt_u32 s12, s3
	s_cbranch_scc0 .LBB207_21
.LBB207_4:                              ; =>This Loop Header: Depth=1
                                        ;     Child Loop BB207_6 Depth 2
	v_mov_b32_e32 v11, 0
	s_mov_b32 s11, exec_lo
	v_cmpx_gt_i32_e64 s18, v0
	s_cbranch_execz .LBB207_8
; %bb.5:                                ;   in Loop: Header=BB207_4 Depth=1
	s_lshl_b64 s[20:21], s[12:13], 3
	v_ashrrev_i32_e32 v11, 31, v0
	s_add_nc_u64 s[20:21], s[4:5], s[20:21]
	s_mov_b32 s19, 0
	s_load_b64 s[20:21], s[20:21], 0x0
	s_wait_kmcnt 0x0
	s_wait_xcnt 0x0
	s_add_nc_u64 s[20:21], s[20:21], s[6:7]
	s_wait_dscnt 0x0
	v_mad_nc_u64_u32 v[2:3], s14, v0, s[20:21]
	s_mov_b32 s20, 0
	s_delay_alu instid0(VALU_DEP_1) | instskip(NEXT) | instid1(VALU_DEP_1)
	v_mad_u32 v3, s15, v0, v3
	v_mad_u32 v3, s14, v11, v3
	v_mov_b32_e32 v11, 0
.LBB207_6:                              ;   Parent Loop BB207_4 Depth=1
                                        ; =>  This Inner Loop Header: Depth=2
	flat_load_u16 v12, v[2:3]
	v_add_nc_u32_e32 v0, s10, v0
	s_add_co_i32 s21, s20, 1
	s_cmp_gt_u32 s20, 30
	s_wait_xcnt 0x0
	v_add_nc_u64_e32 v[2:3], s[16:17], v[2:3]
	s_cselect_b32 s20, -1, 0
	v_cmp_le_i32_e64 s2, s18, v0
	s_or_b32 s2, s20, s2
	s_mov_b32 s20, s21
	s_and_b32 s2, exec_lo, s2
	s_delay_alu instid0(SALU_CYCLE_1)
	s_or_b32 s19, s2, s19
	s_wait_loadcnt_dscnt 0x0
	v_fma_mix_f32_bf16 v11, v12, v12, v11 op_sel_hi:[1,1,0]
	s_and_not1_b32 exec_lo, exec_lo, s19
	s_cbranch_execnz .LBB207_6
; %bb.7:                                ;   in Loop: Header=BB207_4 Depth=1
	s_or_b32 exec_lo, exec_lo, s19
.LBB207_8:                              ;   in Loop: Header=BB207_4 Depth=1
	s_delay_alu instid0(SALU_CYCLE_1)
	s_or_b32 exec_lo, exec_lo, s11
	s_and_saveexec_b32 s2, vcc_lo
; %bb.9:                                ;   in Loop: Header=BB207_4 Depth=1
	ds_store_b32 v1, v10
; %bb.10:                               ;   in Loop: Header=BB207_4 Depth=1
	s_or_b32 exec_lo, exec_lo, s2
	s_wait_dscnt 0x0
	ds_bpermute_b32 v2, v4, v11
	s_wait_dscnt 0x0
	s_barrier_signal -1
	s_barrier_wait -1
	v_add_f32_e32 v2, v11, v2
	ds_bpermute_b32 v3, v5, v2
	s_wait_dscnt 0x0
	v_add_f32_e32 v2, v2, v3
	ds_bpermute_b32 v3, v6, v2
	s_wait_dscnt 0x0
	;; [unrolled: 3-line block ×3, first 2 shown]
	v_add_f32_e32 v2, v2, v3
	ds_bpermute_b32 v3, v8, v2
	s_and_saveexec_b32 s2, s0
	s_cbranch_execz .LBB207_12
; %bb.11:                               ;   in Loop: Header=BB207_4 Depth=1
	s_wait_dscnt 0x0
	v_add_f32_e32 v2, v2, v3
	ds_store_b32 v9, v2
.LBB207_12:                             ;   in Loop: Header=BB207_4 Depth=1
	s_or_b32 exec_lo, exec_lo, s2
	v_mov_b32_e32 v2, 0
	s_wait_dscnt 0x0
	s_barrier_signal -1
	s_barrier_wait -1
	s_and_saveexec_b32 s2, vcc_lo
	s_cbranch_execnz .LBB207_15
; %bb.13:                               ;   in Loop: Header=BB207_4 Depth=1
	s_or_b32 exec_lo, exec_lo, s2
	s_and_saveexec_b32 s2, vcc_lo
	s_cbranch_execnz .LBB207_16
.LBB207_14:                             ;   in Loop: Header=BB207_4 Depth=1
	s_or_b32 exec_lo, exec_lo, s2
	s_and_saveexec_b32 s11, s1
	s_cbranch_execz .LBB207_3
	s_branch .LBB207_17
.LBB207_15:                             ;   in Loop: Header=BB207_4 Depth=1
	ds_load_b32 v2, v1
	s_or_b32 exec_lo, exec_lo, s2
	s_and_saveexec_b32 s2, vcc_lo
	s_cbranch_execz .LBB207_14
.LBB207_16:                             ;   in Loop: Header=BB207_4 Depth=1
	s_wait_dscnt 0x0
	ds_bpermute_b32 v3, v4, v2
	s_wait_dscnt 0x0
	v_add_f32_e32 v2, v2, v3
	ds_bpermute_b32 v3, v5, v2
	s_wait_dscnt 0x0
	v_add_f32_e32 v2, v2, v3
	ds_bpermute_b32 v3, v6, v2
	s_wait_dscnt 0x0
	v_add_f32_e32 v2, v2, v3
	ds_bpermute_b32 v3, v7, v2
	s_wait_dscnt 0x0
	v_add_f32_e32 v2, v2, v3
	ds_bpermute_b32 v3, v8, v2
	s_wait_dscnt 0x0
	v_add_f32_e32 v2, v2, v3
	s_or_b32 exec_lo, exec_lo, s2
	s_and_saveexec_b32 s11, s1
	s_cbranch_execz .LBB207_3
.LBB207_17:                             ;   in Loop: Header=BB207_4 Depth=1
	s_wait_dscnt 0x0
	v_and_b32_e32 v3, 0x7f800000, v2
	s_delay_alu instid0(VALU_DEP_1) | instskip(SKIP_1) | instid1(SALU_CYCLE_1)
	v_cmp_ne_u32_e64 s2, 0x7f800000, v3
                                        ; implicit-def: $vgpr3
	s_and_saveexec_b32 s19, s2
	s_xor_b32 s2, exec_lo, s19
; %bb.18:                               ;   in Loop: Header=BB207_4 Depth=1
	v_bfe_u32 v3, v2, 16, 1
	s_delay_alu instid0(VALU_DEP_1)
	v_add3_u32 v3, v2, v3, 0x7fff
                                        ; implicit-def: $vgpr2
; %bb.19:                               ;   in Loop: Header=BB207_4 Depth=1
	s_and_not1_saveexec_b32 s19, s2
	s_cbranch_execz .LBB207_2
; %bb.20:                               ;   in Loop: Header=BB207_4 Depth=1
	v_and_b32_e32 v3, 0xffff, v2
	v_or_b32_e32 v11, 0x10000, v2
	s_delay_alu instid0(VALU_DEP_2) | instskip(NEXT) | instid1(VALU_DEP_1)
	v_cmp_eq_u32_e64 s2, 0, v3
	v_cndmask_b32_e64 v3, v11, v2, s2
	s_branch .LBB207_2
.LBB207_21:
	s_endpgm
	.section	.rodata,"a",@progbits
	.p2align	6, 0x0
	.amdhsa_kernel _ZL24rocblas_dot_kernel_magsqIiLb1ELi1024ELi32ELb1E16rocblas_bfloat16PKPKS0_fEviT5_lT_liPT6_PT4_
		.amdhsa_group_segment_fixed_size 128
		.amdhsa_private_segment_fixed_size 0
		.amdhsa_kernarg_size 320
		.amdhsa_user_sgpr_count 2
		.amdhsa_user_sgpr_dispatch_ptr 0
		.amdhsa_user_sgpr_queue_ptr 0
		.amdhsa_user_sgpr_kernarg_segment_ptr 1
		.amdhsa_user_sgpr_dispatch_id 0
		.amdhsa_user_sgpr_kernarg_preload_length 0
		.amdhsa_user_sgpr_kernarg_preload_offset 0
		.amdhsa_user_sgpr_private_segment_size 0
		.amdhsa_wavefront_size32 1
		.amdhsa_uses_dynamic_stack 0
		.amdhsa_enable_private_segment 0
		.amdhsa_system_sgpr_workgroup_id_x 1
		.amdhsa_system_sgpr_workgroup_id_y 0
		.amdhsa_system_sgpr_workgroup_id_z 1
		.amdhsa_system_sgpr_workgroup_info 0
		.amdhsa_system_vgpr_workitem_id 0
		.amdhsa_next_free_vgpr 13
		.amdhsa_next_free_sgpr 22
		.amdhsa_named_barrier_count 0
		.amdhsa_reserve_vcc 1
		.amdhsa_float_round_mode_32 0
		.amdhsa_float_round_mode_16_64 0
		.amdhsa_float_denorm_mode_32 3
		.amdhsa_float_denorm_mode_16_64 3
		.amdhsa_fp16_overflow 0
		.amdhsa_memory_ordered 1
		.amdhsa_forward_progress 1
		.amdhsa_inst_pref_size 8
		.amdhsa_round_robin_scheduling 0
		.amdhsa_exception_fp_ieee_invalid_op 0
		.amdhsa_exception_fp_denorm_src 0
		.amdhsa_exception_fp_ieee_div_zero 0
		.amdhsa_exception_fp_ieee_overflow 0
		.amdhsa_exception_fp_ieee_underflow 0
		.amdhsa_exception_fp_ieee_inexact 0
		.amdhsa_exception_int_div_zero 0
	.end_amdhsa_kernel
	.section	.text._ZL24rocblas_dot_kernel_magsqIiLb1ELi1024ELi32ELb1E16rocblas_bfloat16PKPKS0_fEviT5_lT_liPT6_PT4_,"axG",@progbits,_ZL24rocblas_dot_kernel_magsqIiLb1ELi1024ELi32ELb1E16rocblas_bfloat16PKPKS0_fEviT5_lT_liPT6_PT4_,comdat
.Lfunc_end207:
	.size	_ZL24rocblas_dot_kernel_magsqIiLb1ELi1024ELi32ELb1E16rocblas_bfloat16PKPKS0_fEviT5_lT_liPT6_PT4_, .Lfunc_end207-_ZL24rocblas_dot_kernel_magsqIiLb1ELi1024ELi32ELb1E16rocblas_bfloat16PKPKS0_fEviT5_lT_liPT6_PT4_
                                        ; -- End function
	.set _ZL24rocblas_dot_kernel_magsqIiLb1ELi1024ELi32ELb1E16rocblas_bfloat16PKPKS0_fEviT5_lT_liPT6_PT4_.num_vgpr, 13
	.set _ZL24rocblas_dot_kernel_magsqIiLb1ELi1024ELi32ELb1E16rocblas_bfloat16PKPKS0_fEviT5_lT_liPT6_PT4_.num_agpr, 0
	.set _ZL24rocblas_dot_kernel_magsqIiLb1ELi1024ELi32ELb1E16rocblas_bfloat16PKPKS0_fEviT5_lT_liPT6_PT4_.numbered_sgpr, 22
	.set _ZL24rocblas_dot_kernel_magsqIiLb1ELi1024ELi32ELb1E16rocblas_bfloat16PKPKS0_fEviT5_lT_liPT6_PT4_.num_named_barrier, 0
	.set _ZL24rocblas_dot_kernel_magsqIiLb1ELi1024ELi32ELb1E16rocblas_bfloat16PKPKS0_fEviT5_lT_liPT6_PT4_.private_seg_size, 0
	.set _ZL24rocblas_dot_kernel_magsqIiLb1ELi1024ELi32ELb1E16rocblas_bfloat16PKPKS0_fEviT5_lT_liPT6_PT4_.uses_vcc, 1
	.set _ZL24rocblas_dot_kernel_magsqIiLb1ELi1024ELi32ELb1E16rocblas_bfloat16PKPKS0_fEviT5_lT_liPT6_PT4_.uses_flat_scratch, 0
	.set _ZL24rocblas_dot_kernel_magsqIiLb1ELi1024ELi32ELb1E16rocblas_bfloat16PKPKS0_fEviT5_lT_liPT6_PT4_.has_dyn_sized_stack, 0
	.set _ZL24rocblas_dot_kernel_magsqIiLb1ELi1024ELi32ELb1E16rocblas_bfloat16PKPKS0_fEviT5_lT_liPT6_PT4_.has_recursion, 0
	.set _ZL24rocblas_dot_kernel_magsqIiLb1ELi1024ELi32ELb1E16rocblas_bfloat16PKPKS0_fEviT5_lT_liPT6_PT4_.has_indirect_call, 0
	.section	.AMDGPU.csdata,"",@progbits
; Kernel info:
; codeLenInByte = 960
; TotalNumSgprs: 24
; NumVgprs: 13
; ScratchSize: 0
; MemoryBound: 0
; FloatMode: 240
; IeeeMode: 1
; LDSByteSize: 128 bytes/workgroup (compile time only)
; SGPRBlocks: 0
; VGPRBlocks: 0
; NumSGPRsForWavesPerEU: 24
; NumVGPRsForWavesPerEU: 13
; NamedBarCnt: 0
; Occupancy: 16
; WaveLimiterHint : 0
; COMPUTE_PGM_RSRC2:SCRATCH_EN: 0
; COMPUTE_PGM_RSRC2:USER_SGPR: 2
; COMPUTE_PGM_RSRC2:TRAP_HANDLER: 0
; COMPUTE_PGM_RSRC2:TGID_X_EN: 1
; COMPUTE_PGM_RSRC2:TGID_Y_EN: 0
; COMPUTE_PGM_RSRC2:TGID_Z_EN: 1
; COMPUTE_PGM_RSRC2:TIDIG_COMP_CNT: 0
	.section	.text._ZL38rocblas_dot_kernel_gfx942_float_doubleIiLi1024E16rocblas_bfloat16PKPKS0_fEviT2_lT_lS5_lS6_lPT3_PT1_,"axG",@progbits,_ZL38rocblas_dot_kernel_gfx942_float_doubleIiLi1024E16rocblas_bfloat16PKPKS0_fEviT2_lT_lS5_lS6_lPT3_PT1_,comdat
	.globl	_ZL38rocblas_dot_kernel_gfx942_float_doubleIiLi1024E16rocblas_bfloat16PKPKS0_fEviT2_lT_lS5_lS6_lPT3_PT1_ ; -- Begin function _ZL38rocblas_dot_kernel_gfx942_float_doubleIiLi1024E16rocblas_bfloat16PKPKS0_fEviT2_lT_lS5_lS6_lPT3_PT1_
	.p2align	8
	.type	_ZL38rocblas_dot_kernel_gfx942_float_doubleIiLi1024E16rocblas_bfloat16PKPKS0_fEviT2_lT_lS5_lS6_lPT3_PT1_,@function
_ZL38rocblas_dot_kernel_gfx942_float_doubleIiLi1024E16rocblas_bfloat16PKPKS0_fEviT2_lT_lS5_lS6_lPT3_PT1_: ; @_ZL38rocblas_dot_kernel_gfx942_float_doubleIiLi1024E16rocblas_bfloat16PKPKS0_fEviT2_lT_lS5_lS6_lPT3_PT1_
; %bb.0:
	s_endpgm
	.section	.rodata,"a",@progbits
	.p2align	6, 0x0
	.amdhsa_kernel _ZL38rocblas_dot_kernel_gfx942_float_doubleIiLi1024E16rocblas_bfloat16PKPKS0_fEviT2_lT_lS5_lS6_lPT3_PT1_
		.amdhsa_group_segment_fixed_size 0
		.amdhsa_private_segment_fixed_size 0
		.amdhsa_kernarg_size 88
		.amdhsa_user_sgpr_count 2
		.amdhsa_user_sgpr_dispatch_ptr 0
		.amdhsa_user_sgpr_queue_ptr 0
		.amdhsa_user_sgpr_kernarg_segment_ptr 1
		.amdhsa_user_sgpr_dispatch_id 0
		.amdhsa_user_sgpr_kernarg_preload_length 0
		.amdhsa_user_sgpr_kernarg_preload_offset 0
		.amdhsa_user_sgpr_private_segment_size 0
		.amdhsa_wavefront_size32 1
		.amdhsa_uses_dynamic_stack 0
		.amdhsa_enable_private_segment 0
		.amdhsa_system_sgpr_workgroup_id_x 1
		.amdhsa_system_sgpr_workgroup_id_y 0
		.amdhsa_system_sgpr_workgroup_id_z 0
		.amdhsa_system_sgpr_workgroup_info 0
		.amdhsa_system_vgpr_workitem_id 0
		.amdhsa_next_free_vgpr 1
		.amdhsa_next_free_sgpr 1
		.amdhsa_named_barrier_count 0
		.amdhsa_reserve_vcc 0
		.amdhsa_float_round_mode_32 0
		.amdhsa_float_round_mode_16_64 0
		.amdhsa_float_denorm_mode_32 3
		.amdhsa_float_denorm_mode_16_64 3
		.amdhsa_fp16_overflow 0
		.amdhsa_memory_ordered 1
		.amdhsa_forward_progress 1
		.amdhsa_inst_pref_size 1
		.amdhsa_round_robin_scheduling 0
		.amdhsa_exception_fp_ieee_invalid_op 0
		.amdhsa_exception_fp_denorm_src 0
		.amdhsa_exception_fp_ieee_div_zero 0
		.amdhsa_exception_fp_ieee_overflow 0
		.amdhsa_exception_fp_ieee_underflow 0
		.amdhsa_exception_fp_ieee_inexact 0
		.amdhsa_exception_int_div_zero 0
	.end_amdhsa_kernel
	.section	.text._ZL38rocblas_dot_kernel_gfx942_float_doubleIiLi1024E16rocblas_bfloat16PKPKS0_fEviT2_lT_lS5_lS6_lPT3_PT1_,"axG",@progbits,_ZL38rocblas_dot_kernel_gfx942_float_doubleIiLi1024E16rocblas_bfloat16PKPKS0_fEviT2_lT_lS5_lS6_lPT3_PT1_,comdat
.Lfunc_end208:
	.size	_ZL38rocblas_dot_kernel_gfx942_float_doubleIiLi1024E16rocblas_bfloat16PKPKS0_fEviT2_lT_lS5_lS6_lPT3_PT1_, .Lfunc_end208-_ZL38rocblas_dot_kernel_gfx942_float_doubleIiLi1024E16rocblas_bfloat16PKPKS0_fEviT2_lT_lS5_lS6_lPT3_PT1_
                                        ; -- End function
	.set _ZL38rocblas_dot_kernel_gfx942_float_doubleIiLi1024E16rocblas_bfloat16PKPKS0_fEviT2_lT_lS5_lS6_lPT3_PT1_.num_vgpr, 0
	.set _ZL38rocblas_dot_kernel_gfx942_float_doubleIiLi1024E16rocblas_bfloat16PKPKS0_fEviT2_lT_lS5_lS6_lPT3_PT1_.num_agpr, 0
	.set _ZL38rocblas_dot_kernel_gfx942_float_doubleIiLi1024E16rocblas_bfloat16PKPKS0_fEviT2_lT_lS5_lS6_lPT3_PT1_.numbered_sgpr, 0
	.set _ZL38rocblas_dot_kernel_gfx942_float_doubleIiLi1024E16rocblas_bfloat16PKPKS0_fEviT2_lT_lS5_lS6_lPT3_PT1_.num_named_barrier, 0
	.set _ZL38rocblas_dot_kernel_gfx942_float_doubleIiLi1024E16rocblas_bfloat16PKPKS0_fEviT2_lT_lS5_lS6_lPT3_PT1_.private_seg_size, 0
	.set _ZL38rocblas_dot_kernel_gfx942_float_doubleIiLi1024E16rocblas_bfloat16PKPKS0_fEviT2_lT_lS5_lS6_lPT3_PT1_.uses_vcc, 0
	.set _ZL38rocblas_dot_kernel_gfx942_float_doubleIiLi1024E16rocblas_bfloat16PKPKS0_fEviT2_lT_lS5_lS6_lPT3_PT1_.uses_flat_scratch, 0
	.set _ZL38rocblas_dot_kernel_gfx942_float_doubleIiLi1024E16rocblas_bfloat16PKPKS0_fEviT2_lT_lS5_lS6_lPT3_PT1_.has_dyn_sized_stack, 0
	.set _ZL38rocblas_dot_kernel_gfx942_float_doubleIiLi1024E16rocblas_bfloat16PKPKS0_fEviT2_lT_lS5_lS6_lPT3_PT1_.has_recursion, 0
	.set _ZL38rocblas_dot_kernel_gfx942_float_doubleIiLi1024E16rocblas_bfloat16PKPKS0_fEviT2_lT_lS5_lS6_lPT3_PT1_.has_indirect_call, 0
	.section	.AMDGPU.csdata,"",@progbits
; Kernel info:
; codeLenInByte = 4
; TotalNumSgprs: 0
; NumVgprs: 0
; ScratchSize: 0
; MemoryBound: 0
; FloatMode: 240
; IeeeMode: 1
; LDSByteSize: 0 bytes/workgroup (compile time only)
; SGPRBlocks: 0
; VGPRBlocks: 0
; NumSGPRsForWavesPerEU: 1
; NumVGPRsForWavesPerEU: 1
; NamedBarCnt: 0
; Occupancy: 16
; WaveLimiterHint : 0
; COMPUTE_PGM_RSRC2:SCRATCH_EN: 0
; COMPUTE_PGM_RSRC2:USER_SGPR: 2
; COMPUTE_PGM_RSRC2:TRAP_HANDLER: 0
; COMPUTE_PGM_RSRC2:TGID_X_EN: 1
; COMPUTE_PGM_RSRC2:TGID_Y_EN: 0
; COMPUTE_PGM_RSRC2:TGID_Z_EN: 0
; COMPUTE_PGM_RSRC2:TIDIG_COMP_CNT: 0
	.section	.text._ZL23rocblas_dot_kernel_inc1ILb0ELi512ELi8ELb1E16rocblas_bfloat16PKPKS0_fEviT4_llS5_lliPT5_PT3_,"axG",@progbits,_ZL23rocblas_dot_kernel_inc1ILb0ELi512ELi8ELb1E16rocblas_bfloat16PKPKS0_fEviT4_llS5_lliPT5_PT3_,comdat
	.globl	_ZL23rocblas_dot_kernel_inc1ILb0ELi512ELi8ELb1E16rocblas_bfloat16PKPKS0_fEviT4_llS5_lliPT5_PT3_ ; -- Begin function _ZL23rocblas_dot_kernel_inc1ILb0ELi512ELi8ELb1E16rocblas_bfloat16PKPKS0_fEviT4_llS5_lliPT5_PT3_
	.p2align	8
	.type	_ZL23rocblas_dot_kernel_inc1ILb0ELi512ELi8ELb1E16rocblas_bfloat16PKPKS0_fEviT4_llS5_lliPT5_PT3_,@function
_ZL23rocblas_dot_kernel_inc1ILb0ELi512ELi8ELb1E16rocblas_bfloat16PKPKS0_fEviT4_llS5_lliPT5_PT3_: ; @_ZL23rocblas_dot_kernel_inc1ILb0ELi512ELi8ELb1E16rocblas_bfloat16PKPKS0_fEviT4_llS5_lliPT5_PT3_
; %bb.0:
	s_load_b32 s28, s[0:1], 0x38
	s_bfe_u32 s2, ttmp6, 0x40014
	s_lshr_b32 s3, ttmp7, 16
	s_add_co_i32 s2, s2, 1
	s_bfe_u32 s5, ttmp6, 0x40008
	s_mul_i32 s4, s3, s2
	s_getreg_b32 s2, hwreg(HW_REG_IB_STS2, 6, 4)
	s_add_co_i32 s5, s5, s4
	s_cmp_eq_u32 s2, 0
	s_mov_b32 s17, 0
	s_cselect_b32 s16, s3, s5
	s_wait_kmcnt 0x0
	s_cmp_ge_u32 s16, s28
	s_cbranch_scc1 .LBB209_24
; %bb.1:
	v_mbcnt_lo_u32_b32 v3, -1, 0
	s_clause 0x4
	s_load_b32 s18, s[0:1], 0x50
	s_load_b128 s[4:7], s[0:1], 0x40
	s_load_b128 s[8:11], s[0:1], 0x20
	;; [unrolled: 1-line block ×3, first 2 shown]
	s_load_b32 s29, s[0:1], 0x0
	s_bfe_u32 s3, ttmp6, 0x4000c
	s_wait_xcnt 0x0
	s_and_b32 s1, ttmp6, 15
	s_add_co_i32 s3, s3, 1
	v_cmp_gt_u32_e32 vcc_lo, 24, v3
	s_mul_i32 s3, ttmp9, s3
	v_dual_lshrrev_b32 v10, 3, v0 :: v_dual_bitop2_b32 v1, 31, v0 bitop3:0x40
	s_add_co_i32 s1, s1, s3
	v_cndmask_b32_e64 v6, 0, 8, vcc_lo
	v_cmp_gt_u32_e32 vcc_lo, 28, v3
	s_cmp_eq_u32 s2, 0
	s_mov_b32 s23, s17
	s_cselect_b32 s22, ttmp9, s1
	v_cmp_gt_u32_e64 s0, 32, v0
	v_cndmask_b32_e64 v7, 0, 4, vcc_lo
	v_cmp_gt_u32_e32 vcc_lo, 30, v3
	s_wait_kmcnt 0x0
	s_cmp_lg_u32 s18, 1
	v_dual_lshlrev_b32 v4, 2, v1 :: v_dual_bitop2_b32 v10, 60, v10 bitop3:0x40
	s_cselect_b32 s30, -1, 0
	v_cndmask_b32_e64 v8, 0, 2, vcc_lo
	v_cmp_ne_u32_e32 vcc_lo, 31, v3
	s_lshl_b32 s20, s18, 9
	v_lshl_or_b32 v5, v3, 2, 64
	v_lshl_or_b32 v2, s22, 9, v0
	v_add_lshl_u32 v6, v6, v3, 2
	v_add_co_ci_u32_e64 v9, null, 0, v3, vcc_lo
	v_add_lshl_u32 v7, v7, v3, 2
	v_add_lshl_u32 v8, v8, v3, 2
	v_cmp_eq_u32_e64 s1, 0, v1
	s_delay_alu instid0(VALU_DEP_4)
	v_dual_lshlrev_b32 v9, 2, v9 :: v_dual_mov_b32 v11, 0
	v_cmp_gt_u32_e64 s2, 16, v0
	v_cmp_eq_u32_e64 s3, 0, v0
	s_lshl_b64 s[22:23], s[22:23], 2
	s_ashr_i32 s21, s20, 31
	s_mov_b32 s19, s17
	s_add_nc_u64 s[4:5], s[4:5], s[22:23]
	s_lshl_b64 s[22:23], s[20:21], 1
	s_lshl_b64 s[14:15], s[14:15], 1
	;; [unrolled: 1-line block ×3, first 2 shown]
	s_branch .LBB209_4
.LBB209_2:                              ;   in Loop: Header=BB209_4 Depth=1
	s_or_b32 exec_lo, exec_lo, s24
	s_lshl_b64 s[24:25], s[16:17], 1
	s_delay_alu instid0(SALU_CYCLE_1)
	s_add_nc_u64 s[24:25], s[6:7], s[24:25]
	global_store_d16_hi_b16 v11, v1, s[24:25]
.LBB209_3:                              ;   in Loop: Header=BB209_4 Depth=1
	s_wait_xcnt 0x0
	s_or_b32 exec_lo, exec_lo, s21
	s_add_co_i32 s16, s16, 0x10000
	s_delay_alu instid0(SALU_CYCLE_1)
	s_cmp_lt_u32 s16, s28
	s_cbranch_scc0 .LBB209_24
.LBB209_4:                              ; =>This Loop Header: Depth=1
                                        ;     Child Loop BB209_6 Depth 2
	v_mov_b32_e32 v3, 0
	s_mov_b32 s21, exec_lo
	v_cmpx_gt_i32_e64 s29, v2
	s_cbranch_execz .LBB209_8
; %bb.5:                                ;   in Loop: Header=BB209_4 Depth=1
	s_lshl_b64 s[24:25], s[16:17], 3
	v_ashrrev_i32_e32 v3, 31, v2
	s_add_nc_u64 s[26:27], s[12:13], s[24:25]
	s_add_nc_u64 s[24:25], s[8:9], s[24:25]
	s_load_b64 s[34:35], s[26:27], 0x0
	s_load_b64 s[36:37], s[24:25], 0x0
	s_mov_b32 s31, 0
	s_wait_dscnt 0x0
	v_lshlrev_b64_e32 v[0:1], 1, v[2:3]
	v_mov_b32_e32 v3, 0
	s_mov_b32 s33, 0
	s_wait_kmcnt 0x0
	s_wait_xcnt 0x0
	s_add_nc_u64 s[24:25], s[34:35], s[14:15]
	s_add_nc_u64 s[26:27], s[36:37], s[10:11]
.LBB209_6:                              ;   Parent Loop BB209_4 Depth=1
                                        ; =>  This Inner Loop Header: Depth=2
	s_delay_alu instid0(SALU_CYCLE_1)
	v_add_nc_u64_e32 v[12:13], s[26:27], v[0:1]
	v_add_nc_u64_e32 v[14:15], s[24:25], v[0:1]
	v_add_nc_u32_e32 v2, s20, v2
	s_add_co_i32 s34, s33, 1
	s_cmp_gt_u32 s33, 6
	v_add_nc_u64_e32 v[0:1], s[22:23], v[0:1]
	s_cselect_b32 s33, -1, 0
	flat_load_u16 v16, v[12:13]
	flat_load_u16 v17, v[14:15]
	v_cmp_le_i32_e32 vcc_lo, s29, v2
	s_or_b32 s33, s33, vcc_lo
	s_delay_alu instid0(SALU_CYCLE_1) | instskip(NEXT) | instid1(SALU_CYCLE_1)
	s_and_b32 s33, exec_lo, s33
	s_or_b32 s31, s33, s31
	s_mov_b32 s33, s34
	s_wait_loadcnt_dscnt 0x0
	v_fma_mix_f32_bf16 v3, v17, v16, v3 op_sel_hi:[1,1,0]
	s_wait_xcnt 0x0
	s_and_not1_b32 exec_lo, exec_lo, s31
	s_cbranch_execnz .LBB209_6
; %bb.7:                                ;   in Loop: Header=BB209_4 Depth=1
	s_or_b32 exec_lo, exec_lo, s31
.LBB209_8:                              ;   in Loop: Header=BB209_4 Depth=1
	s_delay_alu instid0(SALU_CYCLE_1)
	s_or_b32 exec_lo, exec_lo, s21
	s_and_saveexec_b32 s21, s0
; %bb.9:                                ;   in Loop: Header=BB209_4 Depth=1
	ds_store_b32 v4, v11
; %bb.10:                               ;   in Loop: Header=BB209_4 Depth=1
	s_or_b32 exec_lo, exec_lo, s21
	s_wait_dscnt 0x0
	ds_bpermute_b32 v0, v5, v3
	s_wait_dscnt 0x0
	s_barrier_signal -1
	s_barrier_wait -1
	v_add_f32_e32 v0, v3, v0
	ds_bpermute_b32 v1, v6, v0
	s_wait_dscnt 0x0
	v_add_f32_e32 v0, v0, v1
	ds_bpermute_b32 v1, v7, v0
	s_wait_dscnt 0x0
	;; [unrolled: 3-line block ×3, first 2 shown]
	v_add_f32_e32 v0, v0, v1
	ds_bpermute_b32 v1, v9, v0
	s_and_saveexec_b32 s21, s1
	s_cbranch_execz .LBB209_12
; %bb.11:                               ;   in Loop: Header=BB209_4 Depth=1
	s_wait_dscnt 0x0
	v_add_f32_e32 v0, v0, v1
	ds_store_b32 v10, v0
.LBB209_12:                             ;   in Loop: Header=BB209_4 Depth=1
	s_or_b32 exec_lo, exec_lo, s21
	v_mov_b32_e32 v0, 0
	s_wait_dscnt 0x0
	s_barrier_signal -1
	s_barrier_wait -1
	s_and_saveexec_b32 s21, s2
	s_cbranch_execnz .LBB209_15
; %bb.13:                               ;   in Loop: Header=BB209_4 Depth=1
	s_or_b32 exec_lo, exec_lo, s21
	s_and_saveexec_b32 s21, s0
	s_cbranch_execnz .LBB209_16
.LBB209_14:                             ;   in Loop: Header=BB209_4 Depth=1
	s_or_b32 exec_lo, exec_lo, s21
	s_and_saveexec_b32 s21, s3
	s_cbranch_execz .LBB209_3
	s_branch .LBB209_17
.LBB209_15:                             ;   in Loop: Header=BB209_4 Depth=1
	ds_load_b32 v0, v4
	s_or_b32 exec_lo, exec_lo, s21
	s_and_saveexec_b32 s21, s0
	s_cbranch_execz .LBB209_14
.LBB209_16:                             ;   in Loop: Header=BB209_4 Depth=1
	s_wait_dscnt 0x0
	ds_bpermute_b32 v1, v6, v0
	s_wait_dscnt 0x0
	v_add_f32_e32 v0, v0, v1
	ds_bpermute_b32 v1, v7, v0
	s_wait_dscnt 0x0
	v_add_f32_e32 v0, v0, v1
	;; [unrolled: 3-line block ×4, first 2 shown]
	s_or_b32 exec_lo, exec_lo, s21
	s_and_saveexec_b32 s21, s3
	s_cbranch_execz .LBB209_3
.LBB209_17:                             ;   in Loop: Header=BB209_4 Depth=1
	s_and_b32 vcc_lo, exec_lo, s30
	s_mov_b32 s24, -1
	s_cbranch_vccz .LBB209_19
; %bb.18:                               ;   in Loop: Header=BB209_4 Depth=1
	s_mul_u64 s[24:25], s[18:19], s[16:17]
	s_delay_alu instid0(SALU_CYCLE_1) | instskip(NEXT) | instid1(SALU_CYCLE_1)
	s_lshl_b64 s[24:25], s[24:25], 2
	s_add_nc_u64 s[26:27], s[4:5], s[24:25]
	s_mov_b32 s24, 0
	s_wait_dscnt 0x0
	global_store_b32 v11, v0, s[26:27]
.LBB209_19:                             ;   in Loop: Header=BB209_4 Depth=1
	s_and_not1_b32 vcc_lo, exec_lo, s24
	s_cbranch_vccnz .LBB209_3
; %bb.20:                               ;   in Loop: Header=BB209_4 Depth=1
	s_wait_dscnt 0x0
	v_and_b32_e32 v1, 0x7f800000, v0
	s_delay_alu instid0(VALU_DEP_1) | instskip(SKIP_2) | instid1(SALU_CYCLE_1)
	v_cmp_ne_u32_e32 vcc_lo, 0x7f800000, v1
                                        ; implicit-def: $vgpr1
	s_wait_xcnt 0x0
	s_and_saveexec_b32 s24, vcc_lo
	s_xor_b32 s24, exec_lo, s24
; %bb.21:                               ;   in Loop: Header=BB209_4 Depth=1
	v_bfe_u32 v1, v0, 16, 1
	s_delay_alu instid0(VALU_DEP_1)
	v_add3_u32 v1, v0, v1, 0x7fff
                                        ; implicit-def: $vgpr0
; %bb.22:                               ;   in Loop: Header=BB209_4 Depth=1
	s_and_not1_saveexec_b32 s24, s24
	s_cbranch_execz .LBB209_2
; %bb.23:                               ;   in Loop: Header=BB209_4 Depth=1
	v_and_b32_e32 v1, 0xffff, v0
	v_or_b32_e32 v3, 0x10000, v0
	s_delay_alu instid0(VALU_DEP_2) | instskip(NEXT) | instid1(VALU_DEP_2)
	v_cmp_eq_u32_e32 vcc_lo, 0, v1
	v_cndmask_b32_e32 v1, v3, v0, vcc_lo
	s_branch .LBB209_2
.LBB209_24:
	s_endpgm
	.section	.rodata,"a",@progbits
	.p2align	6, 0x0
	.amdhsa_kernel _ZL23rocblas_dot_kernel_inc1ILb0ELi512ELi8ELb1E16rocblas_bfloat16PKPKS0_fEviT4_llS5_lliPT5_PT3_
		.amdhsa_group_segment_fixed_size 128
		.amdhsa_private_segment_fixed_size 0
		.amdhsa_kernarg_size 336
		.amdhsa_user_sgpr_count 2
		.amdhsa_user_sgpr_dispatch_ptr 0
		.amdhsa_user_sgpr_queue_ptr 0
		.amdhsa_user_sgpr_kernarg_segment_ptr 1
		.amdhsa_user_sgpr_dispatch_id 0
		.amdhsa_user_sgpr_kernarg_preload_length 0
		.amdhsa_user_sgpr_kernarg_preload_offset 0
		.amdhsa_user_sgpr_private_segment_size 0
		.amdhsa_wavefront_size32 1
		.amdhsa_uses_dynamic_stack 0
		.amdhsa_enable_private_segment 0
		.amdhsa_system_sgpr_workgroup_id_x 1
		.amdhsa_system_sgpr_workgroup_id_y 0
		.amdhsa_system_sgpr_workgroup_id_z 1
		.amdhsa_system_sgpr_workgroup_info 0
		.amdhsa_system_vgpr_workitem_id 0
		.amdhsa_next_free_vgpr 18
		.amdhsa_next_free_sgpr 38
		.amdhsa_named_barrier_count 0
		.amdhsa_reserve_vcc 1
		.amdhsa_float_round_mode_32 0
		.amdhsa_float_round_mode_16_64 0
		.amdhsa_float_denorm_mode_32 3
		.amdhsa_float_denorm_mode_16_64 3
		.amdhsa_fp16_overflow 0
		.amdhsa_memory_ordered 1
		.amdhsa_forward_progress 1
		.amdhsa_inst_pref_size 9
		.amdhsa_round_robin_scheduling 0
		.amdhsa_exception_fp_ieee_invalid_op 0
		.amdhsa_exception_fp_denorm_src 0
		.amdhsa_exception_fp_ieee_div_zero 0
		.amdhsa_exception_fp_ieee_overflow 0
		.amdhsa_exception_fp_ieee_underflow 0
		.amdhsa_exception_fp_ieee_inexact 0
		.amdhsa_exception_int_div_zero 0
	.end_amdhsa_kernel
	.section	.text._ZL23rocblas_dot_kernel_inc1ILb0ELi512ELi8ELb1E16rocblas_bfloat16PKPKS0_fEviT4_llS5_lliPT5_PT3_,"axG",@progbits,_ZL23rocblas_dot_kernel_inc1ILb0ELi512ELi8ELb1E16rocblas_bfloat16PKPKS0_fEviT4_llS5_lliPT5_PT3_,comdat
.Lfunc_end209:
	.size	_ZL23rocblas_dot_kernel_inc1ILb0ELi512ELi8ELb1E16rocblas_bfloat16PKPKS0_fEviT4_llS5_lliPT5_PT3_, .Lfunc_end209-_ZL23rocblas_dot_kernel_inc1ILb0ELi512ELi8ELb1E16rocblas_bfloat16PKPKS0_fEviT4_llS5_lliPT5_PT3_
                                        ; -- End function
	.set _ZL23rocblas_dot_kernel_inc1ILb0ELi512ELi8ELb1E16rocblas_bfloat16PKPKS0_fEviT4_llS5_lliPT5_PT3_.num_vgpr, 18
	.set _ZL23rocblas_dot_kernel_inc1ILb0ELi512ELi8ELb1E16rocblas_bfloat16PKPKS0_fEviT4_llS5_lliPT5_PT3_.num_agpr, 0
	.set _ZL23rocblas_dot_kernel_inc1ILb0ELi512ELi8ELb1E16rocblas_bfloat16PKPKS0_fEviT4_llS5_lliPT5_PT3_.numbered_sgpr, 38
	.set _ZL23rocblas_dot_kernel_inc1ILb0ELi512ELi8ELb1E16rocblas_bfloat16PKPKS0_fEviT4_llS5_lliPT5_PT3_.num_named_barrier, 0
	.set _ZL23rocblas_dot_kernel_inc1ILb0ELi512ELi8ELb1E16rocblas_bfloat16PKPKS0_fEviT4_llS5_lliPT5_PT3_.private_seg_size, 0
	.set _ZL23rocblas_dot_kernel_inc1ILb0ELi512ELi8ELb1E16rocblas_bfloat16PKPKS0_fEviT4_llS5_lliPT5_PT3_.uses_vcc, 1
	.set _ZL23rocblas_dot_kernel_inc1ILb0ELi512ELi8ELb1E16rocblas_bfloat16PKPKS0_fEviT4_llS5_lliPT5_PT3_.uses_flat_scratch, 0
	.set _ZL23rocblas_dot_kernel_inc1ILb0ELi512ELi8ELb1E16rocblas_bfloat16PKPKS0_fEviT4_llS5_lliPT5_PT3_.has_dyn_sized_stack, 0
	.set _ZL23rocblas_dot_kernel_inc1ILb0ELi512ELi8ELb1E16rocblas_bfloat16PKPKS0_fEviT4_llS5_lliPT5_PT3_.has_recursion, 0
	.set _ZL23rocblas_dot_kernel_inc1ILb0ELi512ELi8ELb1E16rocblas_bfloat16PKPKS0_fEviT4_llS5_lliPT5_PT3_.has_indirect_call, 0
	.section	.AMDGPU.csdata,"",@progbits
; Kernel info:
; codeLenInByte = 1068
; TotalNumSgprs: 40
; NumVgprs: 18
; ScratchSize: 0
; MemoryBound: 0
; FloatMode: 240
; IeeeMode: 1
; LDSByteSize: 128 bytes/workgroup (compile time only)
; SGPRBlocks: 0
; VGPRBlocks: 1
; NumSGPRsForWavesPerEU: 40
; NumVGPRsForWavesPerEU: 18
; NamedBarCnt: 0
; Occupancy: 16
; WaveLimiterHint : 1
; COMPUTE_PGM_RSRC2:SCRATCH_EN: 0
; COMPUTE_PGM_RSRC2:USER_SGPR: 2
; COMPUTE_PGM_RSRC2:TRAP_HANDLER: 0
; COMPUTE_PGM_RSRC2:TGID_X_EN: 1
; COMPUTE_PGM_RSRC2:TGID_Y_EN: 0
; COMPUTE_PGM_RSRC2:TGID_Z_EN: 1
; COMPUTE_PGM_RSRC2:TIDIG_COMP_CNT: 0
	.section	.text._ZL18rocblas_dot_kernelIiLb0ELi512ELi8ELb1E16rocblas_bfloat16PKPKS0_fEviT5_lT_lS5_lS6_liPT6_PT4_,"axG",@progbits,_ZL18rocblas_dot_kernelIiLb0ELi512ELi8ELb1E16rocblas_bfloat16PKPKS0_fEviT5_lT_lS5_lS6_liPT6_PT4_,comdat
	.globl	_ZL18rocblas_dot_kernelIiLb0ELi512ELi8ELb1E16rocblas_bfloat16PKPKS0_fEviT5_lT_lS5_lS6_liPT6_PT4_ ; -- Begin function _ZL18rocblas_dot_kernelIiLb0ELi512ELi8ELb1E16rocblas_bfloat16PKPKS0_fEviT5_lT_lS5_lS6_liPT6_PT4_
	.p2align	8
	.type	_ZL18rocblas_dot_kernelIiLb0ELi512ELi8ELb1E16rocblas_bfloat16PKPKS0_fEviT5_lT_lS5_lS6_liPT6_PT4_,@function
_ZL18rocblas_dot_kernelIiLb0ELi512ELi8ELb1E16rocblas_bfloat16PKPKS0_fEviT5_lT_lS5_lS6_liPT6_PT4_: ; @_ZL18rocblas_dot_kernelIiLb0ELi512ELi8ELb1E16rocblas_bfloat16PKPKS0_fEviT5_lT_lS5_lS6_liPT6_PT4_
; %bb.0:
	s_load_b32 s30, s[0:1], 0x48
	s_bfe_u32 s2, ttmp6, 0x40014
	s_lshr_b32 s3, ttmp7, 16
	s_add_co_i32 s2, s2, 1
	s_bfe_u32 s5, ttmp6, 0x40008
	s_mul_i32 s4, s3, s2
	s_getreg_b32 s2, hwreg(HW_REG_IB_STS2, 6, 4)
	s_add_co_i32 s5, s5, s4
	s_cmp_eq_u32 s2, 0
	s_mov_b32 s17, 0
	s_cselect_b32 s16, s3, s5
	s_wait_kmcnt 0x0
	s_cmp_ge_u32 s16, s30
	s_cbranch_scc1 .LBB210_24
; %bb.1:
	v_mbcnt_lo_u32_b32 v2, -1, 0
	s_clause 0x6
	s_load_b32 s22, s[0:1], 0x18
	s_load_b32 s26, s[0:1], 0x38
	;; [unrolled: 1-line block ×3, first 2 shown]
	s_load_b128 s[4:7], s[0:1], 0x50
	s_load_b128 s[8:11], s[0:1], 0x28
	;; [unrolled: 1-line block ×3, first 2 shown]
	s_load_b32 s31, s[0:1], 0x0
	s_bfe_u32 s3, ttmp6, 0x4000c
	s_wait_xcnt 0x0
	s_and_b32 s1, ttmp6, 15
	s_add_co_i32 s3, s3, 1
	v_cmp_gt_u32_e32 vcc_lo, 24, v2
	s_mul_i32 s3, ttmp9, s3
	v_and_b32_e32 v1, 31, v0
	s_add_co_i32 s1, s1, s3
	s_mov_b32 s25, s17
	v_cndmask_b32_e64 v3, 0, 8, vcc_lo
	v_cmp_gt_u32_e32 vcc_lo, 28, v2
	v_cmp_gt_u32_e64 s0, 32, v0
	v_lshl_or_b32 v5, v2, 2, 64
	v_cmp_eq_u32_e64 s3, 0, v0
	s_wait_kmcnt 0x0
	s_ashr_i32 s23, s22, 31
	v_cndmask_b32_e64 v8, 0, 4, vcc_lo
	v_cmp_gt_u32_e32 vcc_lo, 30, v2
	s_ashr_i32 s27, s26, 31
	s_cmp_eq_u32 s2, 0
	v_add_lshl_u32 v7, v3, v2, 2
	s_cselect_b32 s24, ttmp9, s1
	v_cndmask_b32_e64 v9, 0, 2, vcc_lo
	v_cmp_ne_u32_e32 vcc_lo, 31, v2
	s_cmp_lg_u32 s18, 1
	v_lshrrev_b32_e32 v3, 3, v0
	s_cselect_b32 s33, -1, 0
	s_lshl_b32 s20, s18, 9
	v_add_co_ci_u32_e64 v10, null, 0, v2, vcc_lo
	v_lshl_or_b32 v6, s24, 9, v0
	s_lshl_b64 s[24:25], s[24:25], 2
	s_ashr_i32 s21, s20, 31
	s_delay_alu instid0(VALU_DEP_2)
	v_dual_lshlrev_b32 v4, 2, v1 :: v_dual_lshlrev_b32 v10, 2, v10
	v_add_lshl_u32 v8, v8, v2, 2
	v_add_lshl_u32 v9, v9, v2, 2
	v_cmp_eq_u32_e64 s1, 0, v1
	v_dual_mov_b32 v12, 0 :: v_dual_bitop2_b32 v11, 60, v3 bitop3:0x40
	v_cmp_gt_u32_e64 s2, 16, v0
	s_add_nc_u64 s[4:5], s[4:5], s[24:25]
	s_mul_u64 s[24:25], s[22:23], s[20:21]
	s_mul_u64 s[28:29], s[26:27], s[20:21]
	s_mov_b32 s19, s17
	s_lshl_b64 s[14:15], s[14:15], 1
	s_lshl_b64 s[22:23], s[22:23], 1
	s_lshl_b64 s[24:25], s[24:25], 1
	s_lshl_b64 s[10:11], s[10:11], 1
	s_lshl_b64 s[26:27], s[26:27], 1
	s_lshl_b64 s[28:29], s[28:29], 1
	s_branch .LBB210_4
.LBB210_2:                              ;   in Loop: Header=BB210_4 Depth=1
	s_or_b32 exec_lo, exec_lo, s34
	s_lshl_b64 s[34:35], s[16:17], 1
	s_delay_alu instid0(SALU_CYCLE_1)
	s_add_nc_u64 s[34:35], s[6:7], s[34:35]
	global_store_d16_hi_b16 v12, v1, s[34:35]
.LBB210_3:                              ;   in Loop: Header=BB210_4 Depth=1
	s_wait_xcnt 0x0
	s_or_b32 exec_lo, exec_lo, s21
	s_add_co_i32 s16, s16, 0x10000
	s_delay_alu instid0(SALU_CYCLE_1)
	s_cmp_lt_u32 s16, s30
	s_cbranch_scc0 .LBB210_24
.LBB210_4:                              ; =>This Loop Header: Depth=1
                                        ;     Child Loop BB210_6 Depth 2
	v_mov_b32_e32 v13, 0
	s_mov_b32 s21, exec_lo
	v_cmpx_gt_i32_e64 s31, v6
	s_cbranch_execz .LBB210_8
; %bb.5:                                ;   in Loop: Header=BB210_4 Depth=1
	s_lshl_b64 s[34:35], s[16:17], 3
	v_ashrrev_i32_e32 v13, 31, v6
	s_add_nc_u64 s[36:37], s[12:13], s[34:35]
	s_add_nc_u64 s[34:35], s[8:9], s[34:35]
	s_load_b64 s[38:39], s[36:37], 0x0
	s_load_b64 s[40:41], s[34:35], 0x0
	s_wait_kmcnt 0x0
	s_wait_xcnt 0x0
	s_add_nc_u64 s[34:35], s[38:39], s[14:15]
	s_add_nc_u64 s[36:37], s[40:41], s[10:11]
	s_wait_dscnt 0x0
	v_mad_nc_u64_u32 v[0:1], s22, v6, s[34:35]
	v_mad_nc_u64_u32 v[2:3], s26, v6, s[36:37]
	s_mov_b32 s34, 0
	s_mov_b32 s35, 0
	s_delay_alu instid0(VALU_DEP_2) | instskip(NEXT) | instid1(VALU_DEP_2)
	v_mad_u32 v1, s23, v6, v1
	v_mad_u32 v3, s27, v6, v3
	s_delay_alu instid0(VALU_DEP_2) | instskip(NEXT) | instid1(VALU_DEP_2)
	v_mad_u32 v1, s22, v13, v1
	v_mad_u32 v3, s26, v13, v3
	v_mov_b32_e32 v13, 0
.LBB210_6:                              ;   Parent Loop BB210_4 Depth=1
                                        ; =>  This Inner Loop Header: Depth=2
	flat_load_u16 v14, v[2:3]
	flat_load_u16 v15, v[0:1]
	v_add_nc_u32_e32 v6, s20, v6
	s_add_co_i32 s36, s35, 1
	s_cmp_gt_u32 s35, 6
	s_wait_xcnt 0x0
	v_add_nc_u64_e32 v[0:1], s[24:25], v[0:1]
	s_cselect_b32 s35, -1, 0
	v_cmp_le_i32_e32 vcc_lo, s31, v6
	v_add_nc_u64_e32 v[2:3], s[28:29], v[2:3]
	s_or_b32 s35, s35, vcc_lo
	s_delay_alu instid0(SALU_CYCLE_1) | instskip(NEXT) | instid1(SALU_CYCLE_1)
	s_and_b32 s35, exec_lo, s35
	s_or_b32 s34, s35, s34
	s_mov_b32 s35, s36
	s_wait_loadcnt_dscnt 0x0
	v_fma_mix_f32_bf16 v13, v15, v14, v13 op_sel_hi:[1,1,0]
	s_and_not1_b32 exec_lo, exec_lo, s34
	s_cbranch_execnz .LBB210_6
; %bb.7:                                ;   in Loop: Header=BB210_4 Depth=1
	s_or_b32 exec_lo, exec_lo, s34
.LBB210_8:                              ;   in Loop: Header=BB210_4 Depth=1
	s_delay_alu instid0(SALU_CYCLE_1)
	s_or_b32 exec_lo, exec_lo, s21
	s_and_saveexec_b32 s21, s0
; %bb.9:                                ;   in Loop: Header=BB210_4 Depth=1
	ds_store_b32 v4, v12
; %bb.10:                               ;   in Loop: Header=BB210_4 Depth=1
	s_or_b32 exec_lo, exec_lo, s21
	s_wait_dscnt 0x0
	ds_bpermute_b32 v0, v5, v13
	s_wait_dscnt 0x0
	s_barrier_signal -1
	s_barrier_wait -1
	v_add_f32_e32 v0, v13, v0
	ds_bpermute_b32 v1, v7, v0
	s_wait_dscnt 0x0
	v_add_f32_e32 v0, v0, v1
	ds_bpermute_b32 v1, v8, v0
	s_wait_dscnt 0x0
	;; [unrolled: 3-line block ×3, first 2 shown]
	v_add_f32_e32 v0, v0, v1
	ds_bpermute_b32 v1, v10, v0
	s_and_saveexec_b32 s21, s1
	s_cbranch_execz .LBB210_12
; %bb.11:                               ;   in Loop: Header=BB210_4 Depth=1
	s_wait_dscnt 0x0
	v_add_f32_e32 v0, v0, v1
	ds_store_b32 v11, v0
.LBB210_12:                             ;   in Loop: Header=BB210_4 Depth=1
	s_or_b32 exec_lo, exec_lo, s21
	v_mov_b32_e32 v0, 0
	s_wait_dscnt 0x0
	s_barrier_signal -1
	s_barrier_wait -1
	s_and_saveexec_b32 s21, s2
	s_cbranch_execnz .LBB210_15
; %bb.13:                               ;   in Loop: Header=BB210_4 Depth=1
	s_or_b32 exec_lo, exec_lo, s21
	s_and_saveexec_b32 s21, s0
	s_cbranch_execnz .LBB210_16
.LBB210_14:                             ;   in Loop: Header=BB210_4 Depth=1
	s_or_b32 exec_lo, exec_lo, s21
	s_and_saveexec_b32 s21, s3
	s_cbranch_execz .LBB210_3
	s_branch .LBB210_17
.LBB210_15:                             ;   in Loop: Header=BB210_4 Depth=1
	ds_load_b32 v0, v4
	s_or_b32 exec_lo, exec_lo, s21
	s_and_saveexec_b32 s21, s0
	s_cbranch_execz .LBB210_14
.LBB210_16:                             ;   in Loop: Header=BB210_4 Depth=1
	s_wait_dscnt 0x0
	ds_bpermute_b32 v1, v7, v0
	s_wait_dscnt 0x0
	v_add_f32_e32 v0, v0, v1
	ds_bpermute_b32 v1, v8, v0
	s_wait_dscnt 0x0
	v_add_f32_e32 v0, v0, v1
	;; [unrolled: 3-line block ×4, first 2 shown]
	s_or_b32 exec_lo, exec_lo, s21
	s_and_saveexec_b32 s21, s3
	s_cbranch_execz .LBB210_3
.LBB210_17:                             ;   in Loop: Header=BB210_4 Depth=1
	s_and_b32 vcc_lo, exec_lo, s33
	s_mov_b32 s34, -1
	s_cbranch_vccz .LBB210_19
; %bb.18:                               ;   in Loop: Header=BB210_4 Depth=1
	s_mul_u64 s[34:35], s[18:19], s[16:17]
	s_delay_alu instid0(SALU_CYCLE_1) | instskip(NEXT) | instid1(SALU_CYCLE_1)
	s_lshl_b64 s[34:35], s[34:35], 2
	s_add_nc_u64 s[36:37], s[4:5], s[34:35]
	s_mov_b32 s34, 0
	s_wait_dscnt 0x0
	global_store_b32 v12, v0, s[36:37]
.LBB210_19:                             ;   in Loop: Header=BB210_4 Depth=1
	s_and_not1_b32 vcc_lo, exec_lo, s34
	s_cbranch_vccnz .LBB210_3
; %bb.20:                               ;   in Loop: Header=BB210_4 Depth=1
	s_wait_dscnt 0x0
	v_and_b32_e32 v1, 0x7f800000, v0
	s_delay_alu instid0(VALU_DEP_1) | instskip(SKIP_2) | instid1(SALU_CYCLE_1)
	v_cmp_ne_u32_e32 vcc_lo, 0x7f800000, v1
                                        ; implicit-def: $vgpr1
	s_wait_xcnt 0x0
	s_and_saveexec_b32 s34, vcc_lo
	s_xor_b32 s34, exec_lo, s34
; %bb.21:                               ;   in Loop: Header=BB210_4 Depth=1
	v_bfe_u32 v1, v0, 16, 1
	s_delay_alu instid0(VALU_DEP_1)
	v_add3_u32 v1, v0, v1, 0x7fff
                                        ; implicit-def: $vgpr0
; %bb.22:                               ;   in Loop: Header=BB210_4 Depth=1
	s_and_not1_saveexec_b32 s34, s34
	s_cbranch_execz .LBB210_2
; %bb.23:                               ;   in Loop: Header=BB210_4 Depth=1
	v_and_b32_e32 v1, 0xffff, v0
	v_or_b32_e32 v2, 0x10000, v0
	s_delay_alu instid0(VALU_DEP_2) | instskip(NEXT) | instid1(VALU_DEP_2)
	v_cmp_eq_u32_e32 vcc_lo, 0, v1
	v_cndmask_b32_e32 v1, v2, v0, vcc_lo
	s_branch .LBB210_2
.LBB210_24:
	s_endpgm
	.section	.rodata,"a",@progbits
	.p2align	6, 0x0
	.amdhsa_kernel _ZL18rocblas_dot_kernelIiLb0ELi512ELi8ELb1E16rocblas_bfloat16PKPKS0_fEviT5_lT_lS5_lS6_liPT6_PT4_
		.amdhsa_group_segment_fixed_size 128
		.amdhsa_private_segment_fixed_size 0
		.amdhsa_kernarg_size 352
		.amdhsa_user_sgpr_count 2
		.amdhsa_user_sgpr_dispatch_ptr 0
		.amdhsa_user_sgpr_queue_ptr 0
		.amdhsa_user_sgpr_kernarg_segment_ptr 1
		.amdhsa_user_sgpr_dispatch_id 0
		.amdhsa_user_sgpr_kernarg_preload_length 0
		.amdhsa_user_sgpr_kernarg_preload_offset 0
		.amdhsa_user_sgpr_private_segment_size 0
		.amdhsa_wavefront_size32 1
		.amdhsa_uses_dynamic_stack 0
		.amdhsa_enable_private_segment 0
		.amdhsa_system_sgpr_workgroup_id_x 1
		.amdhsa_system_sgpr_workgroup_id_y 0
		.amdhsa_system_sgpr_workgroup_id_z 1
		.amdhsa_system_sgpr_workgroup_info 0
		.amdhsa_system_vgpr_workitem_id 0
		.amdhsa_next_free_vgpr 16
		.amdhsa_next_free_sgpr 42
		.amdhsa_named_barrier_count 0
		.amdhsa_reserve_vcc 1
		.amdhsa_float_round_mode_32 0
		.amdhsa_float_round_mode_16_64 0
		.amdhsa_float_denorm_mode_32 3
		.amdhsa_float_denorm_mode_16_64 3
		.amdhsa_fp16_overflow 0
		.amdhsa_memory_ordered 1
		.amdhsa_forward_progress 1
		.amdhsa_inst_pref_size 9
		.amdhsa_round_robin_scheduling 0
		.amdhsa_exception_fp_ieee_invalid_op 0
		.amdhsa_exception_fp_denorm_src 0
		.amdhsa_exception_fp_ieee_div_zero 0
		.amdhsa_exception_fp_ieee_overflow 0
		.amdhsa_exception_fp_ieee_underflow 0
		.amdhsa_exception_fp_ieee_inexact 0
		.amdhsa_exception_int_div_zero 0
	.end_amdhsa_kernel
	.section	.text._ZL18rocblas_dot_kernelIiLb0ELi512ELi8ELb1E16rocblas_bfloat16PKPKS0_fEviT5_lT_lS5_lS6_liPT6_PT4_,"axG",@progbits,_ZL18rocblas_dot_kernelIiLb0ELi512ELi8ELb1E16rocblas_bfloat16PKPKS0_fEviT5_lT_lS5_lS6_liPT6_PT4_,comdat
.Lfunc_end210:
	.size	_ZL18rocblas_dot_kernelIiLb0ELi512ELi8ELb1E16rocblas_bfloat16PKPKS0_fEviT5_lT_lS5_lS6_liPT6_PT4_, .Lfunc_end210-_ZL18rocblas_dot_kernelIiLb0ELi512ELi8ELb1E16rocblas_bfloat16PKPKS0_fEviT5_lT_lS5_lS6_liPT6_PT4_
                                        ; -- End function
	.set _ZL18rocblas_dot_kernelIiLb0ELi512ELi8ELb1E16rocblas_bfloat16PKPKS0_fEviT5_lT_lS5_lS6_liPT6_PT4_.num_vgpr, 16
	.set _ZL18rocblas_dot_kernelIiLb0ELi512ELi8ELb1E16rocblas_bfloat16PKPKS0_fEviT5_lT_lS5_lS6_liPT6_PT4_.num_agpr, 0
	.set _ZL18rocblas_dot_kernelIiLb0ELi512ELi8ELb1E16rocblas_bfloat16PKPKS0_fEviT5_lT_lS5_lS6_liPT6_PT4_.numbered_sgpr, 42
	.set _ZL18rocblas_dot_kernelIiLb0ELi512ELi8ELb1E16rocblas_bfloat16PKPKS0_fEviT5_lT_lS5_lS6_liPT6_PT4_.num_named_barrier, 0
	.set _ZL18rocblas_dot_kernelIiLb0ELi512ELi8ELb1E16rocblas_bfloat16PKPKS0_fEviT5_lT_lS5_lS6_liPT6_PT4_.private_seg_size, 0
	.set _ZL18rocblas_dot_kernelIiLb0ELi512ELi8ELb1E16rocblas_bfloat16PKPKS0_fEviT5_lT_lS5_lS6_liPT6_PT4_.uses_vcc, 1
	.set _ZL18rocblas_dot_kernelIiLb0ELi512ELi8ELb1E16rocblas_bfloat16PKPKS0_fEviT5_lT_lS5_lS6_liPT6_PT4_.uses_flat_scratch, 0
	.set _ZL18rocblas_dot_kernelIiLb0ELi512ELi8ELb1E16rocblas_bfloat16PKPKS0_fEviT5_lT_lS5_lS6_liPT6_PT4_.has_dyn_sized_stack, 0
	.set _ZL18rocblas_dot_kernelIiLb0ELi512ELi8ELb1E16rocblas_bfloat16PKPKS0_fEviT5_lT_lS5_lS6_liPT6_PT4_.has_recursion, 0
	.set _ZL18rocblas_dot_kernelIiLb0ELi512ELi8ELb1E16rocblas_bfloat16PKPKS0_fEviT5_lT_lS5_lS6_liPT6_PT4_.has_indirect_call, 0
	.section	.AMDGPU.csdata,"",@progbits
; Kernel info:
; codeLenInByte = 1152
; TotalNumSgprs: 44
; NumVgprs: 16
; ScratchSize: 0
; MemoryBound: 0
; FloatMode: 240
; IeeeMode: 1
; LDSByteSize: 128 bytes/workgroup (compile time only)
; SGPRBlocks: 0
; VGPRBlocks: 0
; NumSGPRsForWavesPerEU: 44
; NumVGPRsForWavesPerEU: 16
; NamedBarCnt: 0
; Occupancy: 16
; WaveLimiterHint : 0
; COMPUTE_PGM_RSRC2:SCRATCH_EN: 0
; COMPUTE_PGM_RSRC2:USER_SGPR: 2
; COMPUTE_PGM_RSRC2:TRAP_HANDLER: 0
; COMPUTE_PGM_RSRC2:TGID_X_EN: 1
; COMPUTE_PGM_RSRC2:TGID_Y_EN: 0
; COMPUTE_PGM_RSRC2:TGID_Z_EN: 1
; COMPUTE_PGM_RSRC2:TIDIG_COMP_CNT: 0
	.section	.text._ZL24rocblas_dot_kernel_magsqIiLb0ELi512ELi8ELb1E16rocblas_bfloat16PKPKS0_fEviT5_lT_liPT6_PT4_,"axG",@progbits,_ZL24rocblas_dot_kernel_magsqIiLb0ELi512ELi8ELb1E16rocblas_bfloat16PKPKS0_fEviT5_lT_liPT6_PT4_,comdat
	.globl	_ZL24rocblas_dot_kernel_magsqIiLb0ELi512ELi8ELb1E16rocblas_bfloat16PKPKS0_fEviT5_lT_liPT6_PT4_ ; -- Begin function _ZL24rocblas_dot_kernel_magsqIiLb0ELi512ELi8ELb1E16rocblas_bfloat16PKPKS0_fEviT5_lT_liPT6_PT4_
	.p2align	8
	.type	_ZL24rocblas_dot_kernel_magsqIiLb0ELi512ELi8ELb1E16rocblas_bfloat16PKPKS0_fEviT5_lT_liPT6_PT4_,@function
_ZL24rocblas_dot_kernel_magsqIiLb0ELi512ELi8ELb1E16rocblas_bfloat16PKPKS0_fEviT5_lT_liPT6_PT4_: ; @_ZL24rocblas_dot_kernel_magsqIiLb0ELi512ELi8ELb1E16rocblas_bfloat16PKPKS0_fEviT5_lT_liPT6_PT4_
; %bb.0:
	s_load_b32 s22, s[0:1], 0x28
	s_bfe_u32 s2, ttmp6, 0x40014
	s_lshr_b32 s3, ttmp7, 16
	s_add_co_i32 s2, s2, 1
	s_bfe_u32 s5, ttmp6, 0x40008
	s_mul_i32 s4, s3, s2
	s_getreg_b32 s2, hwreg(HW_REG_IB_STS2, 6, 4)
	s_add_co_i32 s5, s5, s4
	s_cmp_eq_u32 s2, 0
	s_mov_b32 s13, 0
	s_cselect_b32 s12, s3, s5
	s_wait_kmcnt 0x0
	s_cmp_ge_u32 s12, s22
	s_cbranch_scc1 .LBB211_24
; %bb.1:
	v_mbcnt_lo_u32_b32 v7, -1, 0
	s_clause 0x4
	s_load_b32 s18, s[0:1], 0x18
	s_load_b32 s14, s[0:1], 0x40
	s_load_b128 s[4:7], s[0:1], 0x30
	s_load_b128 s[8:11], s[0:1], 0x8
	s_load_b32 s23, s[0:1], 0x0
	s_wait_xcnt 0x0
	s_bfe_u32 s0, ttmp6, 0x4000c
	s_and_b32 s1, ttmp6, 15
	s_add_co_i32 s3, s0, 1
	v_cmp_gt_u32_e32 vcc_lo, 24, v7
	s_mul_i32 s3, ttmp9, s3
	v_dual_lshrrev_b32 v10, 3, v0 :: v_dual_bitop2_b32 v1, 31, v0 bitop3:0x40
	s_add_co_i32 s1, s1, s3
	v_cndmask_b32_e64 v5, 0, 8, vcc_lo
	v_cmp_gt_u32_e32 vcc_lo, 28, v7
	s_mov_b32 s21, s13
	v_cmp_gt_u32_e64 s0, 32, v0
	v_lshlrev_b32_e32 v2, 2, v1
	v_lshl_or_b32 v3, v7, 2, 64
	v_cndmask_b32_e64 v6, 0, 4, vcc_lo
	v_cmp_gt_u32_e32 vcc_lo, 30, v7
	s_wait_kmcnt 0x0
	s_ashr_i32 s19, s18, 31
	s_cmp_eq_u32 s2, 0
	v_add_lshl_u32 v5, v5, v7, 2
	s_cselect_b32 s20, ttmp9, s1
	v_cndmask_b32_e64 v8, 0, 2, vcc_lo
	v_cmp_ne_u32_e32 vcc_lo, 31, v7
	s_cmp_lg_u32 s14, 1
	v_lshl_or_b32 v4, s20, 9, v0
	s_cselect_b32 s24, -1, 0
	s_lshl_b32 s16, s14, 9
	v_add_co_ci_u32_e64 v9, null, 0, v7, vcc_lo
	s_lshl_b64 s[20:21], s[20:21], 2
	s_ashr_i32 s17, s16, 31
	v_add_lshl_u32 v6, v6, v7, 2
	v_add_lshl_u32 v7, v8, v7, 2
	v_lshlrev_b32_e32 v8, 2, v9
	v_cmp_eq_u32_e64 s1, 0, v1
	v_and_b32_e32 v9, 60, v10
	v_cmp_gt_u32_e64 s2, 16, v0
	v_cmp_eq_u32_e64 s3, 0, v0
	v_mov_b32_e32 v10, 0
	s_add_nc_u64 s[4:5], s[4:5], s[20:21]
	s_mul_u64 s[20:21], s[18:19], s[16:17]
	s_mov_b32 s15, s13
	s_lshl_b64 s[10:11], s[10:11], 1
	s_lshl_b64 s[18:19], s[18:19], 1
	s_lshl_b64 s[20:21], s[20:21], 1
	s_branch .LBB211_4
.LBB211_2:                              ;   in Loop: Header=BB211_4 Depth=1
	s_or_b32 exec_lo, exec_lo, s25
	s_lshl_b64 s[26:27], s[12:13], 1
	s_delay_alu instid0(SALU_CYCLE_1)
	s_add_nc_u64 s[26:27], s[6:7], s[26:27]
	global_store_d16_hi_b16 v10, v1, s[26:27]
.LBB211_3:                              ;   in Loop: Header=BB211_4 Depth=1
	s_wait_xcnt 0x0
	s_or_b32 exec_lo, exec_lo, s17
	s_add_co_i32 s12, s12, 0x10000
	s_delay_alu instid0(SALU_CYCLE_1)
	s_cmp_lt_u32 s12, s22
	s_cbranch_scc0 .LBB211_24
.LBB211_4:                              ; =>This Loop Header: Depth=1
                                        ;     Child Loop BB211_6 Depth 2
	v_mov_b32_e32 v11, 0
	s_mov_b32 s17, exec_lo
	v_cmpx_gt_i32_e64 s23, v4
	s_cbranch_execz .LBB211_8
; %bb.5:                                ;   in Loop: Header=BB211_4 Depth=1
	s_lshl_b64 s[26:27], s[12:13], 3
	v_ashrrev_i32_e32 v11, 31, v4
	s_add_nc_u64 s[26:27], s[8:9], s[26:27]
	s_mov_b32 s25, 0
	s_load_b64 s[26:27], s[26:27], 0x0
	s_wait_kmcnt 0x0
	s_wait_xcnt 0x0
	s_add_nc_u64 s[26:27], s[26:27], s[10:11]
	s_wait_dscnt 0x0
	v_mad_nc_u64_u32 v[0:1], s18, v4, s[26:27]
	s_mov_b32 s26, 0
	s_delay_alu instid0(VALU_DEP_1) | instskip(NEXT) | instid1(VALU_DEP_1)
	v_mad_u32 v1, s19, v4, v1
	v_mad_u32 v1, s18, v11, v1
	v_mov_b32_e32 v11, 0
.LBB211_6:                              ;   Parent Loop BB211_4 Depth=1
                                        ; =>  This Inner Loop Header: Depth=2
	flat_load_u16 v12, v[0:1]
	v_add_nc_u32_e32 v4, s16, v4
	s_add_co_i32 s27, s26, 1
	s_cmp_gt_u32 s26, 6
	s_wait_xcnt 0x0
	v_add_nc_u64_e32 v[0:1], s[20:21], v[0:1]
	s_cselect_b32 s26, -1, 0
	v_cmp_le_i32_e32 vcc_lo, s23, v4
	s_or_b32 s26, s26, vcc_lo
	s_delay_alu instid0(SALU_CYCLE_1) | instskip(NEXT) | instid1(SALU_CYCLE_1)
	s_and_b32 s26, exec_lo, s26
	s_or_b32 s25, s26, s25
	s_mov_b32 s26, s27
	s_wait_loadcnt_dscnt 0x0
	v_fma_mix_f32_bf16 v11, v12, v12, v11 op_sel_hi:[1,1,0]
	s_and_not1_b32 exec_lo, exec_lo, s25
	s_cbranch_execnz .LBB211_6
; %bb.7:                                ;   in Loop: Header=BB211_4 Depth=1
	s_or_b32 exec_lo, exec_lo, s25
.LBB211_8:                              ;   in Loop: Header=BB211_4 Depth=1
	s_delay_alu instid0(SALU_CYCLE_1)
	s_or_b32 exec_lo, exec_lo, s17
	s_and_saveexec_b32 s17, s0
; %bb.9:                                ;   in Loop: Header=BB211_4 Depth=1
	ds_store_b32 v2, v10
; %bb.10:                               ;   in Loop: Header=BB211_4 Depth=1
	s_or_b32 exec_lo, exec_lo, s17
	s_wait_dscnt 0x0
	ds_bpermute_b32 v0, v3, v11
	s_wait_dscnt 0x0
	s_barrier_signal -1
	s_barrier_wait -1
	v_add_f32_e32 v0, v11, v0
	ds_bpermute_b32 v1, v5, v0
	s_wait_dscnt 0x0
	v_add_f32_e32 v0, v0, v1
	ds_bpermute_b32 v1, v6, v0
	s_wait_dscnt 0x0
	v_add_f32_e32 v0, v0, v1
	ds_bpermute_b32 v1, v7, v0
	s_wait_dscnt 0x0
	v_add_f32_e32 v0, v0, v1
	ds_bpermute_b32 v1, v8, v0
	s_and_saveexec_b32 s17, s1
	s_cbranch_execz .LBB211_12
; %bb.11:                               ;   in Loop: Header=BB211_4 Depth=1
	s_wait_dscnt 0x0
	v_add_f32_e32 v0, v0, v1
	ds_store_b32 v9, v0
.LBB211_12:                             ;   in Loop: Header=BB211_4 Depth=1
	s_or_b32 exec_lo, exec_lo, s17
	v_mov_b32_e32 v0, 0
	s_wait_dscnt 0x0
	s_barrier_signal -1
	s_barrier_wait -1
	s_and_saveexec_b32 s17, s2
	s_cbranch_execnz .LBB211_15
; %bb.13:                               ;   in Loop: Header=BB211_4 Depth=1
	s_or_b32 exec_lo, exec_lo, s17
	s_and_saveexec_b32 s17, s0
	s_cbranch_execnz .LBB211_16
.LBB211_14:                             ;   in Loop: Header=BB211_4 Depth=1
	s_or_b32 exec_lo, exec_lo, s17
	s_and_saveexec_b32 s17, s3
	s_cbranch_execz .LBB211_3
	s_branch .LBB211_17
.LBB211_15:                             ;   in Loop: Header=BB211_4 Depth=1
	ds_load_b32 v0, v2
	s_or_b32 exec_lo, exec_lo, s17
	s_and_saveexec_b32 s17, s0
	s_cbranch_execz .LBB211_14
.LBB211_16:                             ;   in Loop: Header=BB211_4 Depth=1
	s_wait_dscnt 0x0
	ds_bpermute_b32 v1, v5, v0
	s_wait_dscnt 0x0
	v_add_f32_e32 v0, v0, v1
	ds_bpermute_b32 v1, v6, v0
	s_wait_dscnt 0x0
	v_add_f32_e32 v0, v0, v1
	;; [unrolled: 3-line block ×4, first 2 shown]
	s_or_b32 exec_lo, exec_lo, s17
	s_and_saveexec_b32 s17, s3
	s_cbranch_execz .LBB211_3
.LBB211_17:                             ;   in Loop: Header=BB211_4 Depth=1
	s_and_b32 vcc_lo, exec_lo, s24
	s_mov_b32 s25, -1
	s_cbranch_vccz .LBB211_19
; %bb.18:                               ;   in Loop: Header=BB211_4 Depth=1
	s_mul_u64 s[26:27], s[14:15], s[12:13]
	s_mov_b32 s25, 0
	s_lshl_b64 s[26:27], s[26:27], 2
	s_delay_alu instid0(SALU_CYCLE_1)
	s_add_nc_u64 s[26:27], s[4:5], s[26:27]
	s_wait_dscnt 0x0
	global_store_b32 v10, v0, s[26:27]
.LBB211_19:                             ;   in Loop: Header=BB211_4 Depth=1
	s_and_not1_b32 vcc_lo, exec_lo, s25
	s_cbranch_vccnz .LBB211_3
; %bb.20:                               ;   in Loop: Header=BB211_4 Depth=1
	s_wait_dscnt 0x0
	v_and_b32_e32 v1, 0x7f800000, v0
	s_delay_alu instid0(VALU_DEP_1) | instskip(SKIP_2) | instid1(SALU_CYCLE_1)
	v_cmp_ne_u32_e32 vcc_lo, 0x7f800000, v1
                                        ; implicit-def: $vgpr1
	s_wait_xcnt 0x0
	s_and_saveexec_b32 s25, vcc_lo
	s_xor_b32 s25, exec_lo, s25
; %bb.21:                               ;   in Loop: Header=BB211_4 Depth=1
	v_bfe_u32 v1, v0, 16, 1
	s_delay_alu instid0(VALU_DEP_1)
	v_add3_u32 v1, v0, v1, 0x7fff
                                        ; implicit-def: $vgpr0
; %bb.22:                               ;   in Loop: Header=BB211_4 Depth=1
	s_and_not1_saveexec_b32 s25, s25
	s_cbranch_execz .LBB211_2
; %bb.23:                               ;   in Loop: Header=BB211_4 Depth=1
	v_and_b32_e32 v1, 0xffff, v0
	v_or_b32_e32 v11, 0x10000, v0
	s_delay_alu instid0(VALU_DEP_2) | instskip(NEXT) | instid1(VALU_DEP_2)
	v_cmp_eq_u32_e32 vcc_lo, 0, v1
	v_cndmask_b32_e32 v1, v11, v0, vcc_lo
	s_branch .LBB211_2
.LBB211_24:
	s_endpgm
	.section	.rodata,"a",@progbits
	.p2align	6, 0x0
	.amdhsa_kernel _ZL24rocblas_dot_kernel_magsqIiLb0ELi512ELi8ELb1E16rocblas_bfloat16PKPKS0_fEviT5_lT_liPT6_PT4_
		.amdhsa_group_segment_fixed_size 128
		.amdhsa_private_segment_fixed_size 0
		.amdhsa_kernarg_size 320
		.amdhsa_user_sgpr_count 2
		.amdhsa_user_sgpr_dispatch_ptr 0
		.amdhsa_user_sgpr_queue_ptr 0
		.amdhsa_user_sgpr_kernarg_segment_ptr 1
		.amdhsa_user_sgpr_dispatch_id 0
		.amdhsa_user_sgpr_kernarg_preload_length 0
		.amdhsa_user_sgpr_kernarg_preload_offset 0
		.amdhsa_user_sgpr_private_segment_size 0
		.amdhsa_wavefront_size32 1
		.amdhsa_uses_dynamic_stack 0
		.amdhsa_enable_private_segment 0
		.amdhsa_system_sgpr_workgroup_id_x 1
		.amdhsa_system_sgpr_workgroup_id_y 0
		.amdhsa_system_sgpr_workgroup_id_z 1
		.amdhsa_system_sgpr_workgroup_info 0
		.amdhsa_system_vgpr_workitem_id 0
		.amdhsa_next_free_vgpr 13
		.amdhsa_next_free_sgpr 28
		.amdhsa_named_barrier_count 0
		.amdhsa_reserve_vcc 1
		.amdhsa_float_round_mode_32 0
		.amdhsa_float_round_mode_16_64 0
		.amdhsa_float_denorm_mode_32 3
		.amdhsa_float_denorm_mode_16_64 3
		.amdhsa_fp16_overflow 0
		.amdhsa_memory_ordered 1
		.amdhsa_forward_progress 1
		.amdhsa_inst_pref_size 9
		.amdhsa_round_robin_scheduling 0
		.amdhsa_exception_fp_ieee_invalid_op 0
		.amdhsa_exception_fp_denorm_src 0
		.amdhsa_exception_fp_ieee_div_zero 0
		.amdhsa_exception_fp_ieee_overflow 0
		.amdhsa_exception_fp_ieee_underflow 0
		.amdhsa_exception_fp_ieee_inexact 0
		.amdhsa_exception_int_div_zero 0
	.end_amdhsa_kernel
	.section	.text._ZL24rocblas_dot_kernel_magsqIiLb0ELi512ELi8ELb1E16rocblas_bfloat16PKPKS0_fEviT5_lT_liPT6_PT4_,"axG",@progbits,_ZL24rocblas_dot_kernel_magsqIiLb0ELi512ELi8ELb1E16rocblas_bfloat16PKPKS0_fEviT5_lT_liPT6_PT4_,comdat
.Lfunc_end211:
	.size	_ZL24rocblas_dot_kernel_magsqIiLb0ELi512ELi8ELb1E16rocblas_bfloat16PKPKS0_fEviT5_lT_liPT6_PT4_, .Lfunc_end211-_ZL24rocblas_dot_kernel_magsqIiLb0ELi512ELi8ELb1E16rocblas_bfloat16PKPKS0_fEviT5_lT_liPT6_PT4_
                                        ; -- End function
	.set _ZL24rocblas_dot_kernel_magsqIiLb0ELi512ELi8ELb1E16rocblas_bfloat16PKPKS0_fEviT5_lT_liPT6_PT4_.num_vgpr, 13
	.set _ZL24rocblas_dot_kernel_magsqIiLb0ELi512ELi8ELb1E16rocblas_bfloat16PKPKS0_fEviT5_lT_liPT6_PT4_.num_agpr, 0
	.set _ZL24rocblas_dot_kernel_magsqIiLb0ELi512ELi8ELb1E16rocblas_bfloat16PKPKS0_fEviT5_lT_liPT6_PT4_.numbered_sgpr, 28
	.set _ZL24rocblas_dot_kernel_magsqIiLb0ELi512ELi8ELb1E16rocblas_bfloat16PKPKS0_fEviT5_lT_liPT6_PT4_.num_named_barrier, 0
	.set _ZL24rocblas_dot_kernel_magsqIiLb0ELi512ELi8ELb1E16rocblas_bfloat16PKPKS0_fEviT5_lT_liPT6_PT4_.private_seg_size, 0
	.set _ZL24rocblas_dot_kernel_magsqIiLb0ELi512ELi8ELb1E16rocblas_bfloat16PKPKS0_fEviT5_lT_liPT6_PT4_.uses_vcc, 1
	.set _ZL24rocblas_dot_kernel_magsqIiLb0ELi512ELi8ELb1E16rocblas_bfloat16PKPKS0_fEviT5_lT_liPT6_PT4_.uses_flat_scratch, 0
	.set _ZL24rocblas_dot_kernel_magsqIiLb0ELi512ELi8ELb1E16rocblas_bfloat16PKPKS0_fEviT5_lT_liPT6_PT4_.has_dyn_sized_stack, 0
	.set _ZL24rocblas_dot_kernel_magsqIiLb0ELi512ELi8ELb1E16rocblas_bfloat16PKPKS0_fEviT5_lT_liPT6_PT4_.has_recursion, 0
	.set _ZL24rocblas_dot_kernel_magsqIiLb0ELi512ELi8ELb1E16rocblas_bfloat16PKPKS0_fEviT5_lT_liPT6_PT4_.has_indirect_call, 0
	.section	.AMDGPU.csdata,"",@progbits
; Kernel info:
; codeLenInByte = 1048
; TotalNumSgprs: 30
; NumVgprs: 13
; ScratchSize: 0
; MemoryBound: 0
; FloatMode: 240
; IeeeMode: 1
; LDSByteSize: 128 bytes/workgroup (compile time only)
; SGPRBlocks: 0
; VGPRBlocks: 0
; NumSGPRsForWavesPerEU: 30
; NumVGPRsForWavesPerEU: 13
; NamedBarCnt: 0
; Occupancy: 16
; WaveLimiterHint : 0
; COMPUTE_PGM_RSRC2:SCRATCH_EN: 0
; COMPUTE_PGM_RSRC2:USER_SGPR: 2
; COMPUTE_PGM_RSRC2:TRAP_HANDLER: 0
; COMPUTE_PGM_RSRC2:TGID_X_EN: 1
; COMPUTE_PGM_RSRC2:TGID_Y_EN: 0
; COMPUTE_PGM_RSRC2:TGID_Z_EN: 1
; COMPUTE_PGM_RSRC2:TIDIG_COMP_CNT: 0
	.section	.text._ZL28rocblas_dot_batched_4_kernelIiLi32ELi4ELb1EffPKfEviT5_lT_lS2_lS3_liPT4_,"axG",@progbits,_ZL28rocblas_dot_batched_4_kernelIiLi32ELi4ELb1EffPKfEviT5_lT_lS2_lS3_liPT4_,comdat
	.globl	_ZL28rocblas_dot_batched_4_kernelIiLi32ELi4ELb1EffPKfEviT5_lT_lS2_lS3_liPT4_ ; -- Begin function _ZL28rocblas_dot_batched_4_kernelIiLi32ELi4ELb1EffPKfEviT5_lT_lS2_lS3_liPT4_
	.p2align	8
	.type	_ZL28rocblas_dot_batched_4_kernelIiLi32ELi4ELb1EffPKfEviT5_lT_lS2_lS3_liPT4_,@function
_ZL28rocblas_dot_batched_4_kernelIiLi32ELi4ELb1EffPKfEviT5_lT_lS2_lS3_liPT4_: ; @_ZL28rocblas_dot_batched_4_kernelIiLi32ELi4ELb1EffPKfEviT5_lT_lS2_lS3_liPT4_
; %bb.0:
	s_load_b32 s2, s[0:1], 0x48
	s_bfe_u32 s3, ttmp6, 0x4000c
	s_and_b32 s4, ttmp6, 15
	s_add_co_i32 s3, s3, 1
	v_bfe_u32 v1, v0, 10, 10
	s_mul_i32 s3, ttmp9, s3
	s_delay_alu instid0(SALU_CYCLE_1) | instskip(SKIP_1) | instid1(SALU_CYCLE_1)
	s_add_co_i32 s4, s4, s3
	s_getreg_b32 s3, hwreg(HW_REG_IB_STS2, 6, 4)
	s_cmp_eq_u32 s3, 0
	s_cselect_b32 s3, ttmp9, s4
	s_delay_alu instid0(SALU_CYCLE_1) | instskip(SKIP_1) | instid1(VALU_DEP_1)
	v_lshl_add_u32 v2, s3, 2, v1
	s_wait_kmcnt 0x0
	v_cmp_gt_u32_e32 vcc_lo, s2, v2
	s_and_saveexec_b32 s2, vcc_lo
	s_cbranch_execz .LBB212_7
; %bb.1:
	s_load_b32 s6, s[0:1], 0x0
	v_mov_b32_e32 v3, 0
	v_and_b32_e32 v0, 0x3ff, v0
	s_mov_b32 s7, exec_lo
	s_delay_alu instid0(VALU_DEP_2) | instskip(SKIP_1) | instid1(VALU_DEP_2)
	v_mov_b32_e32 v1, v3
	s_wait_kmcnt 0x0
	v_cmpx_gt_i32_e64 s6, v0
	s_cbranch_execz .LBB212_5
; %bb.2:
	s_clause 0x3
	s_load_b128 s[8:11], s[0:1], 0x20
	s_load_b64 s[2:3], s[0:1], 0x40
	s_load_b32 s4, s[0:1], 0x18
	s_load_b96 s[16:18], s[0:1], 0x30
	v_mov_b32_e32 v1, 0
	s_load_b128 s[12:15], s[0:1], 0x8
	s_wait_kmcnt 0x0
	v_mul_u64_e32 v[4:5], s[8:9], v[2:3]
	v_mul_u64_e32 v[6:7], s[2:3], v[2:3]
	s_ashr_i32 s5, s4, 31
	s_ashr_i32 s9, s18, 31
	v_mul_u64_e32 v[8:9], s[4:5], v[0:1]
	s_mov_b32 s8, s18
	s_lshl_b64 s[2:3], s[14:15], 2
	s_lshl_b64 s[14:15], s[16:17], 2
	s_add_nc_u64 s[2:3], s[12:13], s[2:3]
	s_add_nc_u64 s[10:11], s[10:11], s[14:15]
	s_delay_alu instid0(VALU_DEP_3) | instskip(NEXT) | instid1(VALU_DEP_3)
	v_lshlrev_b64_e32 v[4:5], 2, v[4:5]
	v_lshlrev_b64_e32 v[6:7], 2, v[6:7]
	s_delay_alu instid0(VALU_DEP_2) | instskip(SKIP_2) | instid1(VALU_DEP_3)
	v_lshl_add_u64 v[4:5], v[8:9], 2, v[4:5]
	v_mov_b32_e32 v8, v0
	v_mul_u64_e32 v[10:11], s[8:9], v[0:1]
	v_add_nc_u64_e32 v[4:5], s[2:3], v[4:5]
	s_lshl_b64 s[2:3], s[4:5], 7
	s_lshl_b64 s[4:5], s[8:9], 7
	s_mov_b32 s8, 0
	s_delay_alu instid0(VALU_DEP_2) | instskip(NEXT) | instid1(VALU_DEP_1)
	v_lshl_add_u64 v[6:7], v[10:11], 2, v[6:7]
	v_add_nc_u64_e32 v[6:7], s[10:11], v[6:7]
.LBB212_3:                              ; =>This Inner Loop Header: Depth=1
	global_load_b32 v9, v[4:5], off
	global_load_b32 v10, v[6:7], off
	v_add_nc_u32_e32 v8, 32, v8
	s_wait_xcnt 0x1
	v_add_nc_u64_e32 v[4:5], s[2:3], v[4:5]
	s_wait_xcnt 0x0
	v_add_nc_u64_e32 v[6:7], s[4:5], v[6:7]
	s_wait_loadcnt 0x0
	v_fmac_f32_e32 v1, v9, v10
	v_cmp_le_i32_e32 vcc_lo, s6, v8
	s_or_b32 s8, vcc_lo, s8
	s_delay_alu instid0(SALU_CYCLE_1)
	s_and_not1_b32 exec_lo, exec_lo, s8
	s_cbranch_execnz .LBB212_3
; %bb.4:
	s_or_b32 exec_lo, exec_lo, s8
.LBB212_5:
	s_delay_alu instid0(SALU_CYCLE_1) | instskip(SKIP_4) | instid1(VALU_DEP_1)
	s_or_b32 exec_lo, exec_lo, s7
	v_mbcnt_lo_u32_b32 v4, -1, 0
	s_load_b64 s[0:1], s[0:1], 0x50
	s_barrier_signal -1
	s_barrier_wait -1
	v_lshl_or_b32 v5, v4, 2, 64
	v_cmp_gt_u32_e32 vcc_lo, 24, v4
	ds_bpermute_b32 v5, v5, v1
	v_cndmask_b32_e64 v6, 0, 8, vcc_lo
	v_cmp_gt_u32_e32 vcc_lo, 28, v4
	s_delay_alu instid0(VALU_DEP_2)
	v_add_lshl_u32 v6, v6, v4, 2
	s_wait_dscnt 0x0
	v_add_f32_e32 v1, v1, v5
	ds_bpermute_b32 v5, v6, v1
	v_cndmask_b32_e64 v6, 0, 4, vcc_lo
	v_cmp_gt_u32_e32 vcc_lo, 30, v4
	s_delay_alu instid0(VALU_DEP_2)
	v_add_lshl_u32 v6, v6, v4, 2
	s_wait_dscnt 0x0
	v_add_f32_e32 v1, v1, v5
	ds_bpermute_b32 v5, v6, v1
	v_cndmask_b32_e64 v6, 0, 2, vcc_lo
	v_cmp_ne_u32_e32 vcc_lo, 31, v4
	s_delay_alu instid0(VALU_DEP_2) | instskip(SKIP_3) | instid1(VALU_DEP_2)
	v_add_lshl_u32 v6, v6, v4, 2
	v_add_co_ci_u32_e64 v4, null, 0, v4, vcc_lo
	v_cmp_eq_u32_e32 vcc_lo, 0, v0
	s_wait_dscnt 0x0
	v_dual_add_f32 v1, v1, v5 :: v_dual_lshlrev_b32 v4, 2, v4
	ds_bpermute_b32 v5, v6, v1
	s_wait_dscnt 0x0
	v_add_f32_e32 v1, v1, v5
	ds_bpermute_b32 v4, v4, v1
	s_and_b32 exec_lo, exec_lo, vcc_lo
	s_cbranch_execz .LBB212_7
; %bb.6:
	s_wait_kmcnt 0x0
	v_lshl_add_u64 v[2:3], v[2:3], 2, s[0:1]
	s_wait_dscnt 0x0
	v_add_f32_e32 v0, v1, v4
	global_store_b32 v[2:3], v0, off
.LBB212_7:
	s_endpgm
	.section	.rodata,"a",@progbits
	.p2align	6, 0x0
	.amdhsa_kernel _ZL28rocblas_dot_batched_4_kernelIiLi32ELi4ELb1EffPKfEviT5_lT_lS2_lS3_liPT4_
		.amdhsa_group_segment_fixed_size 0
		.amdhsa_private_segment_fixed_size 0
		.amdhsa_kernarg_size 88
		.amdhsa_user_sgpr_count 2
		.amdhsa_user_sgpr_dispatch_ptr 0
		.amdhsa_user_sgpr_queue_ptr 0
		.amdhsa_user_sgpr_kernarg_segment_ptr 1
		.amdhsa_user_sgpr_dispatch_id 0
		.amdhsa_user_sgpr_kernarg_preload_length 0
		.amdhsa_user_sgpr_kernarg_preload_offset 0
		.amdhsa_user_sgpr_private_segment_size 0
		.amdhsa_wavefront_size32 1
		.amdhsa_uses_dynamic_stack 0
		.amdhsa_enable_private_segment 0
		.amdhsa_system_sgpr_workgroup_id_x 1
		.amdhsa_system_sgpr_workgroup_id_y 0
		.amdhsa_system_sgpr_workgroup_id_z 0
		.amdhsa_system_sgpr_workgroup_info 0
		.amdhsa_system_vgpr_workitem_id 1
		.amdhsa_next_free_vgpr 12
		.amdhsa_next_free_sgpr 19
		.amdhsa_named_barrier_count 0
		.amdhsa_reserve_vcc 1
		.amdhsa_float_round_mode_32 0
		.amdhsa_float_round_mode_16_64 0
		.amdhsa_float_denorm_mode_32 3
		.amdhsa_float_denorm_mode_16_64 3
		.amdhsa_fp16_overflow 0
		.amdhsa_memory_ordered 1
		.amdhsa_forward_progress 1
		.amdhsa_inst_pref_size 5
		.amdhsa_round_robin_scheduling 0
		.amdhsa_exception_fp_ieee_invalid_op 0
		.amdhsa_exception_fp_denorm_src 0
		.amdhsa_exception_fp_ieee_div_zero 0
		.amdhsa_exception_fp_ieee_overflow 0
		.amdhsa_exception_fp_ieee_underflow 0
		.amdhsa_exception_fp_ieee_inexact 0
		.amdhsa_exception_int_div_zero 0
	.end_amdhsa_kernel
	.section	.text._ZL28rocblas_dot_batched_4_kernelIiLi32ELi4ELb1EffPKfEviT5_lT_lS2_lS3_liPT4_,"axG",@progbits,_ZL28rocblas_dot_batched_4_kernelIiLi32ELi4ELb1EffPKfEviT5_lT_lS2_lS3_liPT4_,comdat
.Lfunc_end212:
	.size	_ZL28rocblas_dot_batched_4_kernelIiLi32ELi4ELb1EffPKfEviT5_lT_lS2_lS3_liPT4_, .Lfunc_end212-_ZL28rocblas_dot_batched_4_kernelIiLi32ELi4ELb1EffPKfEviT5_lT_lS2_lS3_liPT4_
                                        ; -- End function
	.set _ZL28rocblas_dot_batched_4_kernelIiLi32ELi4ELb1EffPKfEviT5_lT_lS2_lS3_liPT4_.num_vgpr, 12
	.set _ZL28rocblas_dot_batched_4_kernelIiLi32ELi4ELb1EffPKfEviT5_lT_lS2_lS3_liPT4_.num_agpr, 0
	.set _ZL28rocblas_dot_batched_4_kernelIiLi32ELi4ELb1EffPKfEviT5_lT_lS2_lS3_liPT4_.numbered_sgpr, 19
	.set _ZL28rocblas_dot_batched_4_kernelIiLi32ELi4ELb1EffPKfEviT5_lT_lS2_lS3_liPT4_.num_named_barrier, 0
	.set _ZL28rocblas_dot_batched_4_kernelIiLi32ELi4ELb1EffPKfEviT5_lT_lS2_lS3_liPT4_.private_seg_size, 0
	.set _ZL28rocblas_dot_batched_4_kernelIiLi32ELi4ELb1EffPKfEviT5_lT_lS2_lS3_liPT4_.uses_vcc, 1
	.set _ZL28rocblas_dot_batched_4_kernelIiLi32ELi4ELb1EffPKfEviT5_lT_lS2_lS3_liPT4_.uses_flat_scratch, 0
	.set _ZL28rocblas_dot_batched_4_kernelIiLi32ELi4ELb1EffPKfEviT5_lT_lS2_lS3_liPT4_.has_dyn_sized_stack, 0
	.set _ZL28rocblas_dot_batched_4_kernelIiLi32ELi4ELb1EffPKfEviT5_lT_lS2_lS3_liPT4_.has_recursion, 0
	.set _ZL28rocblas_dot_batched_4_kernelIiLi32ELi4ELb1EffPKfEviT5_lT_lS2_lS3_liPT4_.has_indirect_call, 0
	.section	.AMDGPU.csdata,"",@progbits
; Kernel info:
; codeLenInByte = 612
; TotalNumSgprs: 21
; NumVgprs: 12
; ScratchSize: 0
; MemoryBound: 0
; FloatMode: 240
; IeeeMode: 1
; LDSByteSize: 0 bytes/workgroup (compile time only)
; SGPRBlocks: 0
; VGPRBlocks: 0
; NumSGPRsForWavesPerEU: 21
; NumVGPRsForWavesPerEU: 12
; NamedBarCnt: 0
; Occupancy: 16
; WaveLimiterHint : 0
; COMPUTE_PGM_RSRC2:SCRATCH_EN: 0
; COMPUTE_PGM_RSRC2:USER_SGPR: 2
; COMPUTE_PGM_RSRC2:TRAP_HANDLER: 0
; COMPUTE_PGM_RSRC2:TGID_X_EN: 1
; COMPUTE_PGM_RSRC2:TGID_Y_EN: 0
; COMPUTE_PGM_RSRC2:TGID_Z_EN: 0
; COMPUTE_PGM_RSRC2:TIDIG_COMP_CNT: 1
	.section	.text._ZL28rocblas_dot_batched_4_kernelIiLi64ELi4ELb1EffPKfEviT5_lT_lS2_lS3_liPT4_,"axG",@progbits,_ZL28rocblas_dot_batched_4_kernelIiLi64ELi4ELb1EffPKfEviT5_lT_lS2_lS3_liPT4_,comdat
	.globl	_ZL28rocblas_dot_batched_4_kernelIiLi64ELi4ELb1EffPKfEviT5_lT_lS2_lS3_liPT4_ ; -- Begin function _ZL28rocblas_dot_batched_4_kernelIiLi64ELi4ELb1EffPKfEviT5_lT_lS2_lS3_liPT4_
	.p2align	8
	.type	_ZL28rocblas_dot_batched_4_kernelIiLi64ELi4ELb1EffPKfEviT5_lT_lS2_lS3_liPT4_,@function
_ZL28rocblas_dot_batched_4_kernelIiLi64ELi4ELb1EffPKfEviT5_lT_lS2_lS3_liPT4_: ; @_ZL28rocblas_dot_batched_4_kernelIiLi64ELi4ELb1EffPKfEviT5_lT_lS2_lS3_liPT4_
; %bb.0:
	s_load_b32 s2, s[0:1], 0x48
	s_bfe_u32 s3, ttmp6, 0x4000c
	s_and_b32 s4, ttmp6, 15
	s_add_co_i32 s3, s3, 1
	v_bfe_u32 v1, v0, 10, 10
	s_mul_i32 s3, ttmp9, s3
	s_delay_alu instid0(SALU_CYCLE_1) | instskip(SKIP_1) | instid1(SALU_CYCLE_1)
	s_add_co_i32 s4, s4, s3
	s_getreg_b32 s3, hwreg(HW_REG_IB_STS2, 6, 4)
	s_cmp_eq_u32 s3, 0
	s_cselect_b32 s3, ttmp9, s4
	s_delay_alu instid0(SALU_CYCLE_1) | instskip(SKIP_1) | instid1(VALU_DEP_1)
	v_lshl_add_u32 v2, s3, 2, v1
	s_wait_kmcnt 0x0
	v_cmp_gt_u32_e32 vcc_lo, s2, v2
	s_and_saveexec_b32 s2, vcc_lo
	s_cbranch_execz .LBB213_7
; %bb.1:
	s_load_b32 s6, s[0:1], 0x0
	v_mov_b32_e32 v3, 0
	v_and_b32_e32 v0, 0x3ff, v0
	s_mov_b32 s7, exec_lo
	s_delay_alu instid0(VALU_DEP_2) | instskip(SKIP_1) | instid1(VALU_DEP_2)
	v_mov_b32_e32 v1, v3
	s_wait_kmcnt 0x0
	v_cmpx_gt_i32_e64 s6, v0
	s_cbranch_execz .LBB213_5
; %bb.2:
	s_clause 0x3
	s_load_b128 s[8:11], s[0:1], 0x20
	s_load_b64 s[2:3], s[0:1], 0x40
	s_load_b32 s4, s[0:1], 0x18
	s_load_b96 s[16:18], s[0:1], 0x30
	v_mov_b32_e32 v1, 0
	s_load_b128 s[12:15], s[0:1], 0x8
	s_wait_kmcnt 0x0
	v_mul_u64_e32 v[4:5], s[8:9], v[2:3]
	v_mul_u64_e32 v[6:7], s[2:3], v[2:3]
	s_ashr_i32 s5, s4, 31
	s_ashr_i32 s9, s18, 31
	v_mul_u64_e32 v[8:9], s[4:5], v[0:1]
	s_mov_b32 s8, s18
	s_lshl_b64 s[2:3], s[14:15], 2
	s_lshl_b64 s[14:15], s[16:17], 2
	s_add_nc_u64 s[2:3], s[12:13], s[2:3]
	s_add_nc_u64 s[10:11], s[10:11], s[14:15]
	s_delay_alu instid0(VALU_DEP_3) | instskip(NEXT) | instid1(VALU_DEP_3)
	v_lshlrev_b64_e32 v[4:5], 2, v[4:5]
	v_lshlrev_b64_e32 v[6:7], 2, v[6:7]
	s_delay_alu instid0(VALU_DEP_2) | instskip(SKIP_2) | instid1(VALU_DEP_3)
	v_lshl_add_u64 v[4:5], v[8:9], 2, v[4:5]
	v_mov_b32_e32 v8, v0
	v_mul_u64_e32 v[10:11], s[8:9], v[0:1]
	v_add_nc_u64_e32 v[4:5], s[2:3], v[4:5]
	s_lshl_b64 s[2:3], s[4:5], 8
	s_lshl_b64 s[4:5], s[8:9], 8
	s_mov_b32 s8, 0
	s_delay_alu instid0(VALU_DEP_2) | instskip(NEXT) | instid1(VALU_DEP_1)
	v_lshl_add_u64 v[6:7], v[10:11], 2, v[6:7]
	v_add_nc_u64_e32 v[6:7], s[10:11], v[6:7]
.LBB213_3:                              ; =>This Inner Loop Header: Depth=1
	global_load_b32 v9, v[4:5], off
	global_load_b32 v10, v[6:7], off
	v_add_nc_u32_e32 v8, 64, v8
	s_wait_xcnt 0x1
	v_add_nc_u64_e32 v[4:5], s[2:3], v[4:5]
	s_wait_xcnt 0x0
	v_add_nc_u64_e32 v[6:7], s[4:5], v[6:7]
	s_wait_loadcnt 0x0
	v_fmac_f32_e32 v1, v9, v10
	v_cmp_le_i32_e32 vcc_lo, s6, v8
	s_or_b32 s8, vcc_lo, s8
	s_delay_alu instid0(SALU_CYCLE_1)
	s_and_not1_b32 exec_lo, exec_lo, s8
	s_cbranch_execnz .LBB213_3
; %bb.4:
	s_or_b32 exec_lo, exec_lo, s8
.LBB213_5:
	s_delay_alu instid0(SALU_CYCLE_1) | instskip(SKIP_4) | instid1(VALU_DEP_1)
	s_or_b32 exec_lo, exec_lo, s7
	v_mbcnt_lo_u32_b32 v4, -1, 0
	s_load_b64 s[0:1], s[0:1], 0x50
	s_barrier_signal -1
	s_barrier_wait -1
	v_lshlrev_b32_e32 v5, 2, v4
	v_cmp_gt_u32_e32 vcc_lo, 24, v4
	ds_bpermute_b32 v6, v5, v1
	s_wait_dscnt 0x0
	v_dual_add_f32 v1, v1, v6 :: v_dual_bitop2_b32 v5, 64, v5 bitop3:0x54
	v_cndmask_b32_e64 v6, 0, 8, vcc_lo
	v_cmp_gt_u32_e32 vcc_lo, 28, v4
	ds_bpermute_b32 v5, v5, v1
	v_add_lshl_u32 v6, v6, v4, 2
	s_wait_dscnt 0x0
	v_add_f32_e32 v1, v1, v5
	ds_bpermute_b32 v5, v6, v1
	v_cndmask_b32_e64 v6, 0, 4, vcc_lo
	v_cmp_gt_u32_e32 vcc_lo, 30, v4
	s_delay_alu instid0(VALU_DEP_2)
	v_add_lshl_u32 v6, v6, v4, 2
	s_wait_dscnt 0x0
	v_add_f32_e32 v1, v1, v5
	ds_bpermute_b32 v5, v6, v1
	v_cndmask_b32_e64 v6, 0, 2, vcc_lo
	v_cmp_ne_u32_e32 vcc_lo, 31, v4
	s_delay_alu instid0(VALU_DEP_2) | instskip(SKIP_3) | instid1(VALU_DEP_2)
	v_add_lshl_u32 v6, v6, v4, 2
	v_add_co_ci_u32_e64 v4, null, 0, v4, vcc_lo
	v_cmp_eq_u32_e32 vcc_lo, 0, v0
	s_wait_dscnt 0x0
	v_dual_add_f32 v1, v1, v5 :: v_dual_lshlrev_b32 v4, 2, v4
	ds_bpermute_b32 v5, v6, v1
	s_wait_dscnt 0x0
	v_add_f32_e32 v1, v1, v5
	ds_bpermute_b32 v4, v4, v1
	s_and_b32 exec_lo, exec_lo, vcc_lo
	s_cbranch_execz .LBB213_7
; %bb.6:
	s_wait_kmcnt 0x0
	v_lshl_add_u64 v[2:3], v[2:3], 2, s[0:1]
	s_wait_dscnt 0x0
	v_add_f32_e32 v0, v1, v4
	global_store_b32 v[2:3], v0, off
.LBB213_7:
	s_endpgm
	.section	.rodata,"a",@progbits
	.p2align	6, 0x0
	.amdhsa_kernel _ZL28rocblas_dot_batched_4_kernelIiLi64ELi4ELb1EffPKfEviT5_lT_lS2_lS3_liPT4_
		.amdhsa_group_segment_fixed_size 0
		.amdhsa_private_segment_fixed_size 0
		.amdhsa_kernarg_size 88
		.amdhsa_user_sgpr_count 2
		.amdhsa_user_sgpr_dispatch_ptr 0
		.amdhsa_user_sgpr_queue_ptr 0
		.amdhsa_user_sgpr_kernarg_segment_ptr 1
		.amdhsa_user_sgpr_dispatch_id 0
		.amdhsa_user_sgpr_kernarg_preload_length 0
		.amdhsa_user_sgpr_kernarg_preload_offset 0
		.amdhsa_user_sgpr_private_segment_size 0
		.amdhsa_wavefront_size32 1
		.amdhsa_uses_dynamic_stack 0
		.amdhsa_enable_private_segment 0
		.amdhsa_system_sgpr_workgroup_id_x 1
		.amdhsa_system_sgpr_workgroup_id_y 0
		.amdhsa_system_sgpr_workgroup_id_z 0
		.amdhsa_system_sgpr_workgroup_info 0
		.amdhsa_system_vgpr_workitem_id 1
		.amdhsa_next_free_vgpr 12
		.amdhsa_next_free_sgpr 19
		.amdhsa_named_barrier_count 0
		.amdhsa_reserve_vcc 1
		.amdhsa_float_round_mode_32 0
		.amdhsa_float_round_mode_16_64 0
		.amdhsa_float_denorm_mode_32 3
		.amdhsa_float_denorm_mode_16_64 3
		.amdhsa_fp16_overflow 0
		.amdhsa_memory_ordered 1
		.amdhsa_forward_progress 1
		.amdhsa_inst_pref_size 5
		.amdhsa_round_robin_scheduling 0
		.amdhsa_exception_fp_ieee_invalid_op 0
		.amdhsa_exception_fp_denorm_src 0
		.amdhsa_exception_fp_ieee_div_zero 0
		.amdhsa_exception_fp_ieee_overflow 0
		.amdhsa_exception_fp_ieee_underflow 0
		.amdhsa_exception_fp_ieee_inexact 0
		.amdhsa_exception_int_div_zero 0
	.end_amdhsa_kernel
	.section	.text._ZL28rocblas_dot_batched_4_kernelIiLi64ELi4ELb1EffPKfEviT5_lT_lS2_lS3_liPT4_,"axG",@progbits,_ZL28rocblas_dot_batched_4_kernelIiLi64ELi4ELb1EffPKfEviT5_lT_lS2_lS3_liPT4_,comdat
.Lfunc_end213:
	.size	_ZL28rocblas_dot_batched_4_kernelIiLi64ELi4ELb1EffPKfEviT5_lT_lS2_lS3_liPT4_, .Lfunc_end213-_ZL28rocblas_dot_batched_4_kernelIiLi64ELi4ELb1EffPKfEviT5_lT_lS2_lS3_liPT4_
                                        ; -- End function
	.set _ZL28rocblas_dot_batched_4_kernelIiLi64ELi4ELb1EffPKfEviT5_lT_lS2_lS3_liPT4_.num_vgpr, 12
	.set _ZL28rocblas_dot_batched_4_kernelIiLi64ELi4ELb1EffPKfEviT5_lT_lS2_lS3_liPT4_.num_agpr, 0
	.set _ZL28rocblas_dot_batched_4_kernelIiLi64ELi4ELb1EffPKfEviT5_lT_lS2_lS3_liPT4_.numbered_sgpr, 19
	.set _ZL28rocblas_dot_batched_4_kernelIiLi64ELi4ELb1EffPKfEviT5_lT_lS2_lS3_liPT4_.num_named_barrier, 0
	.set _ZL28rocblas_dot_batched_4_kernelIiLi64ELi4ELb1EffPKfEviT5_lT_lS2_lS3_liPT4_.private_seg_size, 0
	.set _ZL28rocblas_dot_batched_4_kernelIiLi64ELi4ELb1EffPKfEviT5_lT_lS2_lS3_liPT4_.uses_vcc, 1
	.set _ZL28rocblas_dot_batched_4_kernelIiLi64ELi4ELb1EffPKfEviT5_lT_lS2_lS3_liPT4_.uses_flat_scratch, 0
	.set _ZL28rocblas_dot_batched_4_kernelIiLi64ELi4ELb1EffPKfEviT5_lT_lS2_lS3_liPT4_.has_dyn_sized_stack, 0
	.set _ZL28rocblas_dot_batched_4_kernelIiLi64ELi4ELb1EffPKfEviT5_lT_lS2_lS3_liPT4_.has_recursion, 0
	.set _ZL28rocblas_dot_batched_4_kernelIiLi64ELi4ELb1EffPKfEviT5_lT_lS2_lS3_liPT4_.has_indirect_call, 0
	.section	.AMDGPU.csdata,"",@progbits
; Kernel info:
; codeLenInByte = 628
; TotalNumSgprs: 21
; NumVgprs: 12
; ScratchSize: 0
; MemoryBound: 0
; FloatMode: 240
; IeeeMode: 1
; LDSByteSize: 0 bytes/workgroup (compile time only)
; SGPRBlocks: 0
; VGPRBlocks: 0
; NumSGPRsForWavesPerEU: 21
; NumVGPRsForWavesPerEU: 12
; NamedBarCnt: 0
; Occupancy: 16
; WaveLimiterHint : 0
; COMPUTE_PGM_RSRC2:SCRATCH_EN: 0
; COMPUTE_PGM_RSRC2:USER_SGPR: 2
; COMPUTE_PGM_RSRC2:TRAP_HANDLER: 0
; COMPUTE_PGM_RSRC2:TGID_X_EN: 1
; COMPUTE_PGM_RSRC2:TGID_Y_EN: 0
; COMPUTE_PGM_RSRC2:TGID_Z_EN: 0
; COMPUTE_PGM_RSRC2:TIDIG_COMP_CNT: 1
	.section	.text._ZL26rocblas_dot_kernel_inc1by2ILb1ELi1024ELi32ELb1EfPKffEviT4_llS2_lliPT5_PT3_,"axG",@progbits,_ZL26rocblas_dot_kernel_inc1by2ILb1ELi1024ELi32ELb1EfPKffEviT4_llS2_lliPT5_PT3_,comdat
	.globl	_ZL26rocblas_dot_kernel_inc1by2ILb1ELi1024ELi32ELb1EfPKffEviT4_llS2_lliPT5_PT3_ ; -- Begin function _ZL26rocblas_dot_kernel_inc1by2ILb1ELi1024ELi32ELb1EfPKffEviT4_llS2_lliPT5_PT3_
	.p2align	8
	.type	_ZL26rocblas_dot_kernel_inc1by2ILb1ELi1024ELi32ELb1EfPKffEviT4_llS2_lliPT5_PT3_,@function
_ZL26rocblas_dot_kernel_inc1by2ILb1ELi1024ELi32ELb1EfPKffEviT4_llS2_lliPT5_PT3_: ; @_ZL26rocblas_dot_kernel_inc1by2ILb1ELi1024ELi32ELb1EfPKffEviT4_llS2_lliPT5_PT3_
; %bb.0:
	s_load_b32 s3, s[0:1], 0x38
	s_bfe_u32 s2, ttmp6, 0x40014
	s_lshr_b32 s4, ttmp7, 16
	s_add_co_i32 s2, s2, 1
	s_bfe_u32 s5, ttmp6, 0x40008
	s_mul_i32 s2, s4, s2
	s_getreg_b32 s6, hwreg(HW_REG_IB_STS2, 6, 4)
	s_add_co_i32 s5, s5, s2
	s_cmp_eq_u32 s6, 0
	s_mov_b32 s13, 0
	s_cselect_b32 s12, s4, s5
	s_wait_kmcnt 0x0
	s_cmp_ge_u32 s12, s3
	s_cbranch_scc1 .LBB214_19
; %bb.1:
	s_clause 0x4
	s_load_b32 s20, s[0:1], 0x0
	s_load_b128 s[4:7], s[0:1], 0x10
	s_load_b128 s[8:11], s[0:1], 0x28
	s_load_b64 s[16:17], s[0:1], 0x8
	s_load_b64 s[18:19], s[0:1], 0x20
	v_mbcnt_lo_u32_b32 v2, -1, 0
	s_load_b64 s[14:15], s[0:1], 0x48
	v_dual_mov_b32 v13, 0 :: v_dual_bitop2_b32 v1, 31, v0 bitop3:0x40
	v_cmp_gt_u32_e32 vcc_lo, 32, v0
	s_wait_xcnt 0x0
	v_cmp_gt_u32_e64 s0, 24, v2
	v_lshl_or_b32 v7, v2, 2, 64
	s_delay_alu instid0(VALU_DEP_2) | instskip(SKIP_1) | instid1(VALU_DEP_2)
	v_cndmask_b32_e64 v3, 0, 8, s0
	v_cmp_gt_u32_e64 s0, 28, v2
	v_add_lshl_u32 v8, v3, v2, 2
	s_delay_alu instid0(VALU_DEP_2)
	v_cndmask_b32_e64 v4, 0, 4, s0
	s_wait_kmcnt 0x0
	s_lshl_b64 s[0:1], s[4:5], 2
	v_lshrrev_b32_e32 v3, 3, v0
	s_add_nc_u64 s[4:5], s[16:17], s[0:1]
	v_cmp_gt_u32_e64 s0, 30, v2
	s_ashr_i32 s21, s20, 31
	s_lshl_b64 s[8:9], s[8:9], 2
	s_add_co_i32 s22, s20, -1
	v_add_lshl_u32 v9, v4, v2, 2
	v_cndmask_b32_e64 v5, 0, 2, s0
	v_cmp_ne_u32_e64 s0, 31, v2
	v_and_b32_e32 v12, 0x7c, v3
	v_cmp_eq_u32_e64 s1, 0, v0
	s_bitcmp1_b32 s20, 0
	v_add_lshl_u32 v10, v5, v2, 2
	v_add_co_ci_u32_e64 v11, null, 0, v2, s0
	v_lshlrev_b32_e32 v6, 2, v1
	v_cmp_eq_u32_e64 s0, 0, v1
	s_add_nc_u64 s[8:9], s[18:19], s[8:9]
	v_lshlrev_b32_e32 v11, 2, v11
	s_cselect_b32 s23, -1, 0
	s_lshl_b64 s[16:17], s[10:11], 2
	s_lshl_b64 s[18:19], s[6:7], 2
	;; [unrolled: 1-line block ×3, first 2 shown]
	s_branch .LBB214_3
.LBB214_2:                              ;   in Loop: Header=BB214_3 Depth=1
	s_wait_xcnt 0x0
	s_or_b32 exec_lo, exec_lo, s2
	s_add_co_i32 s12, s12, 0x10000
	s_delay_alu instid0(SALU_CYCLE_1)
	s_cmp_lt_u32 s12, s3
	s_cbranch_scc0 .LBB214_19
.LBB214_3:                              ; =>This Loop Header: Depth=1
                                        ;     Child Loop BB214_5 Depth 2
	s_wait_dscnt 0x0
	v_dual_mov_b32 v1, 0 :: v_dual_lshlrev_b32 v0, 1, v0
	s_mov_b32 s24, exec_lo
	s_delay_alu instid0(VALU_DEP_1)
	v_cmpx_gt_i32_e64 s22, v0
	s_cbranch_execz .LBB214_7
; %bb.4:                                ;   in Loop: Header=BB214_3 Depth=1
	v_ashrrev_i32_e32 v1, 31, v0
	s_mul_u64 s[26:27], s[16:17], s[12:13]
	s_mul_u64 s[28:29], s[18:19], s[12:13]
	s_add_nc_u64 s[26:27], s[8:9], s[26:27]
	s_add_nc_u64 s[28:29], s[4:5], s[28:29]
	v_lshlrev_b64_e32 v[4:5], 2, v[0:1]
	v_mov_b32_e32 v1, 0
	s_mov_b32 s25, 0
	s_mov_b32 s2, 0
	s_delay_alu instid0(VALU_DEP_2)
	v_add_nc_u64_e32 v[2:3], s[26:27], v[4:5]
	v_add_nc_u64_e32 v[4:5], s[28:29], v[4:5]
.LBB214_5:                              ;   Parent Loop BB214_3 Depth=1
                                        ; =>  This Inner Loop Header: Depth=2
	global_load_b64 v[14:15], v[2:3], off
	global_load_b64 v[16:17], v[4:5], off
	s_add_co_i32 s26, s2, 1
	s_cmp_gt_u32 s2, 30
	s_wait_xcnt 0x1
	v_add_nc_u64_e32 v[2:3], 0x2000, v[2:3]
	s_cselect_b32 s27, -1, 0
	s_wait_xcnt 0x0
	v_add_nc_u64_e32 v[4:5], 0x2000, v[4:5]
	s_wait_loadcnt 0x0
	v_pk_mul_f32 v[14:15], v[14:15], v[16:17]
	s_delay_alu instid0(VALU_DEP_1) | instskip(NEXT) | instid1(VALU_DEP_1)
	v_dual_add_f32 v1, v1, v14 :: v_dual_add_nc_u32 v0, 0x800, v0
	v_cmp_le_i32_e64 s2, s22, v0
	s_delay_alu instid0(VALU_DEP_2) | instskip(SKIP_1) | instid1(SALU_CYCLE_1)
	v_add_f32_e32 v1, v1, v15
	s_or_b32 s2, s27, s2
	s_and_b32 s2, exec_lo, s2
	s_delay_alu instid0(SALU_CYCLE_1)
	s_or_b32 s25, s2, s25
	s_mov_b32 s2, s26
	s_and_not1_b32 exec_lo, exec_lo, s25
	s_cbranch_execnz .LBB214_5
; %bb.6:                                ;   in Loop: Header=BB214_3 Depth=1
	s_or_b32 exec_lo, exec_lo, s25
.LBB214_7:                              ;   in Loop: Header=BB214_3 Depth=1
	s_delay_alu instid0(SALU_CYCLE_1) | instskip(SKIP_2) | instid1(SALU_CYCLE_1)
	s_or_b32 exec_lo, exec_lo, s24
	v_cmp_eq_u32_e64 s2, s22, v0
	s_and_b32 s24, s23, s2
	s_and_saveexec_b32 s2, s24
	s_cbranch_execz .LBB214_9
; %bb.8:                                ;   in Loop: Header=BB214_3 Depth=1
	s_mul_u64 s[24:25], s[10:11], s[12:13]
	s_mul_u64 s[26:27], s[6:7], s[12:13]
	s_lshl_b64 s[24:25], s[24:25], 2
	s_lshl_b64 s[26:27], s[26:27], 2
	s_add_nc_u64 s[24:25], s[8:9], s[24:25]
	s_add_nc_u64 s[26:27], s[4:5], s[26:27]
	;; [unrolled: 1-line block ×4, first 2 shown]
	s_add_nc_u64 s[24:25], s[24:25], -4
	s_add_nc_u64 s[26:27], s[26:27], -4
	s_load_b32 s28, s[24:25], 0x0
	s_load_b32 s29, s[26:27], 0x0
	s_wait_kmcnt 0x0
	v_fmac_f32_e64 v1, s28, s29
.LBB214_9:                              ;   in Loop: Header=BB214_3 Depth=1
	s_or_b32 exec_lo, exec_lo, s2
	s_and_saveexec_b32 s2, vcc_lo
; %bb.10:                               ;   in Loop: Header=BB214_3 Depth=1
	ds_store_b32 v6, v13
; %bb.11:                               ;   in Loop: Header=BB214_3 Depth=1
	s_or_b32 exec_lo, exec_lo, s2
	ds_bpermute_b32 v2, v7, v1
	s_wait_dscnt 0x0
	s_barrier_signal -1
	s_barrier_wait -1
	v_add_f32_e32 v1, v1, v2
	ds_bpermute_b32 v2, v8, v1
	s_wait_dscnt 0x0
	v_add_f32_e32 v1, v1, v2
	ds_bpermute_b32 v2, v9, v1
	s_wait_dscnt 0x0
	;; [unrolled: 3-line block ×3, first 2 shown]
	v_add_f32_e32 v1, v1, v2
	ds_bpermute_b32 v2, v11, v1
	s_and_saveexec_b32 s2, s0
	s_cbranch_execz .LBB214_13
; %bb.12:                               ;   in Loop: Header=BB214_3 Depth=1
	s_wait_dscnt 0x0
	v_add_f32_e32 v1, v1, v2
	ds_store_b32 v12, v1
.LBB214_13:                             ;   in Loop: Header=BB214_3 Depth=1
	s_or_b32 exec_lo, exec_lo, s2
	v_mov_b32_e32 v1, 0
	s_wait_dscnt 0x0
	s_barrier_signal -1
	s_barrier_wait -1
	s_and_saveexec_b32 s2, vcc_lo
	s_cbranch_execnz .LBB214_16
; %bb.14:                               ;   in Loop: Header=BB214_3 Depth=1
	s_or_b32 exec_lo, exec_lo, s2
	s_and_saveexec_b32 s2, vcc_lo
	s_cbranch_execnz .LBB214_17
.LBB214_15:                             ;   in Loop: Header=BB214_3 Depth=1
	s_or_b32 exec_lo, exec_lo, s2
	s_and_saveexec_b32 s2, s1
	s_cbranch_execz .LBB214_2
	s_branch .LBB214_18
.LBB214_16:                             ;   in Loop: Header=BB214_3 Depth=1
	ds_load_b32 v1, v6
	s_or_b32 exec_lo, exec_lo, s2
	s_and_saveexec_b32 s2, vcc_lo
	s_cbranch_execz .LBB214_15
.LBB214_17:                             ;   in Loop: Header=BB214_3 Depth=1
	s_wait_dscnt 0x0
	ds_bpermute_b32 v2, v7, v1
	s_wait_dscnt 0x0
	v_add_f32_e32 v1, v1, v2
	ds_bpermute_b32 v2, v8, v1
	s_wait_dscnt 0x0
	v_add_f32_e32 v1, v1, v2
	ds_bpermute_b32 v2, v9, v1
	s_wait_dscnt 0x0
	v_add_f32_e32 v1, v1, v2
	ds_bpermute_b32 v2, v10, v1
	s_wait_dscnt 0x0
	v_add_f32_e32 v1, v1, v2
	ds_bpermute_b32 v2, v11, v1
	s_wait_dscnt 0x0
	v_add_f32_e32 v1, v1, v2
	s_or_b32 exec_lo, exec_lo, s2
	s_and_saveexec_b32 s2, s1
	s_cbranch_execz .LBB214_2
.LBB214_18:                             ;   in Loop: Header=BB214_3 Depth=1
	s_wait_xcnt 0x0
	s_lshl_b64 s[24:25], s[12:13], 2
	s_delay_alu instid0(SALU_CYCLE_1)
	s_add_nc_u64 s[24:25], s[14:15], s[24:25]
	s_wait_dscnt 0x0
	global_store_b32 v13, v1, s[24:25]
	s_branch .LBB214_2
.LBB214_19:
	s_endpgm
	.section	.rodata,"a",@progbits
	.p2align	6, 0x0
	.amdhsa_kernel _ZL26rocblas_dot_kernel_inc1by2ILb1ELi1024ELi32ELb1EfPKffEviT4_llS2_lliPT5_PT3_
		.amdhsa_group_segment_fixed_size 128
		.amdhsa_private_segment_fixed_size 0
		.amdhsa_kernarg_size 80
		.amdhsa_user_sgpr_count 2
		.amdhsa_user_sgpr_dispatch_ptr 0
		.amdhsa_user_sgpr_queue_ptr 0
		.amdhsa_user_sgpr_kernarg_segment_ptr 1
		.amdhsa_user_sgpr_dispatch_id 0
		.amdhsa_user_sgpr_kernarg_preload_length 0
		.amdhsa_user_sgpr_kernarg_preload_offset 0
		.amdhsa_user_sgpr_private_segment_size 0
		.amdhsa_wavefront_size32 1
		.amdhsa_uses_dynamic_stack 0
		.amdhsa_enable_private_segment 0
		.amdhsa_system_sgpr_workgroup_id_x 1
		.amdhsa_system_sgpr_workgroup_id_y 0
		.amdhsa_system_sgpr_workgroup_id_z 1
		.amdhsa_system_sgpr_workgroup_info 0
		.amdhsa_system_vgpr_workitem_id 0
		.amdhsa_next_free_vgpr 18
		.amdhsa_next_free_sgpr 30
		.amdhsa_named_barrier_count 0
		.amdhsa_reserve_vcc 1
		.amdhsa_float_round_mode_32 0
		.amdhsa_float_round_mode_16_64 0
		.amdhsa_float_denorm_mode_32 3
		.amdhsa_float_denorm_mode_16_64 3
		.amdhsa_fp16_overflow 0
		.amdhsa_memory_ordered 1
		.amdhsa_forward_progress 1
		.amdhsa_inst_pref_size 8
		.amdhsa_round_robin_scheduling 0
		.amdhsa_exception_fp_ieee_invalid_op 0
		.amdhsa_exception_fp_denorm_src 0
		.amdhsa_exception_fp_ieee_div_zero 0
		.amdhsa_exception_fp_ieee_overflow 0
		.amdhsa_exception_fp_ieee_underflow 0
		.amdhsa_exception_fp_ieee_inexact 0
		.amdhsa_exception_int_div_zero 0
	.end_amdhsa_kernel
	.section	.text._ZL26rocblas_dot_kernel_inc1by2ILb1ELi1024ELi32ELb1EfPKffEviT4_llS2_lliPT5_PT3_,"axG",@progbits,_ZL26rocblas_dot_kernel_inc1by2ILb1ELi1024ELi32ELb1EfPKffEviT4_llS2_lliPT5_PT3_,comdat
.Lfunc_end214:
	.size	_ZL26rocblas_dot_kernel_inc1by2ILb1ELi1024ELi32ELb1EfPKffEviT4_llS2_lliPT5_PT3_, .Lfunc_end214-_ZL26rocblas_dot_kernel_inc1by2ILb1ELi1024ELi32ELb1EfPKffEviT4_llS2_lliPT5_PT3_
                                        ; -- End function
	.set _ZL26rocblas_dot_kernel_inc1by2ILb1ELi1024ELi32ELb1EfPKffEviT4_llS2_lliPT5_PT3_.num_vgpr, 18
	.set _ZL26rocblas_dot_kernel_inc1by2ILb1ELi1024ELi32ELb1EfPKffEviT4_llS2_lliPT5_PT3_.num_agpr, 0
	.set _ZL26rocblas_dot_kernel_inc1by2ILb1ELi1024ELi32ELb1EfPKffEviT4_llS2_lliPT5_PT3_.numbered_sgpr, 30
	.set _ZL26rocblas_dot_kernel_inc1by2ILb1ELi1024ELi32ELb1EfPKffEviT4_llS2_lliPT5_PT3_.num_named_barrier, 0
	.set _ZL26rocblas_dot_kernel_inc1by2ILb1ELi1024ELi32ELb1EfPKffEviT4_llS2_lliPT5_PT3_.private_seg_size, 0
	.set _ZL26rocblas_dot_kernel_inc1by2ILb1ELi1024ELi32ELb1EfPKffEviT4_llS2_lliPT5_PT3_.uses_vcc, 1
	.set _ZL26rocblas_dot_kernel_inc1by2ILb1ELi1024ELi32ELb1EfPKffEviT4_llS2_lliPT5_PT3_.uses_flat_scratch, 0
	.set _ZL26rocblas_dot_kernel_inc1by2ILb1ELi1024ELi32ELb1EfPKffEviT4_llS2_lliPT5_PT3_.has_dyn_sized_stack, 0
	.set _ZL26rocblas_dot_kernel_inc1by2ILb1ELi1024ELi32ELb1EfPKffEviT4_llS2_lliPT5_PT3_.has_recursion, 0
	.set _ZL26rocblas_dot_kernel_inc1by2ILb1ELi1024ELi32ELb1EfPKffEviT4_llS2_lliPT5_PT3_.has_indirect_call, 0
	.section	.AMDGPU.csdata,"",@progbits
; Kernel info:
; codeLenInByte = 1016
; TotalNumSgprs: 32
; NumVgprs: 18
; ScratchSize: 0
; MemoryBound: 0
; FloatMode: 240
; IeeeMode: 1
; LDSByteSize: 128 bytes/workgroup (compile time only)
; SGPRBlocks: 0
; VGPRBlocks: 1
; NumSGPRsForWavesPerEU: 32
; NumVGPRsForWavesPerEU: 18
; NamedBarCnt: 0
; Occupancy: 16
; WaveLimiterHint : 0
; COMPUTE_PGM_RSRC2:SCRATCH_EN: 0
; COMPUTE_PGM_RSRC2:USER_SGPR: 2
; COMPUTE_PGM_RSRC2:TRAP_HANDLER: 0
; COMPUTE_PGM_RSRC2:TGID_X_EN: 1
; COMPUTE_PGM_RSRC2:TGID_Y_EN: 0
; COMPUTE_PGM_RSRC2:TGID_Z_EN: 1
; COMPUTE_PGM_RSRC2:TIDIG_COMP_CNT: 0
	.section	.text._ZL18rocblas_dot_kernelIiLb1ELi1024ELi32ELb1EfPKffEviT5_lT_lS2_lS3_liPT6_PT4_,"axG",@progbits,_ZL18rocblas_dot_kernelIiLb1ELi1024ELi32ELb1EfPKffEviT5_lT_lS2_lS3_liPT6_PT4_,comdat
	.globl	_ZL18rocblas_dot_kernelIiLb1ELi1024ELi32ELb1EfPKffEviT5_lT_lS2_lS3_liPT6_PT4_ ; -- Begin function _ZL18rocblas_dot_kernelIiLb1ELi1024ELi32ELb1EfPKffEviT5_lT_lS2_lS3_liPT6_PT4_
	.p2align	8
	.type	_ZL18rocblas_dot_kernelIiLb1ELi1024ELi32ELb1EfPKffEviT5_lT_lS2_lS3_liPT6_PT4_,@function
_ZL18rocblas_dot_kernelIiLb1ELi1024ELi32ELb1EfPKffEviT5_lT_lS2_lS3_liPT6_PT4_: ; @_ZL18rocblas_dot_kernelIiLb1ELi1024ELi32ELb1EfPKffEviT5_lT_lS2_lS3_liPT6_PT4_
; %bb.0:
	s_load_b32 s3, s[0:1], 0x48
	s_bfe_u32 s2, ttmp6, 0x40014
	s_lshr_b32 s4, ttmp7, 16
	s_add_co_i32 s2, s2, 1
	s_bfe_u32 s5, ttmp6, 0x40008
	s_mul_i32 s2, s4, s2
	s_getreg_b32 s6, hwreg(HW_REG_IB_STS2, 6, 4)
	s_add_co_i32 s5, s5, s2
	s_cmp_eq_u32 s6, 0
	s_mov_b32 s17, 0
	s_cselect_b32 s16, s4, s5
	s_wait_kmcnt 0x0
	s_cmp_ge_u32 s16, s3
	s_cbranch_scc1 .LBB215_17
; %bb.1:
	v_mbcnt_lo_u32_b32 v3, -1, 0
	s_clause 0x6
	s_load_b32 s24, s[0:1], 0x18
	s_load_b96 s[12:14], s[0:1], 0x30
	s_load_b96 s[8:10], s[0:1], 0x58
	s_load_b128 s[4:7], s[0:1], 0x20
	s_load_b128 s[20:23], s[0:1], 0x8
	s_load_b32 s26, s[0:1], 0x0
	s_load_b64 s[28:29], s[0:1], 0x40
	v_and_b32_e32 v2, 31, v0
	s_wait_xcnt 0x0
	v_cmp_eq_u32_e64 s1, 0, v0
	v_cmp_gt_u32_e64 s0, 24, v3
	v_lshl_or_b32 v6, v3, 2, 64
	v_cmp_gt_u32_e32 vcc_lo, 32, v0
	v_mov_b32_e32 v12, 0
	s_delay_alu instid0(VALU_DEP_4) | instskip(SKIP_1) | instid1(VALU_DEP_2)
	v_cndmask_b32_e64 v4, 0, 8, s0
	v_cmp_gt_u32_e64 s0, 28, v3
	v_add_lshl_u32 v7, v4, v3, 2
	s_delay_alu instid0(VALU_DEP_2)
	v_cndmask_b32_e64 v5, 0, 4, s0
	v_cmp_gt_u32_e64 s0, 30, v3
	v_lshrrev_b32_e32 v4, 3, v0
	s_wait_kmcnt 0x0
	s_ashr_i32 s25, s24, 31
	s_lshl_b32 s10, s10, 10
	s_ashr_i32 s31, s14, 31
	v_cndmask_b32_e64 v9, 0, 2, s0
	v_cmp_ne_u32_e64 s0, 31, v3
	s_mov_b32 s30, s14
	s_lshl_b64 s[14:15], s[22:23], 2
	s_ashr_i32 s11, s10, 31
	v_lshlrev_b32_e32 v1, 2, v2
	v_add_co_ci_u32_e64 v10, null, 0, v3, s0
	v_add_lshl_u32 v8, v5, v3, 2
	v_add_lshl_u32 v9, v9, v3, 2
	v_cmp_eq_u32_e64 s0, 0, v2
	s_delay_alu instid0(VALU_DEP_4)
	v_lshlrev_b32_e32 v10, 2, v10
	v_and_b32_e32 v11, 0x7c, v4
	s_add_nc_u64 s[14:15], s[20:21], s[14:15]
	s_lshl_b64 s[18:19], s[24:25], 2
	s_mul_u64 s[20:21], s[24:25], s[10:11]
	s_lshl_b64 s[22:23], s[12:13], 2
	s_mul_u64 s[24:25], s[30:31], s[10:11]
	s_lshl_b64 s[4:5], s[4:5], 2
	s_lshl_b64 s[12:13], s[20:21], 2
	s_add_nc_u64 s[6:7], s[6:7], s[22:23]
	s_lshl_b64 s[20:21], s[30:31], 2
	s_lshl_b64 s[22:23], s[28:29], 2
	s_lshl_b64 s[24:25], s[24:25], 2
	s_branch .LBB215_3
.LBB215_2:                              ;   in Loop: Header=BB215_3 Depth=1
	s_wait_xcnt 0x0
	s_or_b32 exec_lo, exec_lo, s2
	s_add_co_i32 s16, s16, 0x10000
	s_delay_alu instid0(SALU_CYCLE_1)
	s_cmp_lt_u32 s16, s3
	s_cbranch_scc0 .LBB215_17
.LBB215_3:                              ; =>This Loop Header: Depth=1
                                        ;     Child Loop BB215_5 Depth 2
	v_mov_b32_e32 v13, 0
	s_mov_b32 s11, exec_lo
	v_cmpx_gt_i32_e64 s26, v0
	s_cbranch_execz .LBB215_7
; %bb.4:                                ;   in Loop: Header=BB215_3 Depth=1
	s_mul_u64 s[28:29], s[4:5], s[16:17]
	s_mul_u64 s[30:31], s[22:23], s[16:17]
	s_add_nc_u64 s[28:29], s[14:15], s[28:29]
	s_add_nc_u64 s[30:31], s[6:7], s[30:31]
	s_wait_dscnt 0x0
	v_mad_nc_u64_u32 v[2:3], s18, v0, s[28:29]
	v_mad_nc_u64_u32 v[4:5], s20, v0, s[30:31]
	v_ashrrev_i32_e32 v13, 31, v0
	s_mov_b32 s27, 0
	s_mov_b32 s28, 0
	s_delay_alu instid0(VALU_DEP_3) | instskip(NEXT) | instid1(VALU_DEP_3)
	v_mad_u32 v3, s19, v0, v3
	v_mad_u32 v5, s21, v0, v5
	s_delay_alu instid0(VALU_DEP_2) | instskip(NEXT) | instid1(VALU_DEP_2)
	v_mad_u32 v3, s18, v13, v3
	v_mad_u32 v5, s20, v13, v5
	v_mov_b32_e32 v13, 0
.LBB215_5:                              ;   Parent Loop BB215_3 Depth=1
                                        ; =>  This Inner Loop Header: Depth=2
	global_load_b32 v14, v[4:5], off
	global_load_b32 v15, v[2:3], off
	v_add_nc_u32_e32 v0, s10, v0
	s_add_co_i32 s29, s28, 1
	s_cmp_gt_u32 s28, 30
	s_wait_xcnt 0x0
	v_add_nc_u64_e32 v[2:3], s[12:13], v[2:3]
	s_cselect_b32 s28, -1, 0
	v_add_nc_u64_e32 v[4:5], s[24:25], v[4:5]
	s_wait_loadcnt 0x0
	v_fmac_f32_e32 v13, v14, v15
	v_cmp_le_i32_e64 s2, s26, v0
	s_or_b32 s2, s28, s2
	s_mov_b32 s28, s29
	s_and_b32 s2, exec_lo, s2
	s_delay_alu instid0(SALU_CYCLE_1) | instskip(NEXT) | instid1(SALU_CYCLE_1)
	s_or_b32 s27, s2, s27
	s_and_not1_b32 exec_lo, exec_lo, s27
	s_cbranch_execnz .LBB215_5
; %bb.6:                                ;   in Loop: Header=BB215_3 Depth=1
	s_or_b32 exec_lo, exec_lo, s27
.LBB215_7:                              ;   in Loop: Header=BB215_3 Depth=1
	s_delay_alu instid0(SALU_CYCLE_1)
	s_or_b32 exec_lo, exec_lo, s11
	s_and_saveexec_b32 s2, vcc_lo
; %bb.8:                                ;   in Loop: Header=BB215_3 Depth=1
	ds_store_b32 v1, v12
; %bb.9:                                ;   in Loop: Header=BB215_3 Depth=1
	s_or_b32 exec_lo, exec_lo, s2
	s_wait_dscnt 0x0
	ds_bpermute_b32 v2, v6, v13
	s_wait_dscnt 0x0
	s_barrier_signal -1
	s_barrier_wait -1
	v_add_f32_e32 v2, v13, v2
	ds_bpermute_b32 v3, v7, v2
	s_wait_dscnt 0x0
	v_add_f32_e32 v2, v2, v3
	ds_bpermute_b32 v3, v8, v2
	s_wait_dscnt 0x0
	;; [unrolled: 3-line block ×3, first 2 shown]
	v_add_f32_e32 v2, v2, v3
	ds_bpermute_b32 v3, v10, v2
	s_and_saveexec_b32 s2, s0
	s_cbranch_execz .LBB215_11
; %bb.10:                               ;   in Loop: Header=BB215_3 Depth=1
	s_wait_dscnt 0x0
	v_add_f32_e32 v2, v2, v3
	ds_store_b32 v11, v2
.LBB215_11:                             ;   in Loop: Header=BB215_3 Depth=1
	s_or_b32 exec_lo, exec_lo, s2
	v_mov_b32_e32 v2, 0
	s_wait_dscnt 0x0
	s_barrier_signal -1
	s_barrier_wait -1
	s_and_saveexec_b32 s2, vcc_lo
	s_cbranch_execnz .LBB215_14
; %bb.12:                               ;   in Loop: Header=BB215_3 Depth=1
	s_or_b32 exec_lo, exec_lo, s2
	s_and_saveexec_b32 s2, vcc_lo
	s_cbranch_execnz .LBB215_15
.LBB215_13:                             ;   in Loop: Header=BB215_3 Depth=1
	s_or_b32 exec_lo, exec_lo, s2
	s_and_saveexec_b32 s2, s1
	s_cbranch_execz .LBB215_2
	s_branch .LBB215_16
.LBB215_14:                             ;   in Loop: Header=BB215_3 Depth=1
	ds_load_b32 v2, v1
	s_or_b32 exec_lo, exec_lo, s2
	s_and_saveexec_b32 s2, vcc_lo
	s_cbranch_execz .LBB215_13
.LBB215_15:                             ;   in Loop: Header=BB215_3 Depth=1
	s_wait_dscnt 0x0
	ds_bpermute_b32 v3, v6, v2
	s_wait_dscnt 0x0
	v_add_f32_e32 v2, v2, v3
	ds_bpermute_b32 v3, v7, v2
	s_wait_dscnt 0x0
	v_add_f32_e32 v2, v2, v3
	ds_bpermute_b32 v3, v8, v2
	s_wait_dscnt 0x0
	v_add_f32_e32 v2, v2, v3
	ds_bpermute_b32 v3, v9, v2
	s_wait_dscnt 0x0
	v_add_f32_e32 v2, v2, v3
	ds_bpermute_b32 v3, v10, v2
	s_wait_dscnt 0x0
	v_add_f32_e32 v2, v2, v3
	s_or_b32 exec_lo, exec_lo, s2
	s_and_saveexec_b32 s2, s1
	s_cbranch_execz .LBB215_2
.LBB215_16:                             ;   in Loop: Header=BB215_3 Depth=1
	s_lshl_b64 s[28:29], s[16:17], 2
	s_delay_alu instid0(SALU_CYCLE_1)
	s_add_nc_u64 s[28:29], s[8:9], s[28:29]
	s_wait_dscnt 0x0
	global_store_b32 v12, v2, s[28:29]
	s_branch .LBB215_2
.LBB215_17:
	s_endpgm
	.section	.rodata,"a",@progbits
	.p2align	6, 0x0
	.amdhsa_kernel _ZL18rocblas_dot_kernelIiLb1ELi1024ELi32ELb1EfPKffEviT5_lT_lS2_lS3_liPT6_PT4_
		.amdhsa_group_segment_fixed_size 128
		.amdhsa_private_segment_fixed_size 0
		.amdhsa_kernarg_size 352
		.amdhsa_user_sgpr_count 2
		.amdhsa_user_sgpr_dispatch_ptr 0
		.amdhsa_user_sgpr_queue_ptr 0
		.amdhsa_user_sgpr_kernarg_segment_ptr 1
		.amdhsa_user_sgpr_dispatch_id 0
		.amdhsa_user_sgpr_kernarg_preload_length 0
		.amdhsa_user_sgpr_kernarg_preload_offset 0
		.amdhsa_user_sgpr_private_segment_size 0
		.amdhsa_wavefront_size32 1
		.amdhsa_uses_dynamic_stack 0
		.amdhsa_enable_private_segment 0
		.amdhsa_system_sgpr_workgroup_id_x 1
		.amdhsa_system_sgpr_workgroup_id_y 0
		.amdhsa_system_sgpr_workgroup_id_z 1
		.amdhsa_system_sgpr_workgroup_info 0
		.amdhsa_system_vgpr_workitem_id 0
		.amdhsa_next_free_vgpr 16
		.amdhsa_next_free_sgpr 32
		.amdhsa_named_barrier_count 0
		.amdhsa_reserve_vcc 1
		.amdhsa_float_round_mode_32 0
		.amdhsa_float_round_mode_16_64 0
		.amdhsa_float_denorm_mode_32 3
		.amdhsa_float_denorm_mode_16_64 3
		.amdhsa_fp16_overflow 0
		.amdhsa_memory_ordered 1
		.amdhsa_forward_progress 1
		.amdhsa_inst_pref_size 8
		.amdhsa_round_robin_scheduling 0
		.amdhsa_exception_fp_ieee_invalid_op 0
		.amdhsa_exception_fp_denorm_src 0
		.amdhsa_exception_fp_ieee_div_zero 0
		.amdhsa_exception_fp_ieee_overflow 0
		.amdhsa_exception_fp_ieee_underflow 0
		.amdhsa_exception_fp_ieee_inexact 0
		.amdhsa_exception_int_div_zero 0
	.end_amdhsa_kernel
	.section	.text._ZL18rocblas_dot_kernelIiLb1ELi1024ELi32ELb1EfPKffEviT5_lT_lS2_lS3_liPT6_PT4_,"axG",@progbits,_ZL18rocblas_dot_kernelIiLb1ELi1024ELi32ELb1EfPKffEviT5_lT_lS2_lS3_liPT6_PT4_,comdat
.Lfunc_end215:
	.size	_ZL18rocblas_dot_kernelIiLb1ELi1024ELi32ELb1EfPKffEviT5_lT_lS2_lS3_liPT6_PT4_, .Lfunc_end215-_ZL18rocblas_dot_kernelIiLb1ELi1024ELi32ELb1EfPKffEviT5_lT_lS2_lS3_liPT6_PT4_
                                        ; -- End function
	.set _ZL18rocblas_dot_kernelIiLb1ELi1024ELi32ELb1EfPKffEviT5_lT_lS2_lS3_liPT6_PT4_.num_vgpr, 16
	.set _ZL18rocblas_dot_kernelIiLb1ELi1024ELi32ELb1EfPKffEviT5_lT_lS2_lS3_liPT6_PT4_.num_agpr, 0
	.set _ZL18rocblas_dot_kernelIiLb1ELi1024ELi32ELb1EfPKffEviT5_lT_lS2_lS3_liPT6_PT4_.numbered_sgpr, 32
	.set _ZL18rocblas_dot_kernelIiLb1ELi1024ELi32ELb1EfPKffEviT5_lT_lS2_lS3_liPT6_PT4_.num_named_barrier, 0
	.set _ZL18rocblas_dot_kernelIiLb1ELi1024ELi32ELb1EfPKffEviT5_lT_lS2_lS3_liPT6_PT4_.private_seg_size, 0
	.set _ZL18rocblas_dot_kernelIiLb1ELi1024ELi32ELb1EfPKffEviT5_lT_lS2_lS3_liPT6_PT4_.uses_vcc, 1
	.set _ZL18rocblas_dot_kernelIiLb1ELi1024ELi32ELb1EfPKffEviT5_lT_lS2_lS3_liPT6_PT4_.uses_flat_scratch, 0
	.set _ZL18rocblas_dot_kernelIiLb1ELi1024ELi32ELb1EfPKffEviT5_lT_lS2_lS3_liPT6_PT4_.has_dyn_sized_stack, 0
	.set _ZL18rocblas_dot_kernelIiLb1ELi1024ELi32ELb1EfPKffEviT5_lT_lS2_lS3_liPT6_PT4_.has_recursion, 0
	.set _ZL18rocblas_dot_kernelIiLb1ELi1024ELi32ELb1EfPKffEviT5_lT_lS2_lS3_liPT6_PT4_.has_indirect_call, 0
	.section	.AMDGPU.csdata,"",@progbits
; Kernel info:
; codeLenInByte = 952
; TotalNumSgprs: 34
; NumVgprs: 16
; ScratchSize: 0
; MemoryBound: 0
; FloatMode: 240
; IeeeMode: 1
; LDSByteSize: 128 bytes/workgroup (compile time only)
; SGPRBlocks: 0
; VGPRBlocks: 0
; NumSGPRsForWavesPerEU: 34
; NumVGPRsForWavesPerEU: 16
; NamedBarCnt: 0
; Occupancy: 16
; WaveLimiterHint : 0
; COMPUTE_PGM_RSRC2:SCRATCH_EN: 0
; COMPUTE_PGM_RSRC2:USER_SGPR: 2
; COMPUTE_PGM_RSRC2:TRAP_HANDLER: 0
; COMPUTE_PGM_RSRC2:TGID_X_EN: 1
; COMPUTE_PGM_RSRC2:TGID_Y_EN: 0
; COMPUTE_PGM_RSRC2:TGID_Z_EN: 1
; COMPUTE_PGM_RSRC2:TIDIG_COMP_CNT: 0
	.section	.text._ZL24rocblas_dot_kernel_magsqIiLb1ELi1024ELi32ELb1EfPKffEviT5_lT_liPT6_PT4_,"axG",@progbits,_ZL24rocblas_dot_kernel_magsqIiLb1ELi1024ELi32ELb1EfPKffEviT5_lT_liPT6_PT4_,comdat
	.globl	_ZL24rocblas_dot_kernel_magsqIiLb1ELi1024ELi32ELb1EfPKffEviT5_lT_liPT6_PT4_ ; -- Begin function _ZL24rocblas_dot_kernel_magsqIiLb1ELi1024ELi32ELb1EfPKffEviT5_lT_liPT6_PT4_
	.p2align	8
	.type	_ZL24rocblas_dot_kernel_magsqIiLb1ELi1024ELi32ELb1EfPKffEviT5_lT_liPT6_PT4_,@function
_ZL24rocblas_dot_kernel_magsqIiLb1ELi1024ELi32ELb1EfPKffEviT5_lT_liPT6_PT4_: ; @_ZL24rocblas_dot_kernel_magsqIiLb1ELi1024ELi32ELb1EfPKffEviT5_lT_liPT6_PT4_
; %bb.0:
	s_load_b32 s3, s[0:1], 0x28
	s_bfe_u32 s2, ttmp6, 0x40014
	s_lshr_b32 s4, ttmp7, 16
	s_add_co_i32 s2, s2, 1
	s_bfe_u32 s5, ttmp6, 0x40008
	s_mul_i32 s2, s4, s2
	s_getreg_b32 s6, hwreg(HW_REG_IB_STS2, 6, 4)
	s_add_co_i32 s5, s5, s2
	s_cmp_eq_u32 s6, 0
	s_mov_b32 s9, 0
	s_cselect_b32 s8, s4, s5
	s_wait_kmcnt 0x0
	s_cmp_ge_u32 s8, s3
	s_cbranch_scc1 .LBB216_17
; %bb.1:
	v_mbcnt_lo_u32_b32 v3, -1, 0
	s_clause 0x4
	s_load_b32 s16, s[0:1], 0x18
	s_load_b96 s[4:6], s[0:1], 0x38
	s_load_b128 s[12:15], s[0:1], 0x8
	s_load_b64 s[20:21], s[0:1], 0x20
	s_load_b32 s18, s[0:1], 0x0
	v_dual_lshrrev_b32 v9, 3, v0 :: v_dual_bitop2_b32 v2, 31, v0 bitop3:0x40
	s_wait_xcnt 0x0
	v_cmp_gt_u32_e64 s0, 24, v3
	v_lshl_or_b32 v4, v3, 2, 64
	v_cmp_eq_u32_e64 s1, 0, v0
	v_mov_b32_e32 v10, 0
	v_and_b32_e32 v9, 0x7c, v9
	v_cndmask_b32_e64 v5, 0, 8, s0
	v_cmp_gt_u32_e64 s0, 28, v3
	v_cmp_gt_u32_e32 vcc_lo, 32, v0
	s_delay_alu instid0(VALU_DEP_3) | instskip(NEXT) | instid1(VALU_DEP_3)
	v_add_lshl_u32 v5, v5, v3, 2
	v_cndmask_b32_e64 v6, 0, 4, s0
	v_cmp_gt_u32_e64 s0, 30, v3
	s_wait_kmcnt 0x0
	s_lshl_b64 s[10:11], s[14:15], 2
	s_lshl_b32 s6, s6, 10
	v_cndmask_b32_e64 v7, 0, 2, s0
	v_cmp_ne_u32_e64 s0, 31, v3
	s_ashr_i32 s17, s16, 31
	s_ashr_i32 s7, s6, 31
	v_add_lshl_u32 v6, v6, v3, 2
	v_add_lshl_u32 v7, v7, v3, 2
	v_add_co_ci_u32_e64 v8, null, 0, v3, s0
	v_lshlrev_b32_e32 v1, 2, v2
	v_cmp_eq_u32_e64 s0, 0, v2
	s_add_nc_u64 s[10:11], s[12:13], s[10:11]
	v_lshlrev_b32_e32 v8, 2, v8
	s_lshl_b64 s[12:13], s[16:17], 2
	s_mul_u64 s[16:17], s[16:17], s[6:7]
	s_lshl_b64 s[14:15], s[20:21], 2
	s_lshl_b64 s[16:17], s[16:17], 2
	s_branch .LBB216_3
.LBB216_2:                              ;   in Loop: Header=BB216_3 Depth=1
	s_wait_xcnt 0x0
	s_or_b32 exec_lo, exec_lo, s2
	s_add_co_i32 s8, s8, 0x10000
	s_delay_alu instid0(SALU_CYCLE_1)
	s_cmp_lt_u32 s8, s3
	s_cbranch_scc0 .LBB216_17
.LBB216_3:                              ; =>This Loop Header: Depth=1
                                        ;     Child Loop BB216_5 Depth 2
	v_mov_b32_e32 v11, 0
	s_mov_b32 s7, exec_lo
	v_cmpx_gt_i32_e64 s18, v0
	s_cbranch_execz .LBB216_7
; %bb.4:                                ;   in Loop: Header=BB216_3 Depth=1
	s_mul_u64 s[20:21], s[14:15], s[8:9]
	v_ashrrev_i32_e32 v11, 31, v0
	s_add_nc_u64 s[20:21], s[10:11], s[20:21]
	s_mov_b32 s19, 0
	s_wait_dscnt 0x0
	v_mad_nc_u64_u32 v[2:3], s12, v0, s[20:21]
	s_mov_b32 s20, 0
	s_delay_alu instid0(VALU_DEP_1) | instskip(NEXT) | instid1(VALU_DEP_1)
	v_mad_u32 v3, s13, v0, v3
	v_mad_u32 v3, s12, v11, v3
	v_mov_b32_e32 v11, 0
.LBB216_5:                              ;   Parent Loop BB216_3 Depth=1
                                        ; =>  This Inner Loop Header: Depth=2
	global_load_b32 v12, v[2:3], off
	v_add_nc_u32_e32 v0, s6, v0
	s_add_co_i32 s21, s20, 1
	s_cmp_gt_u32 s20, 30
	s_wait_xcnt 0x0
	v_add_nc_u64_e32 v[2:3], s[16:17], v[2:3]
	s_cselect_b32 s20, -1, 0
	v_cmp_le_i32_e64 s2, s18, v0
	s_or_b32 s2, s20, s2
	s_mov_b32 s20, s21
	s_and_b32 s2, exec_lo, s2
	s_delay_alu instid0(SALU_CYCLE_1)
	s_or_b32 s19, s2, s19
	s_wait_loadcnt 0x0
	v_fmac_f32_e32 v11, v12, v12
	s_and_not1_b32 exec_lo, exec_lo, s19
	s_cbranch_execnz .LBB216_5
; %bb.6:                                ;   in Loop: Header=BB216_3 Depth=1
	s_or_b32 exec_lo, exec_lo, s19
.LBB216_7:                              ;   in Loop: Header=BB216_3 Depth=1
	s_delay_alu instid0(SALU_CYCLE_1)
	s_or_b32 exec_lo, exec_lo, s7
	s_and_saveexec_b32 s2, vcc_lo
; %bb.8:                                ;   in Loop: Header=BB216_3 Depth=1
	ds_store_b32 v1, v10
; %bb.9:                                ;   in Loop: Header=BB216_3 Depth=1
	s_or_b32 exec_lo, exec_lo, s2
	s_wait_dscnt 0x0
	ds_bpermute_b32 v2, v4, v11
	s_wait_dscnt 0x0
	s_barrier_signal -1
	s_barrier_wait -1
	v_add_f32_e32 v2, v11, v2
	ds_bpermute_b32 v3, v5, v2
	s_wait_dscnt 0x0
	v_add_f32_e32 v2, v2, v3
	ds_bpermute_b32 v3, v6, v2
	s_wait_dscnt 0x0
	;; [unrolled: 3-line block ×3, first 2 shown]
	v_add_f32_e32 v2, v2, v3
	ds_bpermute_b32 v3, v8, v2
	s_and_saveexec_b32 s2, s0
	s_cbranch_execz .LBB216_11
; %bb.10:                               ;   in Loop: Header=BB216_3 Depth=1
	s_wait_dscnt 0x0
	v_add_f32_e32 v2, v2, v3
	ds_store_b32 v9, v2
.LBB216_11:                             ;   in Loop: Header=BB216_3 Depth=1
	s_or_b32 exec_lo, exec_lo, s2
	v_mov_b32_e32 v2, 0
	s_wait_dscnt 0x0
	s_barrier_signal -1
	s_barrier_wait -1
	s_and_saveexec_b32 s2, vcc_lo
	s_cbranch_execnz .LBB216_14
; %bb.12:                               ;   in Loop: Header=BB216_3 Depth=1
	s_or_b32 exec_lo, exec_lo, s2
	s_and_saveexec_b32 s2, vcc_lo
	s_cbranch_execnz .LBB216_15
.LBB216_13:                             ;   in Loop: Header=BB216_3 Depth=1
	s_or_b32 exec_lo, exec_lo, s2
	s_and_saveexec_b32 s2, s1
	s_cbranch_execz .LBB216_2
	s_branch .LBB216_16
.LBB216_14:                             ;   in Loop: Header=BB216_3 Depth=1
	ds_load_b32 v2, v1
	s_or_b32 exec_lo, exec_lo, s2
	s_and_saveexec_b32 s2, vcc_lo
	s_cbranch_execz .LBB216_13
.LBB216_15:                             ;   in Loop: Header=BB216_3 Depth=1
	s_wait_dscnt 0x0
	ds_bpermute_b32 v3, v4, v2
	s_wait_dscnt 0x0
	v_add_f32_e32 v2, v2, v3
	ds_bpermute_b32 v3, v5, v2
	s_wait_dscnt 0x0
	v_add_f32_e32 v2, v2, v3
	;; [unrolled: 3-line block ×5, first 2 shown]
	s_or_b32 exec_lo, exec_lo, s2
	s_and_saveexec_b32 s2, s1
	s_cbranch_execz .LBB216_2
.LBB216_16:                             ;   in Loop: Header=BB216_3 Depth=1
	s_lshl_b64 s[20:21], s[8:9], 2
	s_delay_alu instid0(SALU_CYCLE_1)
	s_add_nc_u64 s[20:21], s[4:5], s[20:21]
	s_wait_dscnt 0x0
	global_store_b32 v10, v2, s[20:21]
	s_branch .LBB216_2
.LBB216_17:
	s_endpgm
	.section	.rodata,"a",@progbits
	.p2align	6, 0x0
	.amdhsa_kernel _ZL24rocblas_dot_kernel_magsqIiLb1ELi1024ELi32ELb1EfPKffEviT5_lT_liPT6_PT4_
		.amdhsa_group_segment_fixed_size 128
		.amdhsa_private_segment_fixed_size 0
		.amdhsa_kernarg_size 320
		.amdhsa_user_sgpr_count 2
		.amdhsa_user_sgpr_dispatch_ptr 0
		.amdhsa_user_sgpr_queue_ptr 0
		.amdhsa_user_sgpr_kernarg_segment_ptr 1
		.amdhsa_user_sgpr_dispatch_id 0
		.amdhsa_user_sgpr_kernarg_preload_length 0
		.amdhsa_user_sgpr_kernarg_preload_offset 0
		.amdhsa_user_sgpr_private_segment_size 0
		.amdhsa_wavefront_size32 1
		.amdhsa_uses_dynamic_stack 0
		.amdhsa_enable_private_segment 0
		.amdhsa_system_sgpr_workgroup_id_x 1
		.amdhsa_system_sgpr_workgroup_id_y 0
		.amdhsa_system_sgpr_workgroup_id_z 1
		.amdhsa_system_sgpr_workgroup_info 0
		.amdhsa_system_vgpr_workitem_id 0
		.amdhsa_next_free_vgpr 13
		.amdhsa_next_free_sgpr 22
		.amdhsa_named_barrier_count 0
		.amdhsa_reserve_vcc 1
		.amdhsa_float_round_mode_32 0
		.amdhsa_float_round_mode_16_64 0
		.amdhsa_float_denorm_mode_32 3
		.amdhsa_float_denorm_mode_16_64 3
		.amdhsa_fp16_overflow 0
		.amdhsa_memory_ordered 1
		.amdhsa_forward_progress 1
		.amdhsa_inst_pref_size 7
		.amdhsa_round_robin_scheduling 0
		.amdhsa_exception_fp_ieee_invalid_op 0
		.amdhsa_exception_fp_denorm_src 0
		.amdhsa_exception_fp_ieee_div_zero 0
		.amdhsa_exception_fp_ieee_overflow 0
		.amdhsa_exception_fp_ieee_underflow 0
		.amdhsa_exception_fp_ieee_inexact 0
		.amdhsa_exception_int_div_zero 0
	.end_amdhsa_kernel
	.section	.text._ZL24rocblas_dot_kernel_magsqIiLb1ELi1024ELi32ELb1EfPKffEviT5_lT_liPT6_PT4_,"axG",@progbits,_ZL24rocblas_dot_kernel_magsqIiLb1ELi1024ELi32ELb1EfPKffEviT5_lT_liPT6_PT4_,comdat
.Lfunc_end216:
	.size	_ZL24rocblas_dot_kernel_magsqIiLb1ELi1024ELi32ELb1EfPKffEviT5_lT_liPT6_PT4_, .Lfunc_end216-_ZL24rocblas_dot_kernel_magsqIiLb1ELi1024ELi32ELb1EfPKffEviT5_lT_liPT6_PT4_
                                        ; -- End function
	.set _ZL24rocblas_dot_kernel_magsqIiLb1ELi1024ELi32ELb1EfPKffEviT5_lT_liPT6_PT4_.num_vgpr, 13
	.set _ZL24rocblas_dot_kernel_magsqIiLb1ELi1024ELi32ELb1EfPKffEviT5_lT_liPT6_PT4_.num_agpr, 0
	.set _ZL24rocblas_dot_kernel_magsqIiLb1ELi1024ELi32ELb1EfPKffEviT5_lT_liPT6_PT4_.numbered_sgpr, 22
	.set _ZL24rocblas_dot_kernel_magsqIiLb1ELi1024ELi32ELb1EfPKffEviT5_lT_liPT6_PT4_.num_named_barrier, 0
	.set _ZL24rocblas_dot_kernel_magsqIiLb1ELi1024ELi32ELb1EfPKffEviT5_lT_liPT6_PT4_.private_seg_size, 0
	.set _ZL24rocblas_dot_kernel_magsqIiLb1ELi1024ELi32ELb1EfPKffEviT5_lT_liPT6_PT4_.uses_vcc, 1
	.set _ZL24rocblas_dot_kernel_magsqIiLb1ELi1024ELi32ELb1EfPKffEviT5_lT_liPT6_PT4_.uses_flat_scratch, 0
	.set _ZL24rocblas_dot_kernel_magsqIiLb1ELi1024ELi32ELb1EfPKffEviT5_lT_liPT6_PT4_.has_dyn_sized_stack, 0
	.set _ZL24rocblas_dot_kernel_magsqIiLb1ELi1024ELi32ELb1EfPKffEviT5_lT_liPT6_PT4_.has_recursion, 0
	.set _ZL24rocblas_dot_kernel_magsqIiLb1ELi1024ELi32ELb1EfPKffEviT5_lT_liPT6_PT4_.has_indirect_call, 0
	.section	.AMDGPU.csdata,"",@progbits
; Kernel info:
; codeLenInByte = 848
; TotalNumSgprs: 24
; NumVgprs: 13
; ScratchSize: 0
; MemoryBound: 0
; FloatMode: 240
; IeeeMode: 1
; LDSByteSize: 128 bytes/workgroup (compile time only)
; SGPRBlocks: 0
; VGPRBlocks: 0
; NumSGPRsForWavesPerEU: 24
; NumVGPRsForWavesPerEU: 13
; NamedBarCnt: 0
; Occupancy: 16
; WaveLimiterHint : 0
; COMPUTE_PGM_RSRC2:SCRATCH_EN: 0
; COMPUTE_PGM_RSRC2:USER_SGPR: 2
; COMPUTE_PGM_RSRC2:TRAP_HANDLER: 0
; COMPUTE_PGM_RSRC2:TGID_X_EN: 1
; COMPUTE_PGM_RSRC2:TGID_Y_EN: 0
; COMPUTE_PGM_RSRC2:TGID_Z_EN: 1
; COMPUTE_PGM_RSRC2:TIDIG_COMP_CNT: 0
	.section	.text._ZL38rocblas_dot_kernel_gfx942_float_doubleIiLi1024EfPKffEviT2_lT_lS2_lS3_lPT3_PT1_,"axG",@progbits,_ZL38rocblas_dot_kernel_gfx942_float_doubleIiLi1024EfPKffEviT2_lT_lS2_lS3_lPT3_PT1_,comdat
	.globl	_ZL38rocblas_dot_kernel_gfx942_float_doubleIiLi1024EfPKffEviT2_lT_lS2_lS3_lPT3_PT1_ ; -- Begin function _ZL38rocblas_dot_kernel_gfx942_float_doubleIiLi1024EfPKffEviT2_lT_lS2_lS3_lPT3_PT1_
	.p2align	8
	.type	_ZL38rocblas_dot_kernel_gfx942_float_doubleIiLi1024EfPKffEviT2_lT_lS2_lS3_lPT3_PT1_,@function
_ZL38rocblas_dot_kernel_gfx942_float_doubleIiLi1024EfPKffEviT2_lT_lS2_lS3_lPT3_PT1_: ; @_ZL38rocblas_dot_kernel_gfx942_float_doubleIiLi1024EfPKffEviT2_lT_lS2_lS3_lPT3_PT1_
; %bb.0:
	s_endpgm
	.section	.rodata,"a",@progbits
	.p2align	6, 0x0
	.amdhsa_kernel _ZL38rocblas_dot_kernel_gfx942_float_doubleIiLi1024EfPKffEviT2_lT_lS2_lS3_lPT3_PT1_
		.amdhsa_group_segment_fixed_size 0
		.amdhsa_private_segment_fixed_size 0
		.amdhsa_kernarg_size 88
		.amdhsa_user_sgpr_count 2
		.amdhsa_user_sgpr_dispatch_ptr 0
		.amdhsa_user_sgpr_queue_ptr 0
		.amdhsa_user_sgpr_kernarg_segment_ptr 1
		.amdhsa_user_sgpr_dispatch_id 0
		.amdhsa_user_sgpr_kernarg_preload_length 0
		.amdhsa_user_sgpr_kernarg_preload_offset 0
		.amdhsa_user_sgpr_private_segment_size 0
		.amdhsa_wavefront_size32 1
		.amdhsa_uses_dynamic_stack 0
		.amdhsa_enable_private_segment 0
		.amdhsa_system_sgpr_workgroup_id_x 1
		.amdhsa_system_sgpr_workgroup_id_y 0
		.amdhsa_system_sgpr_workgroup_id_z 0
		.amdhsa_system_sgpr_workgroup_info 0
		.amdhsa_system_vgpr_workitem_id 0
		.amdhsa_next_free_vgpr 1
		.amdhsa_next_free_sgpr 1
		.amdhsa_named_barrier_count 0
		.amdhsa_reserve_vcc 0
		.amdhsa_float_round_mode_32 0
		.amdhsa_float_round_mode_16_64 0
		.amdhsa_float_denorm_mode_32 3
		.amdhsa_float_denorm_mode_16_64 3
		.amdhsa_fp16_overflow 0
		.amdhsa_memory_ordered 1
		.amdhsa_forward_progress 1
		.amdhsa_inst_pref_size 1
		.amdhsa_round_robin_scheduling 0
		.amdhsa_exception_fp_ieee_invalid_op 0
		.amdhsa_exception_fp_denorm_src 0
		.amdhsa_exception_fp_ieee_div_zero 0
		.amdhsa_exception_fp_ieee_overflow 0
		.amdhsa_exception_fp_ieee_underflow 0
		.amdhsa_exception_fp_ieee_inexact 0
		.amdhsa_exception_int_div_zero 0
	.end_amdhsa_kernel
	.section	.text._ZL38rocblas_dot_kernel_gfx942_float_doubleIiLi1024EfPKffEviT2_lT_lS2_lS3_lPT3_PT1_,"axG",@progbits,_ZL38rocblas_dot_kernel_gfx942_float_doubleIiLi1024EfPKffEviT2_lT_lS2_lS3_lPT3_PT1_,comdat
.Lfunc_end217:
	.size	_ZL38rocblas_dot_kernel_gfx942_float_doubleIiLi1024EfPKffEviT2_lT_lS2_lS3_lPT3_PT1_, .Lfunc_end217-_ZL38rocblas_dot_kernel_gfx942_float_doubleIiLi1024EfPKffEviT2_lT_lS2_lS3_lPT3_PT1_
                                        ; -- End function
	.set _ZL38rocblas_dot_kernel_gfx942_float_doubleIiLi1024EfPKffEviT2_lT_lS2_lS3_lPT3_PT1_.num_vgpr, 0
	.set _ZL38rocblas_dot_kernel_gfx942_float_doubleIiLi1024EfPKffEviT2_lT_lS2_lS3_lPT3_PT1_.num_agpr, 0
	.set _ZL38rocblas_dot_kernel_gfx942_float_doubleIiLi1024EfPKffEviT2_lT_lS2_lS3_lPT3_PT1_.numbered_sgpr, 0
	.set _ZL38rocblas_dot_kernel_gfx942_float_doubleIiLi1024EfPKffEviT2_lT_lS2_lS3_lPT3_PT1_.num_named_barrier, 0
	.set _ZL38rocblas_dot_kernel_gfx942_float_doubleIiLi1024EfPKffEviT2_lT_lS2_lS3_lPT3_PT1_.private_seg_size, 0
	.set _ZL38rocblas_dot_kernel_gfx942_float_doubleIiLi1024EfPKffEviT2_lT_lS2_lS3_lPT3_PT1_.uses_vcc, 0
	.set _ZL38rocblas_dot_kernel_gfx942_float_doubleIiLi1024EfPKffEviT2_lT_lS2_lS3_lPT3_PT1_.uses_flat_scratch, 0
	.set _ZL38rocblas_dot_kernel_gfx942_float_doubleIiLi1024EfPKffEviT2_lT_lS2_lS3_lPT3_PT1_.has_dyn_sized_stack, 0
	.set _ZL38rocblas_dot_kernel_gfx942_float_doubleIiLi1024EfPKffEviT2_lT_lS2_lS3_lPT3_PT1_.has_recursion, 0
	.set _ZL38rocblas_dot_kernel_gfx942_float_doubleIiLi1024EfPKffEviT2_lT_lS2_lS3_lPT3_PT1_.has_indirect_call, 0
	.section	.AMDGPU.csdata,"",@progbits
; Kernel info:
; codeLenInByte = 4
; TotalNumSgprs: 0
; NumVgprs: 0
; ScratchSize: 0
; MemoryBound: 0
; FloatMode: 240
; IeeeMode: 1
; LDSByteSize: 0 bytes/workgroup (compile time only)
; SGPRBlocks: 0
; VGPRBlocks: 0
; NumSGPRsForWavesPerEU: 1
; NumVGPRsForWavesPerEU: 1
; NamedBarCnt: 0
; Occupancy: 16
; WaveLimiterHint : 0
; COMPUTE_PGM_RSRC2:SCRATCH_EN: 0
; COMPUTE_PGM_RSRC2:USER_SGPR: 2
; COMPUTE_PGM_RSRC2:TRAP_HANDLER: 0
; COMPUTE_PGM_RSRC2:TGID_X_EN: 1
; COMPUTE_PGM_RSRC2:TGID_Y_EN: 0
; COMPUTE_PGM_RSRC2:TGID_Z_EN: 0
; COMPUTE_PGM_RSRC2:TIDIG_COMP_CNT: 0
	.section	.text._ZL30rocblas_reduction_kernel_part2ILi1024ELi4E25rocblas_finalize_identityffEviPT2_PT3_,"axG",@progbits,_ZL30rocblas_reduction_kernel_part2ILi1024ELi4E25rocblas_finalize_identityffEviPT2_PT3_,comdat
	.globl	_ZL30rocblas_reduction_kernel_part2ILi1024ELi4E25rocblas_finalize_identityffEviPT2_PT3_ ; -- Begin function _ZL30rocblas_reduction_kernel_part2ILi1024ELi4E25rocblas_finalize_identityffEviPT2_PT3_
	.p2align	8
	.type	_ZL30rocblas_reduction_kernel_part2ILi1024ELi4E25rocblas_finalize_identityffEviPT2_PT3_,@function
_ZL30rocblas_reduction_kernel_part2ILi1024ELi4E25rocblas_finalize_identityffEviPT2_PT3_: ; @_ZL30rocblas_reduction_kernel_part2ILi1024ELi4E25rocblas_finalize_identityffEviPT2_PT3_
; %bb.0:
	s_clause 0x1
	s_load_b32 s6, s[0:1], 0x0
	s_load_b64 s[8:9], s[0:1], 0x8
	s_bfe_u32 s2, ttmp6, 0x4000c
	s_and_b32 s3, ttmp6, 15
	s_add_co_i32 s2, s2, 1
	s_getreg_b32 s4, hwreg(HW_REG_IB_STS2, 6, 4)
	s_mul_i32 s2, ttmp9, s2
	v_dual_lshlrev_b32 v1, 2, v0 :: v_dual_mov_b32 v3, 0
	s_add_co_i32 s3, s3, s2
	s_wait_kmcnt 0x0
	s_ashr_i32 s7, s6, 31
	s_cmp_eq_u32 s4, 0
	s_mov_b32 s4, exec_lo
	s_cselect_b32 s2, ttmp9, s3
	s_lshr_b32 s3, s7, 30
	s_delay_alu instid0(SALU_CYCLE_1) | instskip(NEXT) | instid1(SALU_CYCLE_1)
	s_add_co_i32 s3, s6, s3
	s_and_b32 s12, s3, -4
	s_mov_b32 s3, 0
	s_delay_alu instid0(SALU_CYCLE_1)
	s_mul_u64 s[10:11], s[6:7], s[2:3]
	v_cmpx_gt_i32_e64 s12, v1
	s_cbranch_execz .LBB218_4
; %bb.1:
	v_dual_mov_b32 v3, 0 :: v_dual_lshlrev_b32 v2, 4, v0
	s_lshl_b64 s[14:15], s[10:11], 2
	s_mov_b32 s5, s3
	s_add_nc_u64 s[14:15], s[8:9], s[14:15]
	s_delay_alu instid0(VALU_DEP_1) | instid1(SALU_CYCLE_1)
	v_add_nc_u64_e32 v[4:5], s[14:15], v[2:3]
	s_delay_alu instid0(VALU_DEP_1)
	v_add_nc_u64_e32 v[4:5], 8, v[4:5]
.LBB218_2:                              ; =>This Inner Loop Header: Depth=1
	global_load_b128 v[6:9], v[4:5], off offset:-8
	s_wait_xcnt 0x0
	v_add_nc_u64_e32 v[4:5], 0x4000, v[4:5]
	v_add_nc_u32_e32 v1, 0x1000, v1
	s_delay_alu instid0(VALU_DEP_1) | instskip(SKIP_3) | instid1(VALU_DEP_1)
	v_cmp_le_i32_e32 vcc_lo, s12, v1
	s_or_b32 s5, vcc_lo, s5
	s_wait_loadcnt 0x0
	v_add_f32_e32 v2, v3, v6
	v_add_f32_e32 v2, v2, v7
	s_delay_alu instid0(VALU_DEP_1) | instskip(NEXT) | instid1(VALU_DEP_1)
	v_add_f32_e32 v2, v2, v8
	v_add_f32_e32 v3, v2, v9
	s_and_not1_b32 exec_lo, exec_lo, s5
	s_cbranch_execnz .LBB218_2
; %bb.3:
	s_or_b32 exec_lo, exec_lo, s5
.LBB218_4:
	s_delay_alu instid0(SALU_CYCLE_1) | instskip(SKIP_3) | instid1(SALU_CYCLE_1)
	s_or_b32 exec_lo, exec_lo, s4
	s_load_b64 s[4:5], s[0:1], 0x10
	s_wait_xcnt 0x0
	s_sub_co_i32 s0, s6, s12
	v_cmp_gt_u32_e32 vcc_lo, s0, v0
	s_and_saveexec_b32 s0, vcc_lo
	s_cbranch_execz .LBB218_6
; %bb.5:
	v_xad_u32 v1, v0, -1, s6
	s_lshl_b64 s[6:7], s[10:11], 2
	s_delay_alu instid0(SALU_CYCLE_1)
	s_add_nc_u64 s[6:7], s[8:9], s[6:7]
	global_load_b32 v1, v1, s[6:7] scale_offset
	s_wait_loadcnt 0x0
	v_add_f32_e32 v3, v3, v1
.LBB218_6:
	s_or_b32 exec_lo, exec_lo, s0
	v_and_b32_e32 v7, 31, v0
	v_cmp_gt_u32_e32 vcc_lo, 32, v0
	s_delay_alu instid0(VALU_DEP_2)
	v_lshlrev_b32_e32 v1, 2, v7
	s_and_saveexec_b32 s0, vcc_lo
; %bb.7:
	v_mov_b32_e32 v2, 0
	ds_store_b32 v1, v2
; %bb.8:
	s_or_b32 exec_lo, exec_lo, s0
	v_mbcnt_lo_u32_b32 v6, -1, 0
	s_mov_b32 s1, exec_lo
	s_wait_dscnt 0x0
	s_barrier_signal -1
	s_barrier_wait -1
	v_lshl_or_b32 v2, v6, 2, 64
	v_cmp_gt_u32_e64 s0, 24, v6
	ds_bpermute_b32 v5, v2, v3
	v_cndmask_b32_e64 v4, 0, 8, s0
	v_cmp_gt_u32_e64 s0, 28, v6
	s_delay_alu instid0(VALU_DEP_2) | instskip(SKIP_2) | instid1(VALU_DEP_3)
	v_add_lshl_u32 v4, v4, v6, 2
	s_wait_dscnt 0x0
	v_add_f32_e32 v5, v3, v5
	v_cndmask_b32_e64 v3, 0, 4, s0
	v_cmp_gt_u32_e64 s0, 30, v6
	ds_bpermute_b32 v8, v4, v5
	v_add_lshl_u32 v3, v3, v6, 2
	s_wait_dscnt 0x0
	v_add_f32_e32 v8, v5, v8
	v_cndmask_b32_e64 v5, 0, 2, s0
	v_cmp_ne_u32_e64 s0, 31, v6
	ds_bpermute_b32 v9, v3, v8
	v_add_lshl_u32 v5, v5, v6, 2
	v_add_co_ci_u32_e64 v6, null, 0, v6, s0
	s_wait_dscnt 0x0
	s_delay_alu instid0(VALU_DEP_1)
	v_dual_lshlrev_b32 v6, 2, v6 :: v_dual_add_f32 v8, v8, v9
	ds_bpermute_b32 v9, v5, v8
	s_wait_dscnt 0x0
	v_add_f32_e32 v8, v8, v9
	ds_bpermute_b32 v9, v6, v8
	v_cmpx_eq_u32_e32 0, v7
	s_cbranch_execz .LBB218_10
; %bb.9:
	s_wait_dscnt 0x0
	v_dual_add_f32 v8, v8, v9 :: v_dual_lshrrev_b32 v7, 3, v0
	s_delay_alu instid0(VALU_DEP_1)
	v_and_b32_e32 v7, 0x7c, v7
	ds_store_b32 v7, v8
.LBB218_10:
	s_or_b32 exec_lo, exec_lo, s1
	v_mov_b32_e32 v7, 0
	s_wait_dscnt 0x0
	s_barrier_signal -1
	s_barrier_wait -1
	s_and_saveexec_b32 s0, vcc_lo
; %bb.11:
	ds_load_b32 v7, v1
; %bb.12:
	s_or_b32 exec_lo, exec_lo, s0
	s_and_saveexec_b32 s0, vcc_lo
	s_cbranch_execz .LBB218_14
; %bb.13:
	s_wait_dscnt 0x0
	ds_bpermute_b32 v1, v2, v7
	s_wait_dscnt 0x0
	v_add_f32_e32 v1, v7, v1
	ds_bpermute_b32 v2, v4, v1
	s_wait_dscnt 0x0
	v_add_f32_e32 v1, v1, v2
	;; [unrolled: 3-line block ×5, first 2 shown]
.LBB218_14:
	s_or_b32 exec_lo, exec_lo, s0
	s_delay_alu instid0(SALU_CYCLE_1)
	s_mov_b32 s0, exec_lo
	v_cmpx_eq_u32_e32 0, v0
	s_cbranch_execz .LBB218_16
; %bb.15:
	v_mov_b32_e32 v0, 0
	s_lshl_b64 s[0:1], s[2:3], 2
	s_wait_kmcnt 0x0
	s_add_nc_u64 s[0:1], s[4:5], s[0:1]
	s_wait_dscnt 0x0
	global_store_b32 v0, v7, s[0:1]
.LBB218_16:
	s_endpgm
	.section	.rodata,"a",@progbits
	.p2align	6, 0x0
	.amdhsa_kernel _ZL30rocblas_reduction_kernel_part2ILi1024ELi4E25rocblas_finalize_identityffEviPT2_PT3_
		.amdhsa_group_segment_fixed_size 128
		.amdhsa_private_segment_fixed_size 0
		.amdhsa_kernarg_size 24
		.amdhsa_user_sgpr_count 2
		.amdhsa_user_sgpr_dispatch_ptr 0
		.amdhsa_user_sgpr_queue_ptr 0
		.amdhsa_user_sgpr_kernarg_segment_ptr 1
		.amdhsa_user_sgpr_dispatch_id 0
		.amdhsa_user_sgpr_kernarg_preload_length 0
		.amdhsa_user_sgpr_kernarg_preload_offset 0
		.amdhsa_user_sgpr_private_segment_size 0
		.amdhsa_wavefront_size32 1
		.amdhsa_uses_dynamic_stack 0
		.amdhsa_enable_private_segment 0
		.amdhsa_system_sgpr_workgroup_id_x 1
		.amdhsa_system_sgpr_workgroup_id_y 0
		.amdhsa_system_sgpr_workgroup_id_z 0
		.amdhsa_system_sgpr_workgroup_info 0
		.amdhsa_system_vgpr_workitem_id 0
		.amdhsa_next_free_vgpr 10
		.amdhsa_next_free_sgpr 16
		.amdhsa_named_barrier_count 0
		.amdhsa_reserve_vcc 1
		.amdhsa_float_round_mode_32 0
		.amdhsa_float_round_mode_16_64 0
		.amdhsa_float_denorm_mode_32 3
		.amdhsa_float_denorm_mode_16_64 3
		.amdhsa_fp16_overflow 0
		.amdhsa_memory_ordered 1
		.amdhsa_forward_progress 1
		.amdhsa_inst_pref_size 7
		.amdhsa_round_robin_scheduling 0
		.amdhsa_exception_fp_ieee_invalid_op 0
		.amdhsa_exception_fp_denorm_src 0
		.amdhsa_exception_fp_ieee_div_zero 0
		.amdhsa_exception_fp_ieee_overflow 0
		.amdhsa_exception_fp_ieee_underflow 0
		.amdhsa_exception_fp_ieee_inexact 0
		.amdhsa_exception_int_div_zero 0
	.end_amdhsa_kernel
	.section	.text._ZL30rocblas_reduction_kernel_part2ILi1024ELi4E25rocblas_finalize_identityffEviPT2_PT3_,"axG",@progbits,_ZL30rocblas_reduction_kernel_part2ILi1024ELi4E25rocblas_finalize_identityffEviPT2_PT3_,comdat
.Lfunc_end218:
	.size	_ZL30rocblas_reduction_kernel_part2ILi1024ELi4E25rocblas_finalize_identityffEviPT2_PT3_, .Lfunc_end218-_ZL30rocblas_reduction_kernel_part2ILi1024ELi4E25rocblas_finalize_identityffEviPT2_PT3_
                                        ; -- End function
	.set _ZL30rocblas_reduction_kernel_part2ILi1024ELi4E25rocblas_finalize_identityffEviPT2_PT3_.num_vgpr, 10
	.set _ZL30rocblas_reduction_kernel_part2ILi1024ELi4E25rocblas_finalize_identityffEviPT2_PT3_.num_agpr, 0
	.set _ZL30rocblas_reduction_kernel_part2ILi1024ELi4E25rocblas_finalize_identityffEviPT2_PT3_.numbered_sgpr, 16
	.set _ZL30rocblas_reduction_kernel_part2ILi1024ELi4E25rocblas_finalize_identityffEviPT2_PT3_.num_named_barrier, 0
	.set _ZL30rocblas_reduction_kernel_part2ILi1024ELi4E25rocblas_finalize_identityffEviPT2_PT3_.private_seg_size, 0
	.set _ZL30rocblas_reduction_kernel_part2ILi1024ELi4E25rocblas_finalize_identityffEviPT2_PT3_.uses_vcc, 1
	.set _ZL30rocblas_reduction_kernel_part2ILi1024ELi4E25rocblas_finalize_identityffEviPT2_PT3_.uses_flat_scratch, 0
	.set _ZL30rocblas_reduction_kernel_part2ILi1024ELi4E25rocblas_finalize_identityffEviPT2_PT3_.has_dyn_sized_stack, 0
	.set _ZL30rocblas_reduction_kernel_part2ILi1024ELi4E25rocblas_finalize_identityffEviPT2_PT3_.has_recursion, 0
	.set _ZL30rocblas_reduction_kernel_part2ILi1024ELi4E25rocblas_finalize_identityffEviPT2_PT3_.has_indirect_call, 0
	.section	.AMDGPU.csdata,"",@progbits
; Kernel info:
; codeLenInByte = 784
; TotalNumSgprs: 18
; NumVgprs: 10
; ScratchSize: 0
; MemoryBound: 0
; FloatMode: 240
; IeeeMode: 1
; LDSByteSize: 128 bytes/workgroup (compile time only)
; SGPRBlocks: 0
; VGPRBlocks: 0
; NumSGPRsForWavesPerEU: 18
; NumVGPRsForWavesPerEU: 10
; NamedBarCnt: 0
; Occupancy: 16
; WaveLimiterHint : 0
; COMPUTE_PGM_RSRC2:SCRATCH_EN: 0
; COMPUTE_PGM_RSRC2:USER_SGPR: 2
; COMPUTE_PGM_RSRC2:TRAP_HANDLER: 0
; COMPUTE_PGM_RSRC2:TGID_X_EN: 1
; COMPUTE_PGM_RSRC2:TGID_Y_EN: 0
; COMPUTE_PGM_RSRC2:TGID_Z_EN: 0
; COMPUTE_PGM_RSRC2:TIDIG_COMP_CNT: 0
	.section	.text._ZL23rocblas_dot_kernel_inc1ILb0ELi512ELi4ELb1EfPKffEviT4_llS2_lliPT5_PT3_,"axG",@progbits,_ZL23rocblas_dot_kernel_inc1ILb0ELi512ELi4ELb1EfPKffEviT4_llS2_lliPT5_PT3_,comdat
	.globl	_ZL23rocblas_dot_kernel_inc1ILb0ELi512ELi4ELb1EfPKffEviT4_llS2_lliPT5_PT3_ ; -- Begin function _ZL23rocblas_dot_kernel_inc1ILb0ELi512ELi4ELb1EfPKffEviT4_llS2_lliPT5_PT3_
	.p2align	8
	.type	_ZL23rocblas_dot_kernel_inc1ILb0ELi512ELi4ELb1EfPKffEviT4_llS2_lliPT5_PT3_,@function
_ZL23rocblas_dot_kernel_inc1ILb0ELi512ELi4ELb1EfPKffEviT4_llS2_lliPT5_PT3_: ; @_ZL23rocblas_dot_kernel_inc1ILb0ELi512ELi4ELb1EfPKffEviT4_llS2_lliPT5_PT3_
; %bb.0:
	s_load_b32 s28, s[0:1], 0x38
	s_bfe_u32 s2, ttmp6, 0x40014
	s_lshr_b32 s3, ttmp7, 16
	s_add_co_i32 s2, s2, 1
	s_bfe_u32 s5, ttmp6, 0x40008
	s_mul_i32 s4, s3, s2
	s_getreg_b32 s2, hwreg(HW_REG_IB_STS2, 6, 4)
	s_add_co_i32 s5, s5, s4
	s_cmp_eq_u32 s2, 0
	s_mov_b32 s17, 0
	s_cselect_b32 s16, s3, s5
	s_wait_kmcnt 0x0
	s_cmp_ge_u32 s16, s28
	s_cbranch_scc1 .LBB219_20
; %bb.1:
	v_mbcnt_lo_u32_b32 v3, -1, 0
	s_clause 0x6
	s_load_b32 s18, s[0:1], 0x50
	s_load_b64 s[22:23], s[0:1], 0x8
	s_load_b32 s29, s[0:1], 0x0
	s_load_b64 s[24:25], s[0:1], 0x20
	s_load_b128 s[8:11], s[0:1], 0x10
	s_load_b128 s[4:7], s[0:1], 0x40
	;; [unrolled: 1-line block ×3, first 2 shown]
	s_wait_xcnt 0x0
	s_bfe_u32 s0, ttmp6, 0x4000c
	s_and_b32 s1, ttmp6, 15
	s_add_co_i32 s3, s0, 1
	v_cmp_gt_u32_e32 vcc_lo, 24, v3
	s_mul_i32 s3, ttmp9, s3
	v_dual_lshrrev_b32 v10, 3, v0 :: v_dual_bitop2_b32 v1, 31, v0 bitop3:0x40
	s_add_co_i32 s1, s1, s3
	v_cndmask_b32_e64 v6, 0, 8, vcc_lo
	v_cmp_gt_u32_e32 vcc_lo, 28, v3
	s_cmp_eq_u32 s2, 0
	s_mov_b32 s27, s17
	s_cselect_b32 s26, ttmp9, s1
	s_wait_kmcnt 0x0
	s_cmp_lg_u32 s18, 1
	v_cndmask_b32_e64 v7, 0, 4, vcc_lo
	v_cmp_gt_u32_e32 vcc_lo, 30, v3
	s_cselect_b32 s30, -1, 0
	s_lshl_b32 s20, s18, 9
	v_cmp_gt_u32_e64 s0, 32, v0
	s_lshl_b64 s[12:13], s[12:13], 2
	v_cndmask_b32_e64 v8, 0, 2, vcc_lo
	v_cmp_ne_u32_e32 vcc_lo, 31, v3
	v_dual_lshlrev_b32 v4, 2, v1 :: v_dual_bitop2_b32 v10, 60, v10 bitop3:0x40
	v_lshl_or_b32 v2, s26, 9, v0
	v_lshl_or_b32 v5, v3, 2, 64
	v_add_co_ci_u32_e64 v9, null, 0, v3, vcc_lo
	v_add_lshl_u32 v6, v6, v3, 2
	v_add_lshl_u32 v7, v7, v3, 2
	;; [unrolled: 1-line block ×3, first 2 shown]
	s_delay_alu instid0(VALU_DEP_4)
	v_dual_lshlrev_b32 v9, 2, v9 :: v_dual_mov_b32 v11, 0
	v_cmp_eq_u32_e64 s1, 0, v1
	v_cmp_gt_u32_e64 s2, 16, v0
	v_cmp_eq_u32_e64 s3, 0, v0
	s_lshl_b64 s[26:27], s[26:27], 2
	s_add_nc_u64 s[12:13], s[24:25], s[12:13]
	s_ashr_i32 s21, s20, 31
	s_lshl_b64 s[24:25], s[8:9], 2
	s_mov_b32 s19, s17
	s_add_nc_u64 s[4:5], s[4:5], s[26:27]
	s_lshl_b64 s[14:15], s[14:15], 2
	s_lshl_b64 s[8:9], s[20:21], 2
	s_add_nc_u64 s[22:23], s[22:23], s[24:25]
	s_lshl_b64 s[10:11], s[10:11], 2
	s_branch .LBB219_3
.LBB219_2:                              ;   in Loop: Header=BB219_3 Depth=1
	s_wait_xcnt 0x0
	s_or_b32 exec_lo, exec_lo, s21
	s_add_co_i32 s16, s16, 0x10000
	s_delay_alu instid0(SALU_CYCLE_1)
	s_cmp_lt_u32 s16, s28
	s_cbranch_scc0 .LBB219_20
.LBB219_3:                              ; =>This Loop Header: Depth=1
                                        ;     Child Loop BB219_5 Depth 2
	v_mov_b32_e32 v3, 0
	s_mov_b32 s21, exec_lo
	v_cmpx_gt_i32_e64 s29, v2
	s_cbranch_execz .LBB219_7
; %bb.4:                                ;   in Loop: Header=BB219_3 Depth=1
	v_ashrrev_i32_e32 v3, 31, v2
	s_mul_u64 s[24:25], s[14:15], s[16:17]
	s_mul_u64 s[26:27], s[10:11], s[16:17]
	s_add_nc_u64 s[24:25], s[12:13], s[24:25]
	s_add_nc_u64 s[26:27], s[22:23], s[26:27]
	s_wait_dscnt 0x0
	v_lshlrev_b64_e32 v[0:1], 2, v[2:3]
	v_mov_b32_e32 v3, 0
	s_mov_b32 s31, 0
	s_mov_b32 s33, 0
.LBB219_5:                              ;   Parent Loop BB219_3 Depth=1
                                        ; =>  This Inner Loop Header: Depth=2
	s_delay_alu instid0(VALU_DEP_2)
	v_add_nc_u64_e32 v[12:13], s[24:25], v[0:1]
	v_add_nc_u64_e32 v[14:15], s[26:27], v[0:1]
	s_add_co_i32 s34, s33, 1
	s_cmp_gt_u32 s33, 2
	v_add_nc_u64_e32 v[0:1], s[8:9], v[0:1]
	s_cselect_b32 s33, -1, 0
	global_load_b32 v16, v[12:13], off
	global_load_b32 v17, v[14:15], off
	s_wait_loadcnt 0x0
	v_dual_fmac_f32 v3, v16, v17 :: v_dual_add_nc_u32 v2, s20, v2
	s_delay_alu instid0(VALU_DEP_1) | instskip(SKIP_1) | instid1(SALU_CYCLE_1)
	v_cmp_le_i32_e32 vcc_lo, s29, v2
	s_or_b32 s33, s33, vcc_lo
	s_and_b32 s33, exec_lo, s33
	s_delay_alu instid0(SALU_CYCLE_1)
	s_or_b32 s31, s33, s31
	s_mov_b32 s33, s34
	s_wait_xcnt 0x0
	s_and_not1_b32 exec_lo, exec_lo, s31
	s_cbranch_execnz .LBB219_5
; %bb.6:                                ;   in Loop: Header=BB219_3 Depth=1
	s_or_b32 exec_lo, exec_lo, s31
.LBB219_7:                              ;   in Loop: Header=BB219_3 Depth=1
	s_delay_alu instid0(SALU_CYCLE_1)
	s_or_b32 exec_lo, exec_lo, s21
	s_and_saveexec_b32 s21, s0
; %bb.8:                                ;   in Loop: Header=BB219_3 Depth=1
	ds_store_b32 v4, v11
; %bb.9:                                ;   in Loop: Header=BB219_3 Depth=1
	s_or_b32 exec_lo, exec_lo, s21
	s_wait_dscnt 0x0
	ds_bpermute_b32 v0, v5, v3
	s_wait_dscnt 0x0
	s_barrier_signal -1
	s_barrier_wait -1
	v_add_f32_e32 v0, v3, v0
	ds_bpermute_b32 v1, v6, v0
	s_wait_dscnt 0x0
	v_add_f32_e32 v0, v0, v1
	ds_bpermute_b32 v1, v7, v0
	s_wait_dscnt 0x0
	;; [unrolled: 3-line block ×3, first 2 shown]
	v_add_f32_e32 v0, v0, v1
	ds_bpermute_b32 v1, v9, v0
	s_and_saveexec_b32 s21, s1
	s_cbranch_execz .LBB219_11
; %bb.10:                               ;   in Loop: Header=BB219_3 Depth=1
	s_wait_dscnt 0x0
	v_add_f32_e32 v0, v0, v1
	ds_store_b32 v10, v0
.LBB219_11:                             ;   in Loop: Header=BB219_3 Depth=1
	s_or_b32 exec_lo, exec_lo, s21
	v_mov_b32_e32 v0, 0
	s_wait_dscnt 0x0
	s_barrier_signal -1
	s_barrier_wait -1
	s_and_saveexec_b32 s21, s2
	s_cbranch_execnz .LBB219_14
; %bb.12:                               ;   in Loop: Header=BB219_3 Depth=1
	s_or_b32 exec_lo, exec_lo, s21
	s_and_saveexec_b32 s21, s0
	s_cbranch_execnz .LBB219_15
.LBB219_13:                             ;   in Loop: Header=BB219_3 Depth=1
	s_or_b32 exec_lo, exec_lo, s21
	s_and_saveexec_b32 s21, s3
	s_cbranch_execz .LBB219_2
	s_branch .LBB219_16
.LBB219_14:                             ;   in Loop: Header=BB219_3 Depth=1
	ds_load_b32 v0, v4
	s_or_b32 exec_lo, exec_lo, s21
	s_and_saveexec_b32 s21, s0
	s_cbranch_execz .LBB219_13
.LBB219_15:                             ;   in Loop: Header=BB219_3 Depth=1
	s_wait_dscnt 0x0
	ds_bpermute_b32 v1, v6, v0
	s_wait_dscnt 0x0
	v_add_f32_e32 v0, v0, v1
	ds_bpermute_b32 v1, v7, v0
	s_wait_dscnt 0x0
	v_add_f32_e32 v0, v0, v1
	;; [unrolled: 3-line block ×4, first 2 shown]
	s_or_b32 exec_lo, exec_lo, s21
	s_and_saveexec_b32 s21, s3
	s_cbranch_execz .LBB219_2
.LBB219_16:                             ;   in Loop: Header=BB219_3 Depth=1
	s_and_b32 vcc_lo, exec_lo, s30
	s_mov_b32 s24, -1
	s_cbranch_vccz .LBB219_18
; %bb.17:                               ;   in Loop: Header=BB219_3 Depth=1
	s_mul_u64 s[24:25], s[18:19], s[16:17]
	s_delay_alu instid0(SALU_CYCLE_1) | instskip(NEXT) | instid1(SALU_CYCLE_1)
	s_lshl_b64 s[24:25], s[24:25], 2
	s_add_nc_u64 s[26:27], s[4:5], s[24:25]
	s_mov_b32 s24, 0
	s_wait_dscnt 0x0
	global_store_b32 v11, v0, s[26:27]
.LBB219_18:                             ;   in Loop: Header=BB219_3 Depth=1
	s_and_not1_b32 vcc_lo, exec_lo, s24
	s_cbranch_vccnz .LBB219_2
; %bb.19:                               ;   in Loop: Header=BB219_3 Depth=1
	s_lshl_b64 s[24:25], s[16:17], 2
	s_delay_alu instid0(SALU_CYCLE_1)
	s_add_nc_u64 s[24:25], s[6:7], s[24:25]
	s_wait_dscnt 0x0
	global_store_b32 v11, v0, s[24:25]
	s_branch .LBB219_2
.LBB219_20:
	s_endpgm
	.section	.rodata,"a",@progbits
	.p2align	6, 0x0
	.amdhsa_kernel _ZL23rocblas_dot_kernel_inc1ILb0ELi512ELi4ELb1EfPKffEviT4_llS2_lliPT5_PT3_
		.amdhsa_group_segment_fixed_size 128
		.amdhsa_private_segment_fixed_size 0
		.amdhsa_kernarg_size 336
		.amdhsa_user_sgpr_count 2
		.amdhsa_user_sgpr_dispatch_ptr 0
		.amdhsa_user_sgpr_queue_ptr 0
		.amdhsa_user_sgpr_kernarg_segment_ptr 1
		.amdhsa_user_sgpr_dispatch_id 0
		.amdhsa_user_sgpr_kernarg_preload_length 0
		.amdhsa_user_sgpr_kernarg_preload_offset 0
		.amdhsa_user_sgpr_private_segment_size 0
		.amdhsa_wavefront_size32 1
		.amdhsa_uses_dynamic_stack 0
		.amdhsa_enable_private_segment 0
		.amdhsa_system_sgpr_workgroup_id_x 1
		.amdhsa_system_sgpr_workgroup_id_y 0
		.amdhsa_system_sgpr_workgroup_id_z 1
		.amdhsa_system_sgpr_workgroup_info 0
		.amdhsa_system_vgpr_workitem_id 0
		.amdhsa_next_free_vgpr 18
		.amdhsa_next_free_sgpr 35
		.amdhsa_named_barrier_count 0
		.amdhsa_reserve_vcc 1
		.amdhsa_float_round_mode_32 0
		.amdhsa_float_round_mode_16_64 0
		.amdhsa_float_denorm_mode_32 3
		.amdhsa_float_denorm_mode_16_64 3
		.amdhsa_fp16_overflow 0
		.amdhsa_memory_ordered 1
		.amdhsa_forward_progress 1
		.amdhsa_inst_pref_size 8
		.amdhsa_round_robin_scheduling 0
		.amdhsa_exception_fp_ieee_invalid_op 0
		.amdhsa_exception_fp_denorm_src 0
		.amdhsa_exception_fp_ieee_div_zero 0
		.amdhsa_exception_fp_ieee_overflow 0
		.amdhsa_exception_fp_ieee_underflow 0
		.amdhsa_exception_fp_ieee_inexact 0
		.amdhsa_exception_int_div_zero 0
	.end_amdhsa_kernel
	.section	.text._ZL23rocblas_dot_kernel_inc1ILb0ELi512ELi4ELb1EfPKffEviT4_llS2_lliPT5_PT3_,"axG",@progbits,_ZL23rocblas_dot_kernel_inc1ILb0ELi512ELi4ELb1EfPKffEviT4_llS2_lliPT5_PT3_,comdat
.Lfunc_end219:
	.size	_ZL23rocblas_dot_kernel_inc1ILb0ELi512ELi4ELb1EfPKffEviT4_llS2_lliPT5_PT3_, .Lfunc_end219-_ZL23rocblas_dot_kernel_inc1ILb0ELi512ELi4ELb1EfPKffEviT4_llS2_lliPT5_PT3_
                                        ; -- End function
	.set _ZL23rocblas_dot_kernel_inc1ILb0ELi512ELi4ELb1EfPKffEviT4_llS2_lliPT5_PT3_.num_vgpr, 18
	.set _ZL23rocblas_dot_kernel_inc1ILb0ELi512ELi4ELb1EfPKffEviT4_llS2_lliPT5_PT3_.num_agpr, 0
	.set _ZL23rocblas_dot_kernel_inc1ILb0ELi512ELi4ELb1EfPKffEviT4_llS2_lliPT5_PT3_.numbered_sgpr, 35
	.set _ZL23rocblas_dot_kernel_inc1ILb0ELi512ELi4ELb1EfPKffEviT4_llS2_lliPT5_PT3_.num_named_barrier, 0
	.set _ZL23rocblas_dot_kernel_inc1ILb0ELi512ELi4ELb1EfPKffEviT4_llS2_lliPT5_PT3_.private_seg_size, 0
	.set _ZL23rocblas_dot_kernel_inc1ILb0ELi512ELi4ELb1EfPKffEviT4_llS2_lliPT5_PT3_.uses_vcc, 1
	.set _ZL23rocblas_dot_kernel_inc1ILb0ELi512ELi4ELb1EfPKffEviT4_llS2_lliPT5_PT3_.uses_flat_scratch, 0
	.set _ZL23rocblas_dot_kernel_inc1ILb0ELi512ELi4ELb1EfPKffEviT4_llS2_lliPT5_PT3_.has_dyn_sized_stack, 0
	.set _ZL23rocblas_dot_kernel_inc1ILb0ELi512ELi4ELb1EfPKffEviT4_llS2_lliPT5_PT3_.has_recursion, 0
	.set _ZL23rocblas_dot_kernel_inc1ILb0ELi512ELi4ELb1EfPKffEviT4_llS2_lliPT5_PT3_.has_indirect_call, 0
	.section	.AMDGPU.csdata,"",@progbits
; Kernel info:
; codeLenInByte = 976
; TotalNumSgprs: 37
; NumVgprs: 18
; ScratchSize: 0
; MemoryBound: 0
; FloatMode: 240
; IeeeMode: 1
; LDSByteSize: 128 bytes/workgroup (compile time only)
; SGPRBlocks: 0
; VGPRBlocks: 1
; NumSGPRsForWavesPerEU: 37
; NumVGPRsForWavesPerEU: 18
; NamedBarCnt: 0
; Occupancy: 16
; WaveLimiterHint : 0
; COMPUTE_PGM_RSRC2:SCRATCH_EN: 0
; COMPUTE_PGM_RSRC2:USER_SGPR: 2
; COMPUTE_PGM_RSRC2:TRAP_HANDLER: 0
; COMPUTE_PGM_RSRC2:TGID_X_EN: 1
; COMPUTE_PGM_RSRC2:TGID_Y_EN: 0
; COMPUTE_PGM_RSRC2:TGID_Z_EN: 1
; COMPUTE_PGM_RSRC2:TIDIG_COMP_CNT: 0
	.section	.text._ZL18rocblas_dot_kernelIiLb0ELi512ELi4ELb1EfPKffEviT5_lT_lS2_lS3_liPT6_PT4_,"axG",@progbits,_ZL18rocblas_dot_kernelIiLb0ELi512ELi4ELb1EfPKffEviT5_lT_lS2_lS3_liPT6_PT4_,comdat
	.globl	_ZL18rocblas_dot_kernelIiLb0ELi512ELi4ELb1EfPKffEviT5_lT_lS2_lS3_liPT6_PT4_ ; -- Begin function _ZL18rocblas_dot_kernelIiLb0ELi512ELi4ELb1EfPKffEviT5_lT_lS2_lS3_liPT6_PT4_
	.p2align	8
	.type	_ZL18rocblas_dot_kernelIiLb0ELi512ELi4ELb1EfPKffEviT5_lT_lS2_lS3_liPT6_PT4_,@function
_ZL18rocblas_dot_kernelIiLb0ELi512ELi4ELb1EfPKffEviT5_lT_lS2_lS3_liPT6_PT4_: ; @_ZL18rocblas_dot_kernelIiLb0ELi512ELi4ELb1EfPKffEviT5_lT_lS2_lS3_liPT6_PT4_
; %bb.0:
	s_load_b32 s30, s[0:1], 0x48
	s_bfe_u32 s2, ttmp6, 0x40014
	s_lshr_b32 s3, ttmp7, 16
	s_add_co_i32 s2, s2, 1
	s_bfe_u32 s5, ttmp6, 0x40008
	s_mul_i32 s4, s3, s2
	s_getreg_b32 s2, hwreg(HW_REG_IB_STS2, 6, 4)
	s_add_co_i32 s5, s5, s4
	s_cmp_eq_u32 s2, 0
	s_mov_b32 s21, 0
	s_cselect_b32 s20, s3, s5
	s_wait_kmcnt 0x0
	s_cmp_ge_u32 s20, s30
	s_cbranch_scc1 .LBB220_20
; %bb.1:
	v_mbcnt_lo_u32_b32 v2, -1, 0
	s_clause 0x7
	s_load_b32 s24, s[0:1], 0x18
	s_load_b96 s[16:18], s[0:1], 0x30
	s_load_b32 s22, s[0:1], 0x60
	s_load_b128 s[8:11], s[0:1], 0x20
	s_load_b128 s[12:15], s[0:1], 0x8
	s_load_b32 s31, s[0:1], 0x0
	s_load_b128 s[4:7], s[0:1], 0x50
	s_load_b64 s[26:27], s[0:1], 0x40
	s_wait_xcnt 0x0
	s_bfe_u32 s0, ttmp6, 0x4000c
	s_and_b32 s1, ttmp6, 15
	s_add_co_i32 s3, s0, 1
	v_cmp_gt_u32_e32 vcc_lo, 24, v2
	s_mul_i32 s3, ttmp9, s3
	v_and_b32_e32 v1, 31, v0
	s_add_co_i32 s1, s1, s3
	s_mov_b32 s35, s21
	v_cndmask_b32_e64 v3, 0, 8, vcc_lo
	v_cmp_gt_u32_e32 vcc_lo, 28, v2
	v_cmp_gt_u32_e64 s0, 32, v0
	v_lshl_or_b32 v6, v2, 2, 64
	s_wait_kmcnt 0x0
	s_ashr_i32 s25, s24, 31
	s_ashr_i32 s29, s18, 31
	v_cndmask_b32_e64 v8, 0, 4, vcc_lo
	v_cmp_gt_u32_e32 vcc_lo, 30, v2
	s_cmp_eq_u32 s2, 0
	s_mov_b32 s28, s18
	s_cselect_b32 s34, ttmp9, s1
	s_cmp_lg_u32 s22, 1
	v_cndmask_b32_e64 v9, 0, 2, vcc_lo
	v_cmp_ne_u32_e32 vcc_lo, 31, v2
	s_cselect_b32 s33, -1, 0
	s_lshl_b32 s18, s22, 9
	v_add_lshl_u32 v7, v3, v2, 2
	v_lshrrev_b32_e32 v3, 3, v0
	v_add_co_ci_u32_e64 v10, null, 0, v2, vcc_lo
	s_lshl_b64 s[14:15], s[14:15], 2
	s_ashr_i32 s19, s18, 31
	v_lshl_or_b32 v4, s34, 9, v0
	s_lshl_b64 s[34:35], s[34:35], 2
	s_add_nc_u64 s[12:13], s[12:13], s[14:15]
	s_lshl_b64 s[14:15], s[24:25], 2
	s_mul_u64 s[24:25], s[24:25], s[18:19]
	v_dual_lshlrev_b32 v5, 2, v1 :: v_dual_lshlrev_b32 v10, 2, v10
	v_add_lshl_u32 v8, v8, v2, 2
	v_add_lshl_u32 v9, v9, v2, 2
	v_cmp_eq_u32_e64 s1, 0, v1
	v_dual_mov_b32 v12, 0 :: v_dual_bitop2_b32 v11, 60, v3 bitop3:0x40
	v_cmp_gt_u32_e64 s2, 16, v0
	v_cmp_eq_u32_e64 s3, 0, v0
	s_add_nc_u64 s[4:5], s[4:5], s[34:35]
	s_lshl_b64 s[34:35], s[16:17], 2
	s_lshl_b64 s[16:17], s[24:25], 2
	s_lshl_b64 s[24:25], s[28:29], 2
	s_mul_u64 s[28:29], s[28:29], s[18:19]
	s_mov_b32 s23, s21
	s_lshl_b64 s[8:9], s[8:9], 2
	s_add_nc_u64 s[10:11], s[10:11], s[34:35]
	s_lshl_b64 s[26:27], s[26:27], 2
	s_lshl_b64 s[28:29], s[28:29], 2
	s_branch .LBB220_3
.LBB220_2:                              ;   in Loop: Header=BB220_3 Depth=1
	s_wait_xcnt 0x0
	s_or_b32 exec_lo, exec_lo, s19
	s_add_co_i32 s20, s20, 0x10000
	s_delay_alu instid0(SALU_CYCLE_1)
	s_cmp_lt_u32 s20, s30
	s_cbranch_scc0 .LBB220_20
.LBB220_3:                              ; =>This Loop Header: Depth=1
                                        ;     Child Loop BB220_5 Depth 2
	v_mov_b32_e32 v13, 0
	s_mov_b32 s19, exec_lo
	v_cmpx_gt_i32_e64 s31, v4
	s_cbranch_execz .LBB220_7
; %bb.4:                                ;   in Loop: Header=BB220_3 Depth=1
	s_mul_u64 s[34:35], s[8:9], s[20:21]
	s_mul_u64 s[36:37], s[26:27], s[20:21]
	s_add_nc_u64 s[34:35], s[12:13], s[34:35]
	s_add_nc_u64 s[36:37], s[10:11], s[36:37]
	s_wait_dscnt 0x0
	v_mad_nc_u64_u32 v[0:1], s14, v4, s[34:35]
	v_mad_nc_u64_u32 v[2:3], s24, v4, s[36:37]
	v_ashrrev_i32_e32 v13, 31, v4
	s_mov_b32 s34, 0
	s_mov_b32 s35, 0
	s_delay_alu instid0(VALU_DEP_3) | instskip(NEXT) | instid1(VALU_DEP_3)
	v_mad_u32 v1, s15, v4, v1
	v_mad_u32 v3, s25, v4, v3
	s_delay_alu instid0(VALU_DEP_2) | instskip(NEXT) | instid1(VALU_DEP_2)
	v_mad_u32 v1, s14, v13, v1
	v_mad_u32 v3, s24, v13, v3
	v_mov_b32_e32 v13, 0
.LBB220_5:                              ;   Parent Loop BB220_3 Depth=1
                                        ; =>  This Inner Loop Header: Depth=2
	global_load_b32 v14, v[2:3], off
	global_load_b32 v15, v[0:1], off
	v_add_nc_u32_e32 v4, s18, v4
	s_add_co_i32 s36, s35, 1
	s_cmp_gt_u32 s35, 2
	s_wait_xcnt 0x0
	v_add_nc_u64_e32 v[0:1], s[16:17], v[0:1]
	s_cselect_b32 s35, -1, 0
	v_add_nc_u64_e32 v[2:3], s[28:29], v[2:3]
	s_wait_loadcnt 0x0
	v_fmac_f32_e32 v13, v14, v15
	v_cmp_le_i32_e32 vcc_lo, s31, v4
	s_or_b32 s35, s35, vcc_lo
	s_delay_alu instid0(SALU_CYCLE_1) | instskip(NEXT) | instid1(SALU_CYCLE_1)
	s_and_b32 s35, exec_lo, s35
	s_or_b32 s34, s35, s34
	s_mov_b32 s35, s36
	s_and_not1_b32 exec_lo, exec_lo, s34
	s_cbranch_execnz .LBB220_5
; %bb.6:                                ;   in Loop: Header=BB220_3 Depth=1
	s_or_b32 exec_lo, exec_lo, s34
.LBB220_7:                              ;   in Loop: Header=BB220_3 Depth=1
	s_delay_alu instid0(SALU_CYCLE_1)
	s_or_b32 exec_lo, exec_lo, s19
	s_and_saveexec_b32 s19, s0
; %bb.8:                                ;   in Loop: Header=BB220_3 Depth=1
	ds_store_b32 v5, v12
; %bb.9:                                ;   in Loop: Header=BB220_3 Depth=1
	s_or_b32 exec_lo, exec_lo, s19
	s_wait_dscnt 0x0
	ds_bpermute_b32 v0, v6, v13
	s_wait_dscnt 0x0
	s_barrier_signal -1
	s_barrier_wait -1
	v_add_f32_e32 v0, v13, v0
	ds_bpermute_b32 v1, v7, v0
	s_wait_dscnt 0x0
	v_add_f32_e32 v0, v0, v1
	ds_bpermute_b32 v1, v8, v0
	s_wait_dscnt 0x0
	;; [unrolled: 3-line block ×3, first 2 shown]
	v_add_f32_e32 v0, v0, v1
	ds_bpermute_b32 v1, v10, v0
	s_and_saveexec_b32 s19, s1
	s_cbranch_execz .LBB220_11
; %bb.10:                               ;   in Loop: Header=BB220_3 Depth=1
	s_wait_dscnt 0x0
	v_add_f32_e32 v0, v0, v1
	ds_store_b32 v11, v0
.LBB220_11:                             ;   in Loop: Header=BB220_3 Depth=1
	s_or_b32 exec_lo, exec_lo, s19
	v_mov_b32_e32 v0, 0
	s_wait_dscnt 0x0
	s_barrier_signal -1
	s_barrier_wait -1
	s_and_saveexec_b32 s19, s2
	s_cbranch_execnz .LBB220_14
; %bb.12:                               ;   in Loop: Header=BB220_3 Depth=1
	s_or_b32 exec_lo, exec_lo, s19
	s_and_saveexec_b32 s19, s0
	s_cbranch_execnz .LBB220_15
.LBB220_13:                             ;   in Loop: Header=BB220_3 Depth=1
	s_or_b32 exec_lo, exec_lo, s19
	s_and_saveexec_b32 s19, s3
	s_cbranch_execz .LBB220_2
	s_branch .LBB220_16
.LBB220_14:                             ;   in Loop: Header=BB220_3 Depth=1
	ds_load_b32 v0, v5
	s_or_b32 exec_lo, exec_lo, s19
	s_and_saveexec_b32 s19, s0
	s_cbranch_execz .LBB220_13
.LBB220_15:                             ;   in Loop: Header=BB220_3 Depth=1
	s_wait_dscnt 0x0
	ds_bpermute_b32 v1, v7, v0
	s_wait_dscnt 0x0
	v_add_f32_e32 v0, v0, v1
	ds_bpermute_b32 v1, v8, v0
	s_wait_dscnt 0x0
	v_add_f32_e32 v0, v0, v1
	;; [unrolled: 3-line block ×4, first 2 shown]
	s_or_b32 exec_lo, exec_lo, s19
	s_and_saveexec_b32 s19, s3
	s_cbranch_execz .LBB220_2
.LBB220_16:                             ;   in Loop: Header=BB220_3 Depth=1
	s_and_b32 vcc_lo, exec_lo, s33
	s_mov_b32 s34, -1
	s_cbranch_vccz .LBB220_18
; %bb.17:                               ;   in Loop: Header=BB220_3 Depth=1
	s_mul_u64 s[34:35], s[22:23], s[20:21]
	s_delay_alu instid0(SALU_CYCLE_1) | instskip(NEXT) | instid1(SALU_CYCLE_1)
	s_lshl_b64 s[34:35], s[34:35], 2
	s_add_nc_u64 s[36:37], s[4:5], s[34:35]
	s_mov_b32 s34, 0
	s_wait_dscnt 0x0
	global_store_b32 v12, v0, s[36:37]
.LBB220_18:                             ;   in Loop: Header=BB220_3 Depth=1
	s_and_not1_b32 vcc_lo, exec_lo, s34
	s_cbranch_vccnz .LBB220_2
; %bb.19:                               ;   in Loop: Header=BB220_3 Depth=1
	s_lshl_b64 s[34:35], s[20:21], 2
	s_delay_alu instid0(SALU_CYCLE_1)
	s_add_nc_u64 s[34:35], s[6:7], s[34:35]
	s_wait_dscnt 0x0
	global_store_b32 v12, v0, s[34:35]
	s_branch .LBB220_2
.LBB220_20:
	s_endpgm
	.section	.rodata,"a",@progbits
	.p2align	6, 0x0
	.amdhsa_kernel _ZL18rocblas_dot_kernelIiLb0ELi512ELi4ELb1EfPKffEviT5_lT_lS2_lS3_liPT6_PT4_
		.amdhsa_group_segment_fixed_size 128
		.amdhsa_private_segment_fixed_size 0
		.amdhsa_kernarg_size 352
		.amdhsa_user_sgpr_count 2
		.amdhsa_user_sgpr_dispatch_ptr 0
		.amdhsa_user_sgpr_queue_ptr 0
		.amdhsa_user_sgpr_kernarg_segment_ptr 1
		.amdhsa_user_sgpr_dispatch_id 0
		.amdhsa_user_sgpr_kernarg_preload_length 0
		.amdhsa_user_sgpr_kernarg_preload_offset 0
		.amdhsa_user_sgpr_private_segment_size 0
		.amdhsa_wavefront_size32 1
		.amdhsa_uses_dynamic_stack 0
		.amdhsa_enable_private_segment 0
		.amdhsa_system_sgpr_workgroup_id_x 1
		.amdhsa_system_sgpr_workgroup_id_y 0
		.amdhsa_system_sgpr_workgroup_id_z 1
		.amdhsa_system_sgpr_workgroup_info 0
		.amdhsa_system_vgpr_workitem_id 0
		.amdhsa_next_free_vgpr 16
		.amdhsa_next_free_sgpr 38
		.amdhsa_named_barrier_count 0
		.amdhsa_reserve_vcc 1
		.amdhsa_float_round_mode_32 0
		.amdhsa_float_round_mode_16_64 0
		.amdhsa_float_denorm_mode_32 3
		.amdhsa_float_denorm_mode_16_64 3
		.amdhsa_fp16_overflow 0
		.amdhsa_memory_ordered 1
		.amdhsa_forward_progress 1
		.amdhsa_inst_pref_size 9
		.amdhsa_round_robin_scheduling 0
		.amdhsa_exception_fp_ieee_invalid_op 0
		.amdhsa_exception_fp_denorm_src 0
		.amdhsa_exception_fp_ieee_div_zero 0
		.amdhsa_exception_fp_ieee_overflow 0
		.amdhsa_exception_fp_ieee_underflow 0
		.amdhsa_exception_fp_ieee_inexact 0
		.amdhsa_exception_int_div_zero 0
	.end_amdhsa_kernel
	.section	.text._ZL18rocblas_dot_kernelIiLb0ELi512ELi4ELb1EfPKffEviT5_lT_lS2_lS3_liPT6_PT4_,"axG",@progbits,_ZL18rocblas_dot_kernelIiLb0ELi512ELi4ELb1EfPKffEviT5_lT_lS2_lS3_liPT6_PT4_,comdat
.Lfunc_end220:
	.size	_ZL18rocblas_dot_kernelIiLb0ELi512ELi4ELb1EfPKffEviT5_lT_lS2_lS3_liPT6_PT4_, .Lfunc_end220-_ZL18rocblas_dot_kernelIiLb0ELi512ELi4ELb1EfPKffEviT5_lT_lS2_lS3_liPT6_PT4_
                                        ; -- End function
	.set _ZL18rocblas_dot_kernelIiLb0ELi512ELi4ELb1EfPKffEviT5_lT_lS2_lS3_liPT6_PT4_.num_vgpr, 16
	.set _ZL18rocblas_dot_kernelIiLb0ELi512ELi4ELb1EfPKffEviT5_lT_lS2_lS3_liPT6_PT4_.num_agpr, 0
	.set _ZL18rocblas_dot_kernelIiLb0ELi512ELi4ELb1EfPKffEviT5_lT_lS2_lS3_liPT6_PT4_.numbered_sgpr, 38
	.set _ZL18rocblas_dot_kernelIiLb0ELi512ELi4ELb1EfPKffEviT5_lT_lS2_lS3_liPT6_PT4_.num_named_barrier, 0
	.set _ZL18rocblas_dot_kernelIiLb0ELi512ELi4ELb1EfPKffEviT5_lT_lS2_lS3_liPT6_PT4_.private_seg_size, 0
	.set _ZL18rocblas_dot_kernelIiLb0ELi512ELi4ELb1EfPKffEviT5_lT_lS2_lS3_liPT6_PT4_.uses_vcc, 1
	.set _ZL18rocblas_dot_kernelIiLb0ELi512ELi4ELb1EfPKffEviT5_lT_lS2_lS3_liPT6_PT4_.uses_flat_scratch, 0
	.set _ZL18rocblas_dot_kernelIiLb0ELi512ELi4ELb1EfPKffEviT5_lT_lS2_lS3_liPT6_PT4_.has_dyn_sized_stack, 0
	.set _ZL18rocblas_dot_kernelIiLb0ELi512ELi4ELb1EfPKffEviT5_lT_lS2_lS3_liPT6_PT4_.has_recursion, 0
	.set _ZL18rocblas_dot_kernelIiLb0ELi512ELi4ELb1EfPKffEviT5_lT_lS2_lS3_liPT6_PT4_.has_indirect_call, 0
	.section	.AMDGPU.csdata,"",@progbits
; Kernel info:
; codeLenInByte = 1048
; TotalNumSgprs: 40
; NumVgprs: 16
; ScratchSize: 0
; MemoryBound: 0
; FloatMode: 240
; IeeeMode: 1
; LDSByteSize: 128 bytes/workgroup (compile time only)
; SGPRBlocks: 0
; VGPRBlocks: 0
; NumSGPRsForWavesPerEU: 40
; NumVGPRsForWavesPerEU: 16
; NamedBarCnt: 0
; Occupancy: 16
; WaveLimiterHint : 0
; COMPUTE_PGM_RSRC2:SCRATCH_EN: 0
; COMPUTE_PGM_RSRC2:USER_SGPR: 2
; COMPUTE_PGM_RSRC2:TRAP_HANDLER: 0
; COMPUTE_PGM_RSRC2:TGID_X_EN: 1
; COMPUTE_PGM_RSRC2:TGID_Y_EN: 0
; COMPUTE_PGM_RSRC2:TGID_Z_EN: 1
; COMPUTE_PGM_RSRC2:TIDIG_COMP_CNT: 0
	.section	.text._ZL24rocblas_dot_kernel_magsqIiLb0ELi512ELi4ELb1EfPKffEviT5_lT_liPT6_PT4_,"axG",@progbits,_ZL24rocblas_dot_kernel_magsqIiLb0ELi512ELi4ELb1EfPKffEviT5_lT_liPT6_PT4_,comdat
	.globl	_ZL24rocblas_dot_kernel_magsqIiLb0ELi512ELi4ELb1EfPKffEviT5_lT_liPT6_PT4_ ; -- Begin function _ZL24rocblas_dot_kernel_magsqIiLb0ELi512ELi4ELb1EfPKffEviT5_lT_liPT6_PT4_
	.p2align	8
	.type	_ZL24rocblas_dot_kernel_magsqIiLb0ELi512ELi4ELb1EfPKffEviT5_lT_liPT6_PT4_,@function
_ZL24rocblas_dot_kernel_magsqIiLb0ELi512ELi4ELb1EfPKffEviT5_lT_liPT6_PT4_: ; @_ZL24rocblas_dot_kernel_magsqIiLb0ELi512ELi4ELb1EfPKffEviT5_lT_liPT6_PT4_
; %bb.0:
	s_load_b32 s22, s[0:1], 0x28
	s_bfe_u32 s2, ttmp6, 0x40014
	s_lshr_b32 s3, ttmp7, 16
	s_add_co_i32 s2, s2, 1
	s_bfe_u32 s5, ttmp6, 0x40008
	s_mul_i32 s4, s3, s2
	s_getreg_b32 s2, hwreg(HW_REG_IB_STS2, 6, 4)
	s_add_co_i32 s5, s5, s4
	s_cmp_eq_u32 s2, 0
	s_mov_b32 s13, 0
	s_cselect_b32 s12, s3, s5
	s_wait_kmcnt 0x0
	s_cmp_ge_u32 s12, s22
	s_cbranch_scc1 .LBB221_20
; %bb.1:
	v_mbcnt_lo_u32_b32 v7, -1, 0
	s_clause 0x5
	s_load_b32 s18, s[0:1], 0x18
	s_load_b128 s[4:7], s[0:1], 0x30
	s_load_b32 s14, s[0:1], 0x40
	s_load_b128 s[8:11], s[0:1], 0x8
	s_load_b64 s[20:21], s[0:1], 0x20
	s_load_b32 s23, s[0:1], 0x0
	s_wait_xcnt 0x0
	s_bfe_u32 s0, ttmp6, 0x4000c
	s_and_b32 s1, ttmp6, 15
	s_add_co_i32 s3, s0, 1
	v_cmp_gt_u32_e32 vcc_lo, 24, v7
	s_mul_i32 s3, ttmp9, s3
	v_dual_lshrrev_b32 v10, 3, v0 :: v_dual_bitop2_b32 v1, 31, v0 bitop3:0x40
	s_add_co_i32 s1, s1, s3
	v_cndmask_b32_e64 v5, 0, 8, vcc_lo
	v_cmp_gt_u32_e32 vcc_lo, 28, v7
	s_mov_b32 s27, s13
	v_cmp_gt_u32_e64 s0, 32, v0
	v_lshlrev_b32_e32 v2, 2, v1
	v_lshl_or_b32 v3, v7, 2, 64
	v_cndmask_b32_e64 v6, 0, 4, vcc_lo
	v_cmp_gt_u32_e32 vcc_lo, 30, v7
	s_wait_kmcnt 0x0
	s_ashr_i32 s19, s18, 31
	s_cmp_eq_u32 s2, 0
	v_add_lshl_u32 v5, v5, v7, 2
	s_cselect_b32 s26, ttmp9, s1
	v_cndmask_b32_e64 v8, 0, 2, vcc_lo
	v_cmp_ne_u32_e32 vcc_lo, 31, v7
	s_cmp_lg_u32 s14, 1
	v_lshl_or_b32 v4, s26, 9, v0
	s_cselect_b32 s24, -1, 0
	s_lshl_b32 s16, s14, 9
	v_add_co_ci_u32_e64 v9, null, 0, v7, vcc_lo
	s_lshl_b64 s[26:27], s[26:27], 2
	s_ashr_i32 s17, s16, 31
	v_add_lshl_u32 v6, v6, v7, 2
	v_add_lshl_u32 v7, v8, v7, 2
	v_lshlrev_b32_e32 v8, 2, v9
	v_cmp_eq_u32_e64 s1, 0, v1
	v_and_b32_e32 v9, 60, v10
	v_cmp_gt_u32_e64 s2, 16, v0
	v_cmp_eq_u32_e64 s3, 0, v0
	v_mov_b32_e32 v10, 0
	s_lshl_b64 s[10:11], s[10:11], 2
	s_add_nc_u64 s[4:5], s[4:5], s[26:27]
	s_mul_u64 s[26:27], s[18:19], s[16:17]
	s_mov_b32 s15, s13
	s_add_nc_u64 s[8:9], s[8:9], s[10:11]
	s_lshl_b64 s[10:11], s[18:19], 2
	s_lshl_b64 s[18:19], s[20:21], 2
	;; [unrolled: 1-line block ×3, first 2 shown]
	s_branch .LBB221_3
.LBB221_2:                              ;   in Loop: Header=BB221_3 Depth=1
	s_wait_xcnt 0x0
	s_or_b32 exec_lo, exec_lo, s17
	s_add_co_i32 s12, s12, 0x10000
	s_delay_alu instid0(SALU_CYCLE_1)
	s_cmp_lt_u32 s12, s22
	s_cbranch_scc0 .LBB221_20
.LBB221_3:                              ; =>This Loop Header: Depth=1
                                        ;     Child Loop BB221_5 Depth 2
	v_mov_b32_e32 v11, 0
	s_mov_b32 s17, exec_lo
	v_cmpx_gt_i32_e64 s23, v4
	s_cbranch_execz .LBB221_7
; %bb.4:                                ;   in Loop: Header=BB221_3 Depth=1
	s_mul_u64 s[26:27], s[18:19], s[12:13]
	v_ashrrev_i32_e32 v11, 31, v4
	s_add_nc_u64 s[26:27], s[8:9], s[26:27]
	s_mov_b32 s25, 0
	s_wait_dscnt 0x0
	v_mad_nc_u64_u32 v[0:1], s10, v4, s[26:27]
	s_mov_b32 s26, 0
	s_delay_alu instid0(VALU_DEP_1) | instskip(NEXT) | instid1(VALU_DEP_1)
	v_mad_u32 v1, s11, v4, v1
	v_mad_u32 v1, s10, v11, v1
	v_mov_b32_e32 v11, 0
.LBB221_5:                              ;   Parent Loop BB221_3 Depth=1
                                        ; =>  This Inner Loop Header: Depth=2
	global_load_b32 v12, v[0:1], off
	v_add_nc_u32_e32 v4, s16, v4
	s_add_co_i32 s27, s26, 1
	s_cmp_gt_u32 s26, 2
	s_wait_xcnt 0x0
	v_add_nc_u64_e32 v[0:1], s[20:21], v[0:1]
	s_cselect_b32 s26, -1, 0
	v_cmp_le_i32_e32 vcc_lo, s23, v4
	s_or_b32 s26, s26, vcc_lo
	s_delay_alu instid0(SALU_CYCLE_1) | instskip(NEXT) | instid1(SALU_CYCLE_1)
	s_and_b32 s26, exec_lo, s26
	s_or_b32 s25, s26, s25
	s_mov_b32 s26, s27
	s_wait_loadcnt 0x0
	v_fmac_f32_e32 v11, v12, v12
	s_and_not1_b32 exec_lo, exec_lo, s25
	s_cbranch_execnz .LBB221_5
; %bb.6:                                ;   in Loop: Header=BB221_3 Depth=1
	s_or_b32 exec_lo, exec_lo, s25
.LBB221_7:                              ;   in Loop: Header=BB221_3 Depth=1
	s_delay_alu instid0(SALU_CYCLE_1)
	s_or_b32 exec_lo, exec_lo, s17
	s_and_saveexec_b32 s17, s0
; %bb.8:                                ;   in Loop: Header=BB221_3 Depth=1
	ds_store_b32 v2, v10
; %bb.9:                                ;   in Loop: Header=BB221_3 Depth=1
	s_or_b32 exec_lo, exec_lo, s17
	s_wait_dscnt 0x0
	ds_bpermute_b32 v0, v3, v11
	s_wait_dscnt 0x0
	s_barrier_signal -1
	s_barrier_wait -1
	v_add_f32_e32 v0, v11, v0
	ds_bpermute_b32 v1, v5, v0
	s_wait_dscnt 0x0
	v_add_f32_e32 v0, v0, v1
	ds_bpermute_b32 v1, v6, v0
	s_wait_dscnt 0x0
	;; [unrolled: 3-line block ×3, first 2 shown]
	v_add_f32_e32 v0, v0, v1
	ds_bpermute_b32 v1, v8, v0
	s_and_saveexec_b32 s17, s1
	s_cbranch_execz .LBB221_11
; %bb.10:                               ;   in Loop: Header=BB221_3 Depth=1
	s_wait_dscnt 0x0
	v_add_f32_e32 v0, v0, v1
	ds_store_b32 v9, v0
.LBB221_11:                             ;   in Loop: Header=BB221_3 Depth=1
	s_or_b32 exec_lo, exec_lo, s17
	v_mov_b32_e32 v0, 0
	s_wait_dscnt 0x0
	s_barrier_signal -1
	s_barrier_wait -1
	s_and_saveexec_b32 s17, s2
	s_cbranch_execnz .LBB221_14
; %bb.12:                               ;   in Loop: Header=BB221_3 Depth=1
	s_or_b32 exec_lo, exec_lo, s17
	s_and_saveexec_b32 s17, s0
	s_cbranch_execnz .LBB221_15
.LBB221_13:                             ;   in Loop: Header=BB221_3 Depth=1
	s_or_b32 exec_lo, exec_lo, s17
	s_and_saveexec_b32 s17, s3
	s_cbranch_execz .LBB221_2
	s_branch .LBB221_16
.LBB221_14:                             ;   in Loop: Header=BB221_3 Depth=1
	ds_load_b32 v0, v2
	s_or_b32 exec_lo, exec_lo, s17
	s_and_saveexec_b32 s17, s0
	s_cbranch_execz .LBB221_13
.LBB221_15:                             ;   in Loop: Header=BB221_3 Depth=1
	s_wait_dscnt 0x0
	ds_bpermute_b32 v1, v5, v0
	s_wait_dscnt 0x0
	v_add_f32_e32 v0, v0, v1
	ds_bpermute_b32 v1, v6, v0
	s_wait_dscnt 0x0
	v_add_f32_e32 v0, v0, v1
	;; [unrolled: 3-line block ×4, first 2 shown]
	s_or_b32 exec_lo, exec_lo, s17
	s_and_saveexec_b32 s17, s3
	s_cbranch_execz .LBB221_2
.LBB221_16:                             ;   in Loop: Header=BB221_3 Depth=1
	s_and_b32 vcc_lo, exec_lo, s24
	s_mov_b32 s25, -1
	s_cbranch_vccz .LBB221_18
; %bb.17:                               ;   in Loop: Header=BB221_3 Depth=1
	s_mul_u64 s[26:27], s[14:15], s[12:13]
	s_mov_b32 s25, 0
	s_lshl_b64 s[26:27], s[26:27], 2
	s_delay_alu instid0(SALU_CYCLE_1)
	s_add_nc_u64 s[26:27], s[4:5], s[26:27]
	s_wait_dscnt 0x0
	global_store_b32 v10, v0, s[26:27]
.LBB221_18:                             ;   in Loop: Header=BB221_3 Depth=1
	s_and_not1_b32 vcc_lo, exec_lo, s25
	s_cbranch_vccnz .LBB221_2
; %bb.19:                               ;   in Loop: Header=BB221_3 Depth=1
	s_wait_xcnt 0x0
	s_lshl_b64 s[26:27], s[12:13], 2
	s_delay_alu instid0(SALU_CYCLE_1)
	s_add_nc_u64 s[26:27], s[6:7], s[26:27]
	s_wait_dscnt 0x0
	global_store_b32 v10, v0, s[26:27]
	s_branch .LBB221_2
.LBB221_20:
	s_endpgm
	.section	.rodata,"a",@progbits
	.p2align	6, 0x0
	.amdhsa_kernel _ZL24rocblas_dot_kernel_magsqIiLb0ELi512ELi4ELb1EfPKffEviT5_lT_liPT6_PT4_
		.amdhsa_group_segment_fixed_size 128
		.amdhsa_private_segment_fixed_size 0
		.amdhsa_kernarg_size 320
		.amdhsa_user_sgpr_count 2
		.amdhsa_user_sgpr_dispatch_ptr 0
		.amdhsa_user_sgpr_queue_ptr 0
		.amdhsa_user_sgpr_kernarg_segment_ptr 1
		.amdhsa_user_sgpr_dispatch_id 0
		.amdhsa_user_sgpr_kernarg_preload_length 0
		.amdhsa_user_sgpr_kernarg_preload_offset 0
		.amdhsa_user_sgpr_private_segment_size 0
		.amdhsa_wavefront_size32 1
		.amdhsa_uses_dynamic_stack 0
		.amdhsa_enable_private_segment 0
		.amdhsa_system_sgpr_workgroup_id_x 1
		.amdhsa_system_sgpr_workgroup_id_y 0
		.amdhsa_system_sgpr_workgroup_id_z 1
		.amdhsa_system_sgpr_workgroup_info 0
		.amdhsa_system_vgpr_workitem_id 0
		.amdhsa_next_free_vgpr 13
		.amdhsa_next_free_sgpr 28
		.amdhsa_named_barrier_count 0
		.amdhsa_reserve_vcc 1
		.amdhsa_float_round_mode_32 0
		.amdhsa_float_round_mode_16_64 0
		.amdhsa_float_denorm_mode_32 3
		.amdhsa_float_denorm_mode_16_64 3
		.amdhsa_fp16_overflow 0
		.amdhsa_memory_ordered 1
		.amdhsa_forward_progress 1
		.amdhsa_inst_pref_size 8
		.amdhsa_round_robin_scheduling 0
		.amdhsa_exception_fp_ieee_invalid_op 0
		.amdhsa_exception_fp_denorm_src 0
		.amdhsa_exception_fp_ieee_div_zero 0
		.amdhsa_exception_fp_ieee_overflow 0
		.amdhsa_exception_fp_ieee_underflow 0
		.amdhsa_exception_fp_ieee_inexact 0
		.amdhsa_exception_int_div_zero 0
	.end_amdhsa_kernel
	.section	.text._ZL24rocblas_dot_kernel_magsqIiLb0ELi512ELi4ELb1EfPKffEviT5_lT_liPT6_PT4_,"axG",@progbits,_ZL24rocblas_dot_kernel_magsqIiLb0ELi512ELi4ELb1EfPKffEviT5_lT_liPT6_PT4_,comdat
.Lfunc_end221:
	.size	_ZL24rocblas_dot_kernel_magsqIiLb0ELi512ELi4ELb1EfPKffEviT5_lT_liPT6_PT4_, .Lfunc_end221-_ZL24rocblas_dot_kernel_magsqIiLb0ELi512ELi4ELb1EfPKffEviT5_lT_liPT6_PT4_
                                        ; -- End function
	.set _ZL24rocblas_dot_kernel_magsqIiLb0ELi512ELi4ELb1EfPKffEviT5_lT_liPT6_PT4_.num_vgpr, 13
	.set _ZL24rocblas_dot_kernel_magsqIiLb0ELi512ELi4ELb1EfPKffEviT5_lT_liPT6_PT4_.num_agpr, 0
	.set _ZL24rocblas_dot_kernel_magsqIiLb0ELi512ELi4ELb1EfPKffEviT5_lT_liPT6_PT4_.numbered_sgpr, 28
	.set _ZL24rocblas_dot_kernel_magsqIiLb0ELi512ELi4ELb1EfPKffEviT5_lT_liPT6_PT4_.num_named_barrier, 0
	.set _ZL24rocblas_dot_kernel_magsqIiLb0ELi512ELi4ELb1EfPKffEviT5_lT_liPT6_PT4_.private_seg_size, 0
	.set _ZL24rocblas_dot_kernel_magsqIiLb0ELi512ELi4ELb1EfPKffEviT5_lT_liPT6_PT4_.uses_vcc, 1
	.set _ZL24rocblas_dot_kernel_magsqIiLb0ELi512ELi4ELb1EfPKffEviT5_lT_liPT6_PT4_.uses_flat_scratch, 0
	.set _ZL24rocblas_dot_kernel_magsqIiLb0ELi512ELi4ELb1EfPKffEviT5_lT_liPT6_PT4_.has_dyn_sized_stack, 0
	.set _ZL24rocblas_dot_kernel_magsqIiLb0ELi512ELi4ELb1EfPKffEviT5_lT_liPT6_PT4_.has_recursion, 0
	.set _ZL24rocblas_dot_kernel_magsqIiLb0ELi512ELi4ELb1EfPKffEviT5_lT_liPT6_PT4_.has_indirect_call, 0
	.section	.AMDGPU.csdata,"",@progbits
; Kernel info:
; codeLenInByte = 948
; TotalNumSgprs: 30
; NumVgprs: 13
; ScratchSize: 0
; MemoryBound: 0
; FloatMode: 240
; IeeeMode: 1
; LDSByteSize: 128 bytes/workgroup (compile time only)
; SGPRBlocks: 0
; VGPRBlocks: 0
; NumSGPRsForWavesPerEU: 30
; NumVGPRsForWavesPerEU: 13
; NamedBarCnt: 0
; Occupancy: 16
; WaveLimiterHint : 0
; COMPUTE_PGM_RSRC2:SCRATCH_EN: 0
; COMPUTE_PGM_RSRC2:USER_SGPR: 2
; COMPUTE_PGM_RSRC2:TRAP_HANDLER: 0
; COMPUTE_PGM_RSRC2:TGID_X_EN: 1
; COMPUTE_PGM_RSRC2:TGID_Y_EN: 0
; COMPUTE_PGM_RSRC2:TGID_Z_EN: 1
; COMPUTE_PGM_RSRC2:TIDIG_COMP_CNT: 0
	.section	.text._ZL30rocblas_reduction_kernel_part2ILi512ELi4E25rocblas_finalize_identityffEviPT2_PT3_,"axG",@progbits,_ZL30rocblas_reduction_kernel_part2ILi512ELi4E25rocblas_finalize_identityffEviPT2_PT3_,comdat
	.globl	_ZL30rocblas_reduction_kernel_part2ILi512ELi4E25rocblas_finalize_identityffEviPT2_PT3_ ; -- Begin function _ZL30rocblas_reduction_kernel_part2ILi512ELi4E25rocblas_finalize_identityffEviPT2_PT3_
	.p2align	8
	.type	_ZL30rocblas_reduction_kernel_part2ILi512ELi4E25rocblas_finalize_identityffEviPT2_PT3_,@function
_ZL30rocblas_reduction_kernel_part2ILi512ELi4E25rocblas_finalize_identityffEviPT2_PT3_: ; @_ZL30rocblas_reduction_kernel_part2ILi512ELi4E25rocblas_finalize_identityffEviPT2_PT3_
; %bb.0:
	s_clause 0x1
	s_load_b32 s6, s[0:1], 0x0
	s_load_b64 s[8:9], s[0:1], 0x8
	s_bfe_u32 s2, ttmp6, 0x4000c
	s_and_b32 s3, ttmp6, 15
	s_add_co_i32 s2, s2, 1
	s_getreg_b32 s4, hwreg(HW_REG_IB_STS2, 6, 4)
	s_mul_i32 s2, ttmp9, s2
	v_dual_lshlrev_b32 v1, 2, v0 :: v_dual_mov_b32 v3, 0
	s_add_co_i32 s3, s3, s2
	s_wait_kmcnt 0x0
	s_ashr_i32 s7, s6, 31
	s_cmp_eq_u32 s4, 0
	s_mov_b32 s4, exec_lo
	s_cselect_b32 s2, ttmp9, s3
	s_lshr_b32 s3, s7, 30
	s_delay_alu instid0(SALU_CYCLE_1) | instskip(NEXT) | instid1(SALU_CYCLE_1)
	s_add_co_i32 s3, s6, s3
	s_and_b32 s12, s3, -4
	s_mov_b32 s3, 0
	s_delay_alu instid0(SALU_CYCLE_1)
	s_mul_u64 s[10:11], s[6:7], s[2:3]
	v_cmpx_gt_i32_e64 s12, v1
	s_cbranch_execz .LBB222_4
; %bb.1:
	v_dual_mov_b32 v3, 0 :: v_dual_lshlrev_b32 v2, 4, v0
	s_lshl_b64 s[14:15], s[10:11], 2
	s_mov_b32 s5, s3
	s_add_nc_u64 s[14:15], s[8:9], s[14:15]
	s_delay_alu instid0(VALU_DEP_1) | instid1(SALU_CYCLE_1)
	v_add_nc_u64_e32 v[4:5], s[14:15], v[2:3]
	s_delay_alu instid0(VALU_DEP_1)
	v_add_nc_u64_e32 v[4:5], 8, v[4:5]
.LBB222_2:                              ; =>This Inner Loop Header: Depth=1
	global_load_b128 v[6:9], v[4:5], off offset:-8
	s_wait_xcnt 0x0
	v_add_nc_u64_e32 v[4:5], 0x2000, v[4:5]
	v_add_nc_u32_e32 v1, 0x800, v1
	s_delay_alu instid0(VALU_DEP_1) | instskip(SKIP_3) | instid1(VALU_DEP_1)
	v_cmp_le_i32_e32 vcc_lo, s12, v1
	s_or_b32 s5, vcc_lo, s5
	s_wait_loadcnt 0x0
	v_add_f32_e32 v2, v3, v6
	v_add_f32_e32 v2, v2, v7
	s_delay_alu instid0(VALU_DEP_1) | instskip(NEXT) | instid1(VALU_DEP_1)
	v_add_f32_e32 v2, v2, v8
	v_add_f32_e32 v3, v2, v9
	s_and_not1_b32 exec_lo, exec_lo, s5
	s_cbranch_execnz .LBB222_2
; %bb.3:
	s_or_b32 exec_lo, exec_lo, s5
.LBB222_4:
	s_delay_alu instid0(SALU_CYCLE_1) | instskip(SKIP_3) | instid1(SALU_CYCLE_1)
	s_or_b32 exec_lo, exec_lo, s4
	s_load_b64 s[4:5], s[0:1], 0x10
	s_wait_xcnt 0x0
	s_sub_co_i32 s0, s6, s12
	v_cmp_gt_u32_e32 vcc_lo, s0, v0
	s_and_saveexec_b32 s0, vcc_lo
	s_cbranch_execz .LBB222_6
; %bb.5:
	v_xad_u32 v1, v0, -1, s6
	s_lshl_b64 s[6:7], s[10:11], 2
	s_delay_alu instid0(SALU_CYCLE_1)
	s_add_nc_u64 s[6:7], s[8:9], s[6:7]
	global_load_b32 v1, v1, s[6:7] scale_offset
	s_wait_loadcnt 0x0
	v_add_f32_e32 v3, v3, v1
.LBB222_6:
	s_or_b32 exec_lo, exec_lo, s0
	v_and_b32_e32 v6, 31, v0
	v_cmp_gt_u32_e32 vcc_lo, 32, v0
	s_delay_alu instid0(VALU_DEP_2)
	v_lshlrev_b32_e32 v1, 2, v6
	s_and_saveexec_b32 s0, vcc_lo
; %bb.7:
	v_mov_b32_e32 v2, 0
	ds_store_b32 v1, v2
; %bb.8:
	s_or_b32 exec_lo, exec_lo, s0
	v_mbcnt_lo_u32_b32 v5, -1, 0
	s_mov_b32 s1, exec_lo
	s_wait_dscnt 0x0
	s_barrier_signal -1
	s_barrier_wait -1
	v_lshl_or_b32 v2, v5, 2, 64
	v_cmp_gt_u32_e64 s0, 24, v5
	ds_bpermute_b32 v4, v2, v3
	v_cndmask_b32_e64 v2, 0, 8, s0
	v_cmp_gt_u32_e64 s0, 28, v5
	s_delay_alu instid0(VALU_DEP_2) | instskip(SKIP_2) | instid1(VALU_DEP_3)
	v_add_lshl_u32 v2, v2, v5, 2
	s_wait_dscnt 0x0
	v_add_f32_e32 v4, v3, v4
	v_cndmask_b32_e64 v3, 0, 4, s0
	v_cmp_gt_u32_e64 s0, 30, v5
	ds_bpermute_b32 v7, v2, v4
	v_add_lshl_u32 v3, v3, v5, 2
	s_wait_dscnt 0x0
	v_add_f32_e32 v7, v4, v7
	v_cndmask_b32_e64 v4, 0, 2, s0
	v_cmp_ne_u32_e64 s0, 31, v5
	ds_bpermute_b32 v8, v3, v7
	v_add_lshl_u32 v4, v4, v5, 2
	v_add_co_ci_u32_e64 v5, null, 0, v5, s0
	s_wait_dscnt 0x0
	s_delay_alu instid0(VALU_DEP_1)
	v_dual_lshlrev_b32 v5, 2, v5 :: v_dual_add_f32 v7, v7, v8
	ds_bpermute_b32 v8, v4, v7
	s_wait_dscnt 0x0
	v_add_f32_e32 v7, v7, v8
	ds_bpermute_b32 v8, v5, v7
	v_cmpx_eq_u32_e32 0, v6
	s_cbranch_execz .LBB222_10
; %bb.9:
	v_lshrrev_b32_e32 v6, 3, v0
	s_wait_dscnt 0x0
	s_delay_alu instid0(VALU_DEP_1)
	v_dual_add_f32 v7, v7, v8 :: v_dual_bitop2_b32 v6, 60, v6 bitop3:0x40
	ds_store_b32 v6, v7
.LBB222_10:
	s_or_b32 exec_lo, exec_lo, s1
	v_mov_b32_e32 v6, 0
	s_mov_b32 s1, exec_lo
	s_wait_dscnt 0x0
	s_barrier_signal -1
	s_barrier_wait -1
	v_cmpx_gt_u32_e32 16, v0
; %bb.11:
	ds_load_b32 v6, v1
; %bb.12:
	s_or_b32 exec_lo, exec_lo, s1
	s_and_saveexec_b32 s0, vcc_lo
	s_cbranch_execz .LBB222_14
; %bb.13:
	s_wait_dscnt 0x0
	ds_bpermute_b32 v1, v2, v6
	s_wait_dscnt 0x0
	v_add_f32_e32 v1, v6, v1
	ds_bpermute_b32 v2, v3, v1
	s_wait_dscnt 0x0
	v_add_f32_e32 v1, v1, v2
	;; [unrolled: 3-line block ×4, first 2 shown]
.LBB222_14:
	s_or_b32 exec_lo, exec_lo, s0
	s_delay_alu instid0(SALU_CYCLE_1)
	s_mov_b32 s0, exec_lo
	v_cmpx_eq_u32_e32 0, v0
	s_cbranch_execz .LBB222_16
; %bb.15:
	v_mov_b32_e32 v0, 0
	s_lshl_b64 s[0:1], s[2:3], 2
	s_wait_kmcnt 0x0
	s_add_nc_u64 s[0:1], s[4:5], s[0:1]
	s_wait_dscnt 0x0
	global_store_b32 v0, v6, s[0:1]
.LBB222_16:
	s_endpgm
	.section	.rodata,"a",@progbits
	.p2align	6, 0x0
	.amdhsa_kernel _ZL30rocblas_reduction_kernel_part2ILi512ELi4E25rocblas_finalize_identityffEviPT2_PT3_
		.amdhsa_group_segment_fixed_size 128
		.amdhsa_private_segment_fixed_size 0
		.amdhsa_kernarg_size 24
		.amdhsa_user_sgpr_count 2
		.amdhsa_user_sgpr_dispatch_ptr 0
		.amdhsa_user_sgpr_queue_ptr 0
		.amdhsa_user_sgpr_kernarg_segment_ptr 1
		.amdhsa_user_sgpr_dispatch_id 0
		.amdhsa_user_sgpr_kernarg_preload_length 0
		.amdhsa_user_sgpr_kernarg_preload_offset 0
		.amdhsa_user_sgpr_private_segment_size 0
		.amdhsa_wavefront_size32 1
		.amdhsa_uses_dynamic_stack 0
		.amdhsa_enable_private_segment 0
		.amdhsa_system_sgpr_workgroup_id_x 1
		.amdhsa_system_sgpr_workgroup_id_y 0
		.amdhsa_system_sgpr_workgroup_id_z 0
		.amdhsa_system_sgpr_workgroup_info 0
		.amdhsa_system_vgpr_workitem_id 0
		.amdhsa_next_free_vgpr 10
		.amdhsa_next_free_sgpr 16
		.amdhsa_named_barrier_count 0
		.amdhsa_reserve_vcc 1
		.amdhsa_float_round_mode_32 0
		.amdhsa_float_round_mode_16_64 0
		.amdhsa_float_denorm_mode_32 3
		.amdhsa_float_denorm_mode_16_64 3
		.amdhsa_fp16_overflow 0
		.amdhsa_memory_ordered 1
		.amdhsa_forward_progress 1
		.amdhsa_inst_pref_size 7
		.amdhsa_round_robin_scheduling 0
		.amdhsa_exception_fp_ieee_invalid_op 0
		.amdhsa_exception_fp_denorm_src 0
		.amdhsa_exception_fp_ieee_div_zero 0
		.amdhsa_exception_fp_ieee_overflow 0
		.amdhsa_exception_fp_ieee_underflow 0
		.amdhsa_exception_fp_ieee_inexact 0
		.amdhsa_exception_int_div_zero 0
	.end_amdhsa_kernel
	.section	.text._ZL30rocblas_reduction_kernel_part2ILi512ELi4E25rocblas_finalize_identityffEviPT2_PT3_,"axG",@progbits,_ZL30rocblas_reduction_kernel_part2ILi512ELi4E25rocblas_finalize_identityffEviPT2_PT3_,comdat
.Lfunc_end222:
	.size	_ZL30rocblas_reduction_kernel_part2ILi512ELi4E25rocblas_finalize_identityffEviPT2_PT3_, .Lfunc_end222-_ZL30rocblas_reduction_kernel_part2ILi512ELi4E25rocblas_finalize_identityffEviPT2_PT3_
                                        ; -- End function
	.set _ZL30rocblas_reduction_kernel_part2ILi512ELi4E25rocblas_finalize_identityffEviPT2_PT3_.num_vgpr, 10
	.set _ZL30rocblas_reduction_kernel_part2ILi512ELi4E25rocblas_finalize_identityffEviPT2_PT3_.num_agpr, 0
	.set _ZL30rocblas_reduction_kernel_part2ILi512ELi4E25rocblas_finalize_identityffEviPT2_PT3_.numbered_sgpr, 16
	.set _ZL30rocblas_reduction_kernel_part2ILi512ELi4E25rocblas_finalize_identityffEviPT2_PT3_.num_named_barrier, 0
	.set _ZL30rocblas_reduction_kernel_part2ILi512ELi4E25rocblas_finalize_identityffEviPT2_PT3_.private_seg_size, 0
	.set _ZL30rocblas_reduction_kernel_part2ILi512ELi4E25rocblas_finalize_identityffEviPT2_PT3_.uses_vcc, 1
	.set _ZL30rocblas_reduction_kernel_part2ILi512ELi4E25rocblas_finalize_identityffEviPT2_PT3_.uses_flat_scratch, 0
	.set _ZL30rocblas_reduction_kernel_part2ILi512ELi4E25rocblas_finalize_identityffEviPT2_PT3_.has_dyn_sized_stack, 0
	.set _ZL30rocblas_reduction_kernel_part2ILi512ELi4E25rocblas_finalize_identityffEviPT2_PT3_.has_recursion, 0
	.set _ZL30rocblas_reduction_kernel_part2ILi512ELi4E25rocblas_finalize_identityffEviPT2_PT3_.has_indirect_call, 0
	.section	.AMDGPU.csdata,"",@progbits
; Kernel info:
; codeLenInByte = 772
; TotalNumSgprs: 18
; NumVgprs: 10
; ScratchSize: 0
; MemoryBound: 0
; FloatMode: 240
; IeeeMode: 1
; LDSByteSize: 128 bytes/workgroup (compile time only)
; SGPRBlocks: 0
; VGPRBlocks: 0
; NumSGPRsForWavesPerEU: 18
; NumVGPRsForWavesPerEU: 10
; NamedBarCnt: 0
; Occupancy: 16
; WaveLimiterHint : 0
; COMPUTE_PGM_RSRC2:SCRATCH_EN: 0
; COMPUTE_PGM_RSRC2:USER_SGPR: 2
; COMPUTE_PGM_RSRC2:TRAP_HANDLER: 0
; COMPUTE_PGM_RSRC2:TGID_X_EN: 1
; COMPUTE_PGM_RSRC2:TGID_Y_EN: 0
; COMPUTE_PGM_RSRC2:TGID_Z_EN: 0
; COMPUTE_PGM_RSRC2:TIDIG_COMP_CNT: 0
	.section	.text._ZL28rocblas_dot_batched_4_kernelIiLi32ELi4ELb1EffPKPKfEviT5_lT_lS4_lS5_liPT4_,"axG",@progbits,_ZL28rocblas_dot_batched_4_kernelIiLi32ELi4ELb1EffPKPKfEviT5_lT_lS4_lS5_liPT4_,comdat
	.globl	_ZL28rocblas_dot_batched_4_kernelIiLi32ELi4ELb1EffPKPKfEviT5_lT_lS4_lS5_liPT4_ ; -- Begin function _ZL28rocblas_dot_batched_4_kernelIiLi32ELi4ELb1EffPKPKfEviT5_lT_lS4_lS5_liPT4_
	.p2align	8
	.type	_ZL28rocblas_dot_batched_4_kernelIiLi32ELi4ELb1EffPKPKfEviT5_lT_lS4_lS5_liPT4_,@function
_ZL28rocblas_dot_batched_4_kernelIiLi32ELi4ELb1EffPKPKfEviT5_lT_lS4_lS5_liPT4_: ; @_ZL28rocblas_dot_batched_4_kernelIiLi32ELi4ELb1EffPKPKfEviT5_lT_lS4_lS5_liPT4_
; %bb.0:
	s_load_b32 s2, s[0:1], 0x48
	s_bfe_u32 s3, ttmp6, 0x4000c
	s_and_b32 s4, ttmp6, 15
	s_add_co_i32 s3, s3, 1
	v_bfe_u32 v1, v0, 10, 10
	s_mul_i32 s3, ttmp9, s3
	s_delay_alu instid0(SALU_CYCLE_1) | instskip(SKIP_1) | instid1(SALU_CYCLE_1)
	s_add_co_i32 s4, s4, s3
	s_getreg_b32 s3, hwreg(HW_REG_IB_STS2, 6, 4)
	s_cmp_eq_u32 s3, 0
	s_cselect_b32 s3, ttmp9, s4
	s_delay_alu instid0(SALU_CYCLE_1) | instskip(SKIP_1) | instid1(VALU_DEP_1)
	v_lshl_add_u32 v2, s3, 2, v1
	s_wait_kmcnt 0x0
	v_cmp_gt_u32_e32 vcc_lo, s2, v2
	s_and_saveexec_b32 s2, vcc_lo
	s_cbranch_execz .LBB223_7
; %bb.1:
	s_load_b32 s6, s[0:1], 0x0
	v_mov_b32_e32 v3, 0
	v_and_b32_e32 v0, 0x3ff, v0
	s_mov_b32 s7, exec_lo
	s_delay_alu instid0(VALU_DEP_2) | instskip(SKIP_1) | instid1(VALU_DEP_2)
	v_mov_b32_e32 v1, v3
	s_wait_kmcnt 0x0
	v_cmpx_gt_i32_e64 s6, v0
	s_cbranch_execz .LBB223_5
; %bb.2:
	s_clause 0x1
	s_load_b128 s[8:11], s[0:1], 0x8
	s_load_b128 s[12:15], s[0:1], 0x28
	v_lshlrev_b64_e32 v[4:5], 3, v[2:3]
	s_clause 0x1
	s_load_b32 s2, s[0:1], 0x18
	s_load_b32 s4, s[0:1], 0x38
	v_mov_b32_e32 v1, 0
	s_wait_kmcnt 0x0
	s_delay_alu instid0(VALU_DEP_2)
	v_add_nc_u64_e32 v[6:7], s[8:9], v[4:5]
	v_add_nc_u64_e32 v[4:5], s[12:13], v[4:5]
	s_ashr_i32 s3, s2, 31
	s_lshl_b64 s[8:9], s[10:11], 2
	s_ashr_i32 s5, s4, 31
	s_lshl_b64 s[10:11], s[14:15], 2
	global_load_b64 v[8:9], v[6:7], off
	global_load_b64 v[10:11], v[4:5], off
	s_wait_xcnt 0x0
	v_mul_u64_e32 v[4:5], s[2:3], v[0:1]
	s_lshl_b64 s[2:3], s[2:3], 7
	s_delay_alu instid0(VALU_DEP_1) | instskip(SKIP_2) | instid1(VALU_DEP_1)
	v_lshl_add_u64 v[4:5], v[4:5], 2, s[8:9]
	s_mov_b32 s8, 0
	s_wait_loadcnt 0x1
	v_add_nc_u64_e32 v[4:5], v[8:9], v[4:5]
	v_mov_b32_e32 v8, v0
	v_mul_u64_e32 v[6:7], s[4:5], v[0:1]
	s_lshl_b64 s[4:5], s[4:5], 7
	s_delay_alu instid0(VALU_DEP_1) | instskip(SKIP_1) | instid1(VALU_DEP_1)
	v_lshl_add_u64 v[6:7], v[6:7], 2, s[10:11]
	s_wait_loadcnt 0x0
	v_add_nc_u64_e32 v[6:7], v[10:11], v[6:7]
.LBB223_3:                              ; =>This Inner Loop Header: Depth=1
	flat_load_b32 v9, v[4:5]
	flat_load_b32 v10, v[6:7]
	v_add_nc_u32_e32 v8, 32, v8
	s_wait_xcnt 0x1
	v_add_nc_u64_e32 v[4:5], s[2:3], v[4:5]
	s_wait_xcnt 0x0
	v_add_nc_u64_e32 v[6:7], s[4:5], v[6:7]
	s_wait_loadcnt_dscnt 0x0
	v_fmac_f32_e32 v1, v9, v10
	v_cmp_le_i32_e32 vcc_lo, s6, v8
	s_or_b32 s8, vcc_lo, s8
	s_delay_alu instid0(SALU_CYCLE_1)
	s_and_not1_b32 exec_lo, exec_lo, s8
	s_cbranch_execnz .LBB223_3
; %bb.4:
	s_or_b32 exec_lo, exec_lo, s8
.LBB223_5:
	s_delay_alu instid0(SALU_CYCLE_1) | instskip(SKIP_4) | instid1(VALU_DEP_1)
	s_or_b32 exec_lo, exec_lo, s7
	v_mbcnt_lo_u32_b32 v4, -1, 0
	s_load_b64 s[0:1], s[0:1], 0x50
	s_barrier_signal -1
	s_barrier_wait -1
	v_lshl_or_b32 v5, v4, 2, 64
	v_cmp_gt_u32_e32 vcc_lo, 24, v4
	ds_bpermute_b32 v5, v5, v1
	v_cndmask_b32_e64 v6, 0, 8, vcc_lo
	v_cmp_gt_u32_e32 vcc_lo, 28, v4
	s_delay_alu instid0(VALU_DEP_2)
	v_add_lshl_u32 v6, v6, v4, 2
	s_wait_dscnt 0x0
	v_add_f32_e32 v1, v1, v5
	ds_bpermute_b32 v5, v6, v1
	v_cndmask_b32_e64 v6, 0, 4, vcc_lo
	v_cmp_gt_u32_e32 vcc_lo, 30, v4
	s_delay_alu instid0(VALU_DEP_2)
	v_add_lshl_u32 v6, v6, v4, 2
	s_wait_dscnt 0x0
	v_add_f32_e32 v1, v1, v5
	ds_bpermute_b32 v5, v6, v1
	v_cndmask_b32_e64 v6, 0, 2, vcc_lo
	v_cmp_ne_u32_e32 vcc_lo, 31, v4
	s_delay_alu instid0(VALU_DEP_2) | instskip(SKIP_3) | instid1(VALU_DEP_2)
	v_add_lshl_u32 v6, v6, v4, 2
	v_add_co_ci_u32_e64 v4, null, 0, v4, vcc_lo
	v_cmp_eq_u32_e32 vcc_lo, 0, v0
	s_wait_dscnt 0x0
	v_dual_add_f32 v1, v1, v5 :: v_dual_lshlrev_b32 v4, 2, v4
	ds_bpermute_b32 v5, v6, v1
	s_wait_dscnt 0x0
	v_add_f32_e32 v1, v1, v5
	ds_bpermute_b32 v4, v4, v1
	s_and_b32 exec_lo, exec_lo, vcc_lo
	s_cbranch_execz .LBB223_7
; %bb.6:
	s_wait_kmcnt 0x0
	v_lshl_add_u64 v[2:3], v[2:3], 2, s[0:1]
	s_wait_dscnt 0x0
	v_add_f32_e32 v0, v1, v4
	global_store_b32 v[2:3], v0, off
.LBB223_7:
	s_endpgm
	.section	.rodata,"a",@progbits
	.p2align	6, 0x0
	.amdhsa_kernel _ZL28rocblas_dot_batched_4_kernelIiLi32ELi4ELb1EffPKPKfEviT5_lT_lS4_lS5_liPT4_
		.amdhsa_group_segment_fixed_size 0
		.amdhsa_private_segment_fixed_size 0
		.amdhsa_kernarg_size 88
		.amdhsa_user_sgpr_count 2
		.amdhsa_user_sgpr_dispatch_ptr 0
		.amdhsa_user_sgpr_queue_ptr 0
		.amdhsa_user_sgpr_kernarg_segment_ptr 1
		.amdhsa_user_sgpr_dispatch_id 0
		.amdhsa_user_sgpr_kernarg_preload_length 0
		.amdhsa_user_sgpr_kernarg_preload_offset 0
		.amdhsa_user_sgpr_private_segment_size 0
		.amdhsa_wavefront_size32 1
		.amdhsa_uses_dynamic_stack 0
		.amdhsa_enable_private_segment 0
		.amdhsa_system_sgpr_workgroup_id_x 1
		.amdhsa_system_sgpr_workgroup_id_y 0
		.amdhsa_system_sgpr_workgroup_id_z 0
		.amdhsa_system_sgpr_workgroup_info 0
		.amdhsa_system_vgpr_workitem_id 1
		.amdhsa_next_free_vgpr 12
		.amdhsa_next_free_sgpr 16
		.amdhsa_named_barrier_count 0
		.amdhsa_reserve_vcc 1
		.amdhsa_float_round_mode_32 0
		.amdhsa_float_round_mode_16_64 0
		.amdhsa_float_denorm_mode_32 3
		.amdhsa_float_denorm_mode_16_64 3
		.amdhsa_fp16_overflow 0
		.amdhsa_memory_ordered 1
		.amdhsa_forward_progress 1
		.amdhsa_inst_pref_size 5
		.amdhsa_round_robin_scheduling 0
		.amdhsa_exception_fp_ieee_invalid_op 0
		.amdhsa_exception_fp_denorm_src 0
		.amdhsa_exception_fp_ieee_div_zero 0
		.amdhsa_exception_fp_ieee_overflow 0
		.amdhsa_exception_fp_ieee_underflow 0
		.amdhsa_exception_fp_ieee_inexact 0
		.amdhsa_exception_int_div_zero 0
	.end_amdhsa_kernel
	.section	.text._ZL28rocblas_dot_batched_4_kernelIiLi32ELi4ELb1EffPKPKfEviT5_lT_lS4_lS5_liPT4_,"axG",@progbits,_ZL28rocblas_dot_batched_4_kernelIiLi32ELi4ELb1EffPKPKfEviT5_lT_lS4_lS5_liPT4_,comdat
.Lfunc_end223:
	.size	_ZL28rocblas_dot_batched_4_kernelIiLi32ELi4ELb1EffPKPKfEviT5_lT_lS4_lS5_liPT4_, .Lfunc_end223-_ZL28rocblas_dot_batched_4_kernelIiLi32ELi4ELb1EffPKPKfEviT5_lT_lS4_lS5_liPT4_
                                        ; -- End function
	.set _ZL28rocblas_dot_batched_4_kernelIiLi32ELi4ELb1EffPKPKfEviT5_lT_lS4_lS5_liPT4_.num_vgpr, 12
	.set _ZL28rocblas_dot_batched_4_kernelIiLi32ELi4ELb1EffPKPKfEviT5_lT_lS4_lS5_liPT4_.num_agpr, 0
	.set _ZL28rocblas_dot_batched_4_kernelIiLi32ELi4ELb1EffPKPKfEviT5_lT_lS4_lS5_liPT4_.numbered_sgpr, 16
	.set _ZL28rocblas_dot_batched_4_kernelIiLi32ELi4ELb1EffPKPKfEviT5_lT_lS4_lS5_liPT4_.num_named_barrier, 0
	.set _ZL28rocblas_dot_batched_4_kernelIiLi32ELi4ELb1EffPKPKfEviT5_lT_lS4_lS5_liPT4_.private_seg_size, 0
	.set _ZL28rocblas_dot_batched_4_kernelIiLi32ELi4ELb1EffPKPKfEviT5_lT_lS4_lS5_liPT4_.uses_vcc, 1
	.set _ZL28rocblas_dot_batched_4_kernelIiLi32ELi4ELb1EffPKPKfEviT5_lT_lS4_lS5_liPT4_.uses_flat_scratch, 0
	.set _ZL28rocblas_dot_batched_4_kernelIiLi32ELi4ELb1EffPKPKfEviT5_lT_lS4_lS5_liPT4_.has_dyn_sized_stack, 0
	.set _ZL28rocblas_dot_batched_4_kernelIiLi32ELi4ELb1EffPKPKfEviT5_lT_lS4_lS5_liPT4_.has_recursion, 0
	.set _ZL28rocblas_dot_batched_4_kernelIiLi32ELi4ELb1EffPKPKfEviT5_lT_lS4_lS5_liPT4_.has_indirect_call, 0
	.section	.AMDGPU.csdata,"",@progbits
; Kernel info:
; codeLenInByte = 628
; TotalNumSgprs: 18
; NumVgprs: 12
; ScratchSize: 0
; MemoryBound: 0
; FloatMode: 240
; IeeeMode: 1
; LDSByteSize: 0 bytes/workgroup (compile time only)
; SGPRBlocks: 0
; VGPRBlocks: 0
; NumSGPRsForWavesPerEU: 18
; NumVGPRsForWavesPerEU: 12
; NamedBarCnt: 0
; Occupancy: 16
; WaveLimiterHint : 0
; COMPUTE_PGM_RSRC2:SCRATCH_EN: 0
; COMPUTE_PGM_RSRC2:USER_SGPR: 2
; COMPUTE_PGM_RSRC2:TRAP_HANDLER: 0
; COMPUTE_PGM_RSRC2:TGID_X_EN: 1
; COMPUTE_PGM_RSRC2:TGID_Y_EN: 0
; COMPUTE_PGM_RSRC2:TGID_Z_EN: 0
; COMPUTE_PGM_RSRC2:TIDIG_COMP_CNT: 1
	.section	.text._ZL28rocblas_dot_batched_4_kernelIiLi64ELi4ELb1EffPKPKfEviT5_lT_lS4_lS5_liPT4_,"axG",@progbits,_ZL28rocblas_dot_batched_4_kernelIiLi64ELi4ELb1EffPKPKfEviT5_lT_lS4_lS5_liPT4_,comdat
	.globl	_ZL28rocblas_dot_batched_4_kernelIiLi64ELi4ELb1EffPKPKfEviT5_lT_lS4_lS5_liPT4_ ; -- Begin function _ZL28rocblas_dot_batched_4_kernelIiLi64ELi4ELb1EffPKPKfEviT5_lT_lS4_lS5_liPT4_
	.p2align	8
	.type	_ZL28rocblas_dot_batched_4_kernelIiLi64ELi4ELb1EffPKPKfEviT5_lT_lS4_lS5_liPT4_,@function
_ZL28rocblas_dot_batched_4_kernelIiLi64ELi4ELb1EffPKPKfEviT5_lT_lS4_lS5_liPT4_: ; @_ZL28rocblas_dot_batched_4_kernelIiLi64ELi4ELb1EffPKPKfEviT5_lT_lS4_lS5_liPT4_
; %bb.0:
	s_load_b32 s2, s[0:1], 0x48
	s_bfe_u32 s3, ttmp6, 0x4000c
	s_and_b32 s4, ttmp6, 15
	s_add_co_i32 s3, s3, 1
	v_bfe_u32 v1, v0, 10, 10
	s_mul_i32 s3, ttmp9, s3
	s_delay_alu instid0(SALU_CYCLE_1) | instskip(SKIP_1) | instid1(SALU_CYCLE_1)
	s_add_co_i32 s4, s4, s3
	s_getreg_b32 s3, hwreg(HW_REG_IB_STS2, 6, 4)
	s_cmp_eq_u32 s3, 0
	s_cselect_b32 s3, ttmp9, s4
	s_delay_alu instid0(SALU_CYCLE_1) | instskip(SKIP_1) | instid1(VALU_DEP_1)
	v_lshl_add_u32 v2, s3, 2, v1
	s_wait_kmcnt 0x0
	v_cmp_gt_u32_e32 vcc_lo, s2, v2
	s_and_saveexec_b32 s2, vcc_lo
	s_cbranch_execz .LBB224_7
; %bb.1:
	s_load_b32 s6, s[0:1], 0x0
	v_mov_b32_e32 v3, 0
	v_and_b32_e32 v0, 0x3ff, v0
	s_mov_b32 s7, exec_lo
	s_delay_alu instid0(VALU_DEP_2) | instskip(SKIP_1) | instid1(VALU_DEP_2)
	v_mov_b32_e32 v1, v3
	s_wait_kmcnt 0x0
	v_cmpx_gt_i32_e64 s6, v0
	s_cbranch_execz .LBB224_5
; %bb.2:
	s_clause 0x1
	s_load_b128 s[8:11], s[0:1], 0x8
	s_load_b128 s[12:15], s[0:1], 0x28
	v_lshlrev_b64_e32 v[4:5], 3, v[2:3]
	s_clause 0x1
	s_load_b32 s2, s[0:1], 0x18
	s_load_b32 s4, s[0:1], 0x38
	v_mov_b32_e32 v1, 0
	s_wait_kmcnt 0x0
	s_delay_alu instid0(VALU_DEP_2)
	v_add_nc_u64_e32 v[6:7], s[8:9], v[4:5]
	v_add_nc_u64_e32 v[4:5], s[12:13], v[4:5]
	s_ashr_i32 s3, s2, 31
	s_lshl_b64 s[8:9], s[10:11], 2
	s_ashr_i32 s5, s4, 31
	s_lshl_b64 s[10:11], s[14:15], 2
	global_load_b64 v[8:9], v[6:7], off
	global_load_b64 v[10:11], v[4:5], off
	s_wait_xcnt 0x0
	v_mul_u64_e32 v[4:5], s[2:3], v[0:1]
	s_lshl_b64 s[2:3], s[2:3], 8
	s_delay_alu instid0(VALU_DEP_1) | instskip(SKIP_2) | instid1(VALU_DEP_1)
	v_lshl_add_u64 v[4:5], v[4:5], 2, s[8:9]
	s_mov_b32 s8, 0
	s_wait_loadcnt 0x1
	v_add_nc_u64_e32 v[4:5], v[8:9], v[4:5]
	v_mov_b32_e32 v8, v0
	v_mul_u64_e32 v[6:7], s[4:5], v[0:1]
	s_lshl_b64 s[4:5], s[4:5], 8
	s_delay_alu instid0(VALU_DEP_1) | instskip(SKIP_1) | instid1(VALU_DEP_1)
	v_lshl_add_u64 v[6:7], v[6:7], 2, s[10:11]
	s_wait_loadcnt 0x0
	v_add_nc_u64_e32 v[6:7], v[10:11], v[6:7]
.LBB224_3:                              ; =>This Inner Loop Header: Depth=1
	flat_load_b32 v9, v[4:5]
	flat_load_b32 v10, v[6:7]
	v_add_nc_u32_e32 v8, 64, v8
	s_wait_xcnt 0x1
	v_add_nc_u64_e32 v[4:5], s[2:3], v[4:5]
	s_wait_xcnt 0x0
	v_add_nc_u64_e32 v[6:7], s[4:5], v[6:7]
	s_wait_loadcnt_dscnt 0x0
	v_fmac_f32_e32 v1, v9, v10
	v_cmp_le_i32_e32 vcc_lo, s6, v8
	s_or_b32 s8, vcc_lo, s8
	s_delay_alu instid0(SALU_CYCLE_1)
	s_and_not1_b32 exec_lo, exec_lo, s8
	s_cbranch_execnz .LBB224_3
; %bb.4:
	s_or_b32 exec_lo, exec_lo, s8
.LBB224_5:
	s_delay_alu instid0(SALU_CYCLE_1) | instskip(SKIP_4) | instid1(VALU_DEP_1)
	s_or_b32 exec_lo, exec_lo, s7
	v_mbcnt_lo_u32_b32 v4, -1, 0
	s_load_b64 s[0:1], s[0:1], 0x50
	s_barrier_signal -1
	s_barrier_wait -1
	v_lshlrev_b32_e32 v5, 2, v4
	v_cmp_gt_u32_e32 vcc_lo, 24, v4
	ds_bpermute_b32 v6, v5, v1
	s_wait_dscnt 0x0
	v_dual_add_f32 v1, v1, v6 :: v_dual_bitop2_b32 v5, 64, v5 bitop3:0x54
	v_cndmask_b32_e64 v6, 0, 8, vcc_lo
	v_cmp_gt_u32_e32 vcc_lo, 28, v4
	ds_bpermute_b32 v5, v5, v1
	v_add_lshl_u32 v6, v6, v4, 2
	s_wait_dscnt 0x0
	v_add_f32_e32 v1, v1, v5
	ds_bpermute_b32 v5, v6, v1
	v_cndmask_b32_e64 v6, 0, 4, vcc_lo
	v_cmp_gt_u32_e32 vcc_lo, 30, v4
	s_delay_alu instid0(VALU_DEP_2)
	v_add_lshl_u32 v6, v6, v4, 2
	s_wait_dscnt 0x0
	v_add_f32_e32 v1, v1, v5
	ds_bpermute_b32 v5, v6, v1
	v_cndmask_b32_e64 v6, 0, 2, vcc_lo
	v_cmp_ne_u32_e32 vcc_lo, 31, v4
	s_delay_alu instid0(VALU_DEP_2) | instskip(SKIP_3) | instid1(VALU_DEP_2)
	v_add_lshl_u32 v6, v6, v4, 2
	v_add_co_ci_u32_e64 v4, null, 0, v4, vcc_lo
	v_cmp_eq_u32_e32 vcc_lo, 0, v0
	s_wait_dscnt 0x0
	v_dual_add_f32 v1, v1, v5 :: v_dual_lshlrev_b32 v4, 2, v4
	ds_bpermute_b32 v5, v6, v1
	s_wait_dscnt 0x0
	v_add_f32_e32 v1, v1, v5
	ds_bpermute_b32 v4, v4, v1
	s_and_b32 exec_lo, exec_lo, vcc_lo
	s_cbranch_execz .LBB224_7
; %bb.6:
	s_wait_kmcnt 0x0
	v_lshl_add_u64 v[2:3], v[2:3], 2, s[0:1]
	s_wait_dscnt 0x0
	v_add_f32_e32 v0, v1, v4
	global_store_b32 v[2:3], v0, off
.LBB224_7:
	s_endpgm
	.section	.rodata,"a",@progbits
	.p2align	6, 0x0
	.amdhsa_kernel _ZL28rocblas_dot_batched_4_kernelIiLi64ELi4ELb1EffPKPKfEviT5_lT_lS4_lS5_liPT4_
		.amdhsa_group_segment_fixed_size 0
		.amdhsa_private_segment_fixed_size 0
		.amdhsa_kernarg_size 88
		.amdhsa_user_sgpr_count 2
		.amdhsa_user_sgpr_dispatch_ptr 0
		.amdhsa_user_sgpr_queue_ptr 0
		.amdhsa_user_sgpr_kernarg_segment_ptr 1
		.amdhsa_user_sgpr_dispatch_id 0
		.amdhsa_user_sgpr_kernarg_preload_length 0
		.amdhsa_user_sgpr_kernarg_preload_offset 0
		.amdhsa_user_sgpr_private_segment_size 0
		.amdhsa_wavefront_size32 1
		.amdhsa_uses_dynamic_stack 0
		.amdhsa_enable_private_segment 0
		.amdhsa_system_sgpr_workgroup_id_x 1
		.amdhsa_system_sgpr_workgroup_id_y 0
		.amdhsa_system_sgpr_workgroup_id_z 0
		.amdhsa_system_sgpr_workgroup_info 0
		.amdhsa_system_vgpr_workitem_id 1
		.amdhsa_next_free_vgpr 12
		.amdhsa_next_free_sgpr 16
		.amdhsa_named_barrier_count 0
		.amdhsa_reserve_vcc 1
		.amdhsa_float_round_mode_32 0
		.amdhsa_float_round_mode_16_64 0
		.amdhsa_float_denorm_mode_32 3
		.amdhsa_float_denorm_mode_16_64 3
		.amdhsa_fp16_overflow 0
		.amdhsa_memory_ordered 1
		.amdhsa_forward_progress 1
		.amdhsa_inst_pref_size 6
		.amdhsa_round_robin_scheduling 0
		.amdhsa_exception_fp_ieee_invalid_op 0
		.amdhsa_exception_fp_denorm_src 0
		.amdhsa_exception_fp_ieee_div_zero 0
		.amdhsa_exception_fp_ieee_overflow 0
		.amdhsa_exception_fp_ieee_underflow 0
		.amdhsa_exception_fp_ieee_inexact 0
		.amdhsa_exception_int_div_zero 0
	.end_amdhsa_kernel
	.section	.text._ZL28rocblas_dot_batched_4_kernelIiLi64ELi4ELb1EffPKPKfEviT5_lT_lS4_lS5_liPT4_,"axG",@progbits,_ZL28rocblas_dot_batched_4_kernelIiLi64ELi4ELb1EffPKPKfEviT5_lT_lS4_lS5_liPT4_,comdat
.Lfunc_end224:
	.size	_ZL28rocblas_dot_batched_4_kernelIiLi64ELi4ELb1EffPKPKfEviT5_lT_lS4_lS5_liPT4_, .Lfunc_end224-_ZL28rocblas_dot_batched_4_kernelIiLi64ELi4ELb1EffPKPKfEviT5_lT_lS4_lS5_liPT4_
                                        ; -- End function
	.set _ZL28rocblas_dot_batched_4_kernelIiLi64ELi4ELb1EffPKPKfEviT5_lT_lS4_lS5_liPT4_.num_vgpr, 12
	.set _ZL28rocblas_dot_batched_4_kernelIiLi64ELi4ELb1EffPKPKfEviT5_lT_lS4_lS5_liPT4_.num_agpr, 0
	.set _ZL28rocblas_dot_batched_4_kernelIiLi64ELi4ELb1EffPKPKfEviT5_lT_lS4_lS5_liPT4_.numbered_sgpr, 16
	.set _ZL28rocblas_dot_batched_4_kernelIiLi64ELi4ELb1EffPKPKfEviT5_lT_lS4_lS5_liPT4_.num_named_barrier, 0
	.set _ZL28rocblas_dot_batched_4_kernelIiLi64ELi4ELb1EffPKPKfEviT5_lT_lS4_lS5_liPT4_.private_seg_size, 0
	.set _ZL28rocblas_dot_batched_4_kernelIiLi64ELi4ELb1EffPKPKfEviT5_lT_lS4_lS5_liPT4_.uses_vcc, 1
	.set _ZL28rocblas_dot_batched_4_kernelIiLi64ELi4ELb1EffPKPKfEviT5_lT_lS4_lS5_liPT4_.uses_flat_scratch, 0
	.set _ZL28rocblas_dot_batched_4_kernelIiLi64ELi4ELb1EffPKPKfEviT5_lT_lS4_lS5_liPT4_.has_dyn_sized_stack, 0
	.set _ZL28rocblas_dot_batched_4_kernelIiLi64ELi4ELb1EffPKPKfEviT5_lT_lS4_lS5_liPT4_.has_recursion, 0
	.set _ZL28rocblas_dot_batched_4_kernelIiLi64ELi4ELb1EffPKPKfEviT5_lT_lS4_lS5_liPT4_.has_indirect_call, 0
	.section	.AMDGPU.csdata,"",@progbits
; Kernel info:
; codeLenInByte = 644
; TotalNumSgprs: 18
; NumVgprs: 12
; ScratchSize: 0
; MemoryBound: 0
; FloatMode: 240
; IeeeMode: 1
; LDSByteSize: 0 bytes/workgroup (compile time only)
; SGPRBlocks: 0
; VGPRBlocks: 0
; NumSGPRsForWavesPerEU: 18
; NumVGPRsForWavesPerEU: 12
; NamedBarCnt: 0
; Occupancy: 16
; WaveLimiterHint : 0
; COMPUTE_PGM_RSRC2:SCRATCH_EN: 0
; COMPUTE_PGM_RSRC2:USER_SGPR: 2
; COMPUTE_PGM_RSRC2:TRAP_HANDLER: 0
; COMPUTE_PGM_RSRC2:TGID_X_EN: 1
; COMPUTE_PGM_RSRC2:TGID_Y_EN: 0
; COMPUTE_PGM_RSRC2:TGID_Z_EN: 0
; COMPUTE_PGM_RSRC2:TIDIG_COMP_CNT: 1
	.section	.text._ZL26rocblas_dot_kernel_inc1by2ILb1ELi1024ELi32ELb1EfPKPKffEviT4_llS4_lliPT5_PT3_,"axG",@progbits,_ZL26rocblas_dot_kernel_inc1by2ILb1ELi1024ELi32ELb1EfPKPKffEviT4_llS4_lliPT5_PT3_,comdat
	.globl	_ZL26rocblas_dot_kernel_inc1by2ILb1ELi1024ELi32ELb1EfPKPKffEviT4_llS4_lliPT5_PT3_ ; -- Begin function _ZL26rocblas_dot_kernel_inc1by2ILb1ELi1024ELi32ELb1EfPKPKffEviT4_llS4_lliPT5_PT3_
	.p2align	8
	.type	_ZL26rocblas_dot_kernel_inc1by2ILb1ELi1024ELi32ELb1EfPKPKffEviT4_llS4_lliPT5_PT3_,@function
_ZL26rocblas_dot_kernel_inc1by2ILb1ELi1024ELi32ELb1EfPKPKffEviT4_llS4_lliPT5_PT3_: ; @_ZL26rocblas_dot_kernel_inc1by2ILb1ELi1024ELi32ELb1EfPKPKffEviT4_llS4_lliPT5_PT3_
; %bb.0:
	s_load_b32 s3, s[0:1], 0x38
	s_bfe_u32 s2, ttmp6, 0x40014
	s_lshr_b32 s4, ttmp7, 16
	s_add_co_i32 s2, s2, 1
	s_bfe_u32 s5, ttmp6, 0x40008
	s_mul_i32 s2, s4, s2
	s_getreg_b32 s6, hwreg(HW_REG_IB_STS2, 6, 4)
	s_add_co_i32 s5, s5, s2
	s_cmp_eq_u32 s6, 0
	s_mov_b32 s13, 0
	s_cselect_b32 s12, s4, s5
	s_wait_kmcnt 0x0
	s_cmp_ge_u32 s12, s3
	s_cbranch_scc1 .LBB225_19
; %bb.1:
	v_mbcnt_lo_u32_b32 v2, -1, 0
	s_clause 0x3
	s_load_b32 s16, s[0:1], 0x0
	s_load_b128 s[4:7], s[0:1], 0x8
	s_load_b64 s[14:15], s[0:1], 0x48
	s_load_b128 s[8:11], s[0:1], 0x20
	v_dual_lshrrev_b32 v3, 3, v0 :: v_dual_bitop2_b32 v1, 31, v0 bitop3:0x40
	s_wait_xcnt 0x0
	v_cmp_gt_u32_e64 s0, 24, v2
	v_lshl_or_b32 v7, v2, 2, 64
	v_cmp_eq_u32_e64 s1, 0, v0
	v_mov_b32_e32 v13, 0
	v_and_b32_e32 v12, 0x7c, v3
	v_cndmask_b32_e64 v4, 0, 8, s0
	v_cmp_gt_u32_e64 s0, 28, v2
	v_cmp_gt_u32_e32 vcc_lo, 32, v0
	s_delay_alu instid0(VALU_DEP_3) | instskip(NEXT) | instid1(VALU_DEP_3)
	v_add_lshl_u32 v8, v4, v2, 2
	v_cndmask_b32_e64 v5, 0, 4, s0
	v_cmp_gt_u32_e64 s0, 30, v2
	s_wait_kmcnt 0x0
	s_ashr_i32 s17, s16, 31
	s_add_co_i32 s22, s16, -1
	v_cndmask_b32_e64 v10, 0, 2, s0
	v_cmp_ne_u32_e64 s0, 31, v2
	v_add_lshl_u32 v9, v5, v2, 2
	s_bitcmp1_b32 s16, 0
	v_add_lshl_u32 v10, v10, v2, 2
	v_add_co_ci_u32_e64 v11, null, 0, v2, s0
	v_lshlrev_b32_e32 v6, 2, v1
	v_cmp_eq_u32_e64 s0, 0, v1
	s_cselect_b32 s23, -1, 0
	v_lshlrev_b32_e32 v11, 2, v11
	s_lshl_b64 s[6:7], s[6:7], 2
	s_lshl_b64 s[10:11], s[10:11], 2
	;; [unrolled: 1-line block ×3, first 2 shown]
	s_branch .LBB225_3
.LBB225_2:                              ;   in Loop: Header=BB225_3 Depth=1
	s_wait_xcnt 0x0
	s_or_b32 exec_lo, exec_lo, s2
	s_add_co_i32 s12, s12, 0x10000
	s_delay_alu instid0(SALU_CYCLE_1)
	s_cmp_lt_u32 s12, s3
	s_cbranch_scc0 .LBB225_19
.LBB225_3:                              ; =>This Loop Header: Depth=1
                                        ;     Child Loop BB225_5 Depth 2
	s_load_b64 s[18:19], s[4:5], s12 offset:0x0 scale_offset
	s_load_b64 s[20:21], s[8:9], s12 offset:0x0 scale_offset
	s_wait_dscnt 0x0
	v_dual_mov_b32 v1, 0 :: v_dual_lshlrev_b32 v0, 1, v0
	s_mov_b32 s24, exec_lo
	s_wait_kmcnt 0x0
	s_add_nc_u64 s[18:19], s[18:19], s[6:7]
	s_add_nc_u64 s[20:21], s[20:21], s[10:11]
	v_cmpx_gt_i32_e64 s22, v0
	s_cbranch_execz .LBB225_7
; %bb.4:                                ;   in Loop: Header=BB225_3 Depth=1
	v_ashrrev_i32_e32 v1, 31, v0
	s_mov_b32 s25, 0
	s_mov_b32 s2, 0
	s_delay_alu instid0(VALU_DEP_1) | instskip(SKIP_1) | instid1(VALU_DEP_2)
	v_lshlrev_b64_e32 v[4:5], 2, v[0:1]
	v_mov_b32_e32 v1, 0
	v_add_nc_u64_e32 v[2:3], s[18:19], v[4:5]
	v_add_nc_u64_e32 v[4:5], s[20:21], v[4:5]
.LBB225_5:                              ;   Parent Loop BB225_3 Depth=1
                                        ; =>  This Inner Loop Header: Depth=2
	flat_load_b64 v[14:15], v[4:5]
	flat_load_b64 v[16:17], v[2:3]
	s_add_co_i32 s26, s2, 1
	s_cmp_gt_u32 s2, 30
	s_wait_xcnt 0x0
	v_add_nc_u64_e32 v[2:3], 0x2000, v[2:3]
	s_cselect_b32 s27, -1, 0
	v_add_nc_u64_e32 v[4:5], 0x2000, v[4:5]
	s_wait_loadcnt_dscnt 0x0
	v_pk_mul_f32 v[14:15], v[14:15], v[16:17]
	s_delay_alu instid0(VALU_DEP_1) | instskip(NEXT) | instid1(VALU_DEP_1)
	v_dual_add_f32 v1, v1, v14 :: v_dual_add_nc_u32 v0, 0x800, v0
	v_cmp_le_i32_e64 s2, s22, v0
	s_delay_alu instid0(VALU_DEP_2) | instskip(SKIP_1) | instid1(SALU_CYCLE_1)
	v_add_f32_e32 v1, v1, v15
	s_or_b32 s2, s27, s2
	s_and_b32 s2, exec_lo, s2
	s_delay_alu instid0(SALU_CYCLE_1)
	s_or_b32 s25, s2, s25
	s_mov_b32 s2, s26
	s_and_not1_b32 exec_lo, exec_lo, s25
	s_cbranch_execnz .LBB225_5
; %bb.6:                                ;   in Loop: Header=BB225_3 Depth=1
	s_or_b32 exec_lo, exec_lo, s25
.LBB225_7:                              ;   in Loop: Header=BB225_3 Depth=1
	s_delay_alu instid0(SALU_CYCLE_1) | instskip(SKIP_2) | instid1(SALU_CYCLE_1)
	s_or_b32 exec_lo, exec_lo, s24
	v_cmp_eq_u32_e64 s2, s22, v0
	s_and_b32 s24, s23, s2
	s_and_saveexec_b32 s2, s24
	s_cbranch_execz .LBB225_9
; %bb.8:                                ;   in Loop: Header=BB225_3 Depth=1
	s_add_nc_u64 s[20:21], s[20:21], s[16:17]
	s_add_nc_u64 s[18:19], s[18:19], s[16:17]
	s_clause 0x1
	flat_load_b32 v2, v13, s[20:21] offset:-4
	flat_load_b32 v3, v13, s[18:19] offset:-4
	s_wait_loadcnt_dscnt 0x0
	v_fmac_f32_e32 v1, v2, v3
.LBB225_9:                              ;   in Loop: Header=BB225_3 Depth=1
	s_wait_xcnt 0x0
	s_or_b32 exec_lo, exec_lo, s2
	s_and_saveexec_b32 s2, vcc_lo
; %bb.10:                               ;   in Loop: Header=BB225_3 Depth=1
	ds_store_b32 v6, v13
; %bb.11:                               ;   in Loop: Header=BB225_3 Depth=1
	s_or_b32 exec_lo, exec_lo, s2
	ds_bpermute_b32 v2, v7, v1
	s_wait_dscnt 0x0
	s_barrier_signal -1
	s_barrier_wait -1
	v_add_f32_e32 v1, v1, v2
	ds_bpermute_b32 v2, v8, v1
	s_wait_dscnt 0x0
	v_add_f32_e32 v1, v1, v2
	ds_bpermute_b32 v2, v9, v1
	s_wait_dscnt 0x0
	;; [unrolled: 3-line block ×3, first 2 shown]
	v_add_f32_e32 v1, v1, v2
	ds_bpermute_b32 v2, v11, v1
	s_and_saveexec_b32 s2, s0
	s_cbranch_execz .LBB225_13
; %bb.12:                               ;   in Loop: Header=BB225_3 Depth=1
	s_wait_dscnt 0x0
	v_add_f32_e32 v1, v1, v2
	ds_store_b32 v12, v1
.LBB225_13:                             ;   in Loop: Header=BB225_3 Depth=1
	s_or_b32 exec_lo, exec_lo, s2
	v_mov_b32_e32 v1, 0
	s_wait_dscnt 0x0
	s_barrier_signal -1
	s_barrier_wait -1
	s_and_saveexec_b32 s2, vcc_lo
	s_cbranch_execnz .LBB225_16
; %bb.14:                               ;   in Loop: Header=BB225_3 Depth=1
	s_or_b32 exec_lo, exec_lo, s2
	s_and_saveexec_b32 s2, vcc_lo
	s_cbranch_execnz .LBB225_17
.LBB225_15:                             ;   in Loop: Header=BB225_3 Depth=1
	s_or_b32 exec_lo, exec_lo, s2
	s_and_saveexec_b32 s2, s1
	s_cbranch_execz .LBB225_2
	s_branch .LBB225_18
.LBB225_16:                             ;   in Loop: Header=BB225_3 Depth=1
	ds_load_b32 v1, v6
	s_or_b32 exec_lo, exec_lo, s2
	s_and_saveexec_b32 s2, vcc_lo
	s_cbranch_execz .LBB225_15
.LBB225_17:                             ;   in Loop: Header=BB225_3 Depth=1
	s_wait_dscnt 0x0
	ds_bpermute_b32 v2, v7, v1
	s_wait_dscnt 0x0
	v_add_f32_e32 v1, v1, v2
	ds_bpermute_b32 v2, v8, v1
	s_wait_dscnt 0x0
	v_add_f32_e32 v1, v1, v2
	ds_bpermute_b32 v2, v9, v1
	s_wait_dscnt 0x0
	v_add_f32_e32 v1, v1, v2
	ds_bpermute_b32 v2, v10, v1
	s_wait_dscnt 0x0
	v_add_f32_e32 v1, v1, v2
	ds_bpermute_b32 v2, v11, v1
	s_wait_dscnt 0x0
	v_add_f32_e32 v1, v1, v2
	s_or_b32 exec_lo, exec_lo, s2
	s_and_saveexec_b32 s2, s1
	s_cbranch_execz .LBB225_2
.LBB225_18:                             ;   in Loop: Header=BB225_3 Depth=1
	s_lshl_b64 s[18:19], s[12:13], 2
	s_delay_alu instid0(SALU_CYCLE_1)
	s_add_nc_u64 s[18:19], s[14:15], s[18:19]
	s_wait_dscnt 0x0
	global_store_b32 v13, v1, s[18:19]
	s_branch .LBB225_2
.LBB225_19:
	s_endpgm
	.section	.rodata,"a",@progbits
	.p2align	6, 0x0
	.amdhsa_kernel _ZL26rocblas_dot_kernel_inc1by2ILb1ELi1024ELi32ELb1EfPKPKffEviT4_llS4_lliPT5_PT3_
		.amdhsa_group_segment_fixed_size 128
		.amdhsa_private_segment_fixed_size 0
		.amdhsa_kernarg_size 80
		.amdhsa_user_sgpr_count 2
		.amdhsa_user_sgpr_dispatch_ptr 0
		.amdhsa_user_sgpr_queue_ptr 0
		.amdhsa_user_sgpr_kernarg_segment_ptr 1
		.amdhsa_user_sgpr_dispatch_id 0
		.amdhsa_user_sgpr_kernarg_preload_length 0
		.amdhsa_user_sgpr_kernarg_preload_offset 0
		.amdhsa_user_sgpr_private_segment_size 0
		.amdhsa_wavefront_size32 1
		.amdhsa_uses_dynamic_stack 0
		.amdhsa_enable_private_segment 0
		.amdhsa_system_sgpr_workgroup_id_x 1
		.amdhsa_system_sgpr_workgroup_id_y 0
		.amdhsa_system_sgpr_workgroup_id_z 1
		.amdhsa_system_sgpr_workgroup_info 0
		.amdhsa_system_vgpr_workitem_id 0
		.amdhsa_next_free_vgpr 18
		.amdhsa_next_free_sgpr 28
		.amdhsa_named_barrier_count 0
		.amdhsa_reserve_vcc 1
		.amdhsa_float_round_mode_32 0
		.amdhsa_float_round_mode_16_64 0
		.amdhsa_float_denorm_mode_32 3
		.amdhsa_float_denorm_mode_16_64 3
		.amdhsa_fp16_overflow 0
		.amdhsa_memory_ordered 1
		.amdhsa_forward_progress 1
		.amdhsa_inst_pref_size 8
		.amdhsa_round_robin_scheduling 0
		.amdhsa_exception_fp_ieee_invalid_op 0
		.amdhsa_exception_fp_denorm_src 0
		.amdhsa_exception_fp_ieee_div_zero 0
		.amdhsa_exception_fp_ieee_overflow 0
		.amdhsa_exception_fp_ieee_underflow 0
		.amdhsa_exception_fp_ieee_inexact 0
		.amdhsa_exception_int_div_zero 0
	.end_amdhsa_kernel
	.section	.text._ZL26rocblas_dot_kernel_inc1by2ILb1ELi1024ELi32ELb1EfPKPKffEviT4_llS4_lliPT5_PT3_,"axG",@progbits,_ZL26rocblas_dot_kernel_inc1by2ILb1ELi1024ELi32ELb1EfPKPKffEviT4_llS4_lliPT5_PT3_,comdat
.Lfunc_end225:
	.size	_ZL26rocblas_dot_kernel_inc1by2ILb1ELi1024ELi32ELb1EfPKPKffEviT4_llS4_lliPT5_PT3_, .Lfunc_end225-_ZL26rocblas_dot_kernel_inc1by2ILb1ELi1024ELi32ELb1EfPKPKffEviT4_llS4_lliPT5_PT3_
                                        ; -- End function
	.set _ZL26rocblas_dot_kernel_inc1by2ILb1ELi1024ELi32ELb1EfPKPKffEviT4_llS4_lliPT5_PT3_.num_vgpr, 18
	.set _ZL26rocblas_dot_kernel_inc1by2ILb1ELi1024ELi32ELb1EfPKPKffEviT4_llS4_lliPT5_PT3_.num_agpr, 0
	.set _ZL26rocblas_dot_kernel_inc1by2ILb1ELi1024ELi32ELb1EfPKPKffEviT4_llS4_lliPT5_PT3_.numbered_sgpr, 28
	.set _ZL26rocblas_dot_kernel_inc1by2ILb1ELi1024ELi32ELb1EfPKPKffEviT4_llS4_lliPT5_PT3_.num_named_barrier, 0
	.set _ZL26rocblas_dot_kernel_inc1by2ILb1ELi1024ELi32ELb1EfPKPKffEviT4_llS4_lliPT5_PT3_.private_seg_size, 0
	.set _ZL26rocblas_dot_kernel_inc1by2ILb1ELi1024ELi32ELb1EfPKPKffEviT4_llS4_lliPT5_PT3_.uses_vcc, 1
	.set _ZL26rocblas_dot_kernel_inc1by2ILb1ELi1024ELi32ELb1EfPKPKffEviT4_llS4_lliPT5_PT3_.uses_flat_scratch, 1
	.set _ZL26rocblas_dot_kernel_inc1by2ILb1ELi1024ELi32ELb1EfPKPKffEviT4_llS4_lliPT5_PT3_.has_dyn_sized_stack, 0
	.set _ZL26rocblas_dot_kernel_inc1by2ILb1ELi1024ELi32ELb1EfPKPKffEviT4_llS4_lliPT5_PT3_.has_recursion, 0
	.set _ZL26rocblas_dot_kernel_inc1by2ILb1ELi1024ELi32ELb1EfPKPKffEviT4_llS4_lliPT5_PT3_.has_indirect_call, 0
	.section	.AMDGPU.csdata,"",@progbits
; Kernel info:
; codeLenInByte = 960
; TotalNumSgprs: 30
; NumVgprs: 18
; ScratchSize: 0
; MemoryBound: 0
; FloatMode: 240
; IeeeMode: 1
; LDSByteSize: 128 bytes/workgroup (compile time only)
; SGPRBlocks: 0
; VGPRBlocks: 1
; NumSGPRsForWavesPerEU: 30
; NumVGPRsForWavesPerEU: 18
; NamedBarCnt: 0
; Occupancy: 16
; WaveLimiterHint : 1
; COMPUTE_PGM_RSRC2:SCRATCH_EN: 0
; COMPUTE_PGM_RSRC2:USER_SGPR: 2
; COMPUTE_PGM_RSRC2:TRAP_HANDLER: 0
; COMPUTE_PGM_RSRC2:TGID_X_EN: 1
; COMPUTE_PGM_RSRC2:TGID_Y_EN: 0
; COMPUTE_PGM_RSRC2:TGID_Z_EN: 1
; COMPUTE_PGM_RSRC2:TIDIG_COMP_CNT: 0
	.section	.text._ZL18rocblas_dot_kernelIiLb1ELi1024ELi32ELb1EfPKPKffEviT5_lT_lS4_lS5_liPT6_PT4_,"axG",@progbits,_ZL18rocblas_dot_kernelIiLb1ELi1024ELi32ELb1EfPKPKffEviT5_lT_lS4_lS5_liPT6_PT4_,comdat
	.globl	_ZL18rocblas_dot_kernelIiLb1ELi1024ELi32ELb1EfPKPKffEviT5_lT_lS4_lS5_liPT6_PT4_ ; -- Begin function _ZL18rocblas_dot_kernelIiLb1ELi1024ELi32ELb1EfPKPKffEviT5_lT_lS4_lS5_liPT6_PT4_
	.p2align	8
	.type	_ZL18rocblas_dot_kernelIiLb1ELi1024ELi32ELb1EfPKPKffEviT5_lT_lS4_lS5_liPT6_PT4_,@function
_ZL18rocblas_dot_kernelIiLb1ELi1024ELi32ELb1EfPKPKffEviT5_lT_lS4_lS5_liPT6_PT4_: ; @_ZL18rocblas_dot_kernelIiLb1ELi1024ELi32ELb1EfPKPKffEviT5_lT_lS4_lS5_liPT6_PT4_
; %bb.0:
	s_load_b32 s3, s[0:1], 0x48
	s_bfe_u32 s2, ttmp6, 0x40014
	s_lshr_b32 s4, ttmp7, 16
	s_add_co_i32 s2, s2, 1
	s_bfe_u32 s5, ttmp6, 0x40008
	s_mul_i32 s2, s4, s2
	s_getreg_b32 s6, hwreg(HW_REG_IB_STS2, 6, 4)
	s_add_co_i32 s5, s5, s2
	s_cmp_eq_u32 s6, 0
	s_mov_b32 s17, 0
	s_cselect_b32 s16, s4, s5
	s_wait_kmcnt 0x0
	s_cmp_ge_u32 s16, s3
	s_cbranch_scc1 .LBB226_17
; %bb.1:
	v_mbcnt_lo_u32_b32 v3, -1, 0
	s_clause 0x5
	s_load_b32 s18, s[0:1], 0x18
	s_load_b32 s22, s[0:1], 0x38
	s_load_b96 s[12:14], s[0:1], 0x58
	s_load_b128 s[4:7], s[0:1], 0x28
	s_load_b128 s[8:11], s[0:1], 0x8
	s_load_b32 s26, s[0:1], 0x0
	v_and_b32_e32 v2, 31, v0
	s_wait_xcnt 0x0
	v_cmp_eq_u32_e64 s1, 0, v0
	v_cmp_gt_u32_e64 s0, 24, v3
	v_lshl_or_b32 v6, v3, 2, 64
	v_cmp_gt_u32_e32 vcc_lo, 32, v0
	v_mov_b32_e32 v12, 0
	s_delay_alu instid0(VALU_DEP_4) | instskip(SKIP_1) | instid1(VALU_DEP_2)
	v_cndmask_b32_e64 v4, 0, 8, s0
	v_cmp_gt_u32_e64 s0, 28, v3
	v_add_lshl_u32 v7, v4, v3, 2
	s_delay_alu instid0(VALU_DEP_2)
	v_cndmask_b32_e64 v5, 0, 4, s0
	v_cmp_gt_u32_e64 s0, 30, v3
	v_lshrrev_b32_e32 v4, 3, v0
	s_wait_kmcnt 0x0
	s_ashr_i32 s19, s18, 31
	s_lshl_b32 s14, s14, 10
	s_ashr_i32 s23, s22, 31
	v_cndmask_b32_e64 v9, 0, 2, s0
	v_cmp_ne_u32_e64 s0, 31, v3
	s_ashr_i32 s15, s14, 31
	v_lshlrev_b32_e32 v1, 2, v2
	v_add_lshl_u32 v8, v5, v3, 2
	v_add_lshl_u32 v9, v9, v3, 2
	v_add_co_ci_u32_e64 v10, null, 0, v3, s0
	v_cmp_eq_u32_e64 s0, 0, v2
	v_and_b32_e32 v11, 0x7c, v4
	s_mul_u64 s[20:21], s[18:19], s[14:15]
	v_lshlrev_b32_e32 v10, 2, v10
	s_mul_u64 s[24:25], s[22:23], s[14:15]
	s_lshl_b64 s[10:11], s[10:11], 2
	s_lshl_b64 s[18:19], s[18:19], 2
	;; [unrolled: 1-line block ×6, first 2 shown]
	s_branch .LBB226_3
.LBB226_2:                              ;   in Loop: Header=BB226_3 Depth=1
	s_wait_xcnt 0x0
	s_or_b32 exec_lo, exec_lo, s2
	s_add_co_i32 s16, s16, 0x10000
	s_delay_alu instid0(SALU_CYCLE_1)
	s_cmp_lt_u32 s16, s3
	s_cbranch_scc0 .LBB226_17
.LBB226_3:                              ; =>This Loop Header: Depth=1
                                        ;     Child Loop BB226_5 Depth 2
	v_mov_b32_e32 v13, 0
	s_mov_b32 s15, exec_lo
	v_cmpx_gt_i32_e64 s26, v0
	s_cbranch_execz .LBB226_7
; %bb.4:                                ;   in Loop: Header=BB226_3 Depth=1
	s_lshl_b64 s[28:29], s[16:17], 3
	v_ashrrev_i32_e32 v13, 31, v0
	s_add_nc_u64 s[30:31], s[8:9], s[28:29]
	s_add_nc_u64 s[28:29], s[4:5], s[28:29]
	s_load_b64 s[34:35], s[30:31], 0x0
	s_load_b64 s[36:37], s[28:29], 0x0
	s_mov_b32 s27, 0
	s_wait_kmcnt 0x0
	s_wait_xcnt 0x0
	s_add_nc_u64 s[28:29], s[34:35], s[10:11]
	s_add_nc_u64 s[30:31], s[36:37], s[6:7]
	s_wait_dscnt 0x0
	v_mad_nc_u64_u32 v[2:3], s18, v0, s[28:29]
	v_mad_nc_u64_u32 v[4:5], s22, v0, s[30:31]
	s_mov_b32 s28, 0
	s_delay_alu instid0(VALU_DEP_2) | instskip(NEXT) | instid1(VALU_DEP_2)
	v_mad_u32 v3, s19, v0, v3
	v_mad_u32 v5, s23, v0, v5
	s_delay_alu instid0(VALU_DEP_2) | instskip(NEXT) | instid1(VALU_DEP_2)
	v_mad_u32 v3, s18, v13, v3
	v_mad_u32 v5, s22, v13, v5
	v_mov_b32_e32 v13, 0
.LBB226_5:                              ;   Parent Loop BB226_3 Depth=1
                                        ; =>  This Inner Loop Header: Depth=2
	flat_load_b32 v14, v[4:5]
	flat_load_b32 v15, v[2:3]
	v_add_nc_u32_e32 v0, s14, v0
	s_add_co_i32 s29, s28, 1
	s_cmp_gt_u32 s28, 30
	s_wait_xcnt 0x0
	v_add_nc_u64_e32 v[2:3], s[20:21], v[2:3]
	s_cselect_b32 s28, -1, 0
	v_add_nc_u64_e32 v[4:5], s[24:25], v[4:5]
	s_wait_loadcnt_dscnt 0x0
	v_fmac_f32_e32 v13, v14, v15
	v_cmp_le_i32_e64 s2, s26, v0
	s_or_b32 s2, s28, s2
	s_mov_b32 s28, s29
	s_and_b32 s2, exec_lo, s2
	s_delay_alu instid0(SALU_CYCLE_1) | instskip(NEXT) | instid1(SALU_CYCLE_1)
	s_or_b32 s27, s2, s27
	s_and_not1_b32 exec_lo, exec_lo, s27
	s_cbranch_execnz .LBB226_5
; %bb.6:                                ;   in Loop: Header=BB226_3 Depth=1
	s_or_b32 exec_lo, exec_lo, s27
.LBB226_7:                              ;   in Loop: Header=BB226_3 Depth=1
	s_delay_alu instid0(SALU_CYCLE_1)
	s_or_b32 exec_lo, exec_lo, s15
	s_and_saveexec_b32 s2, vcc_lo
; %bb.8:                                ;   in Loop: Header=BB226_3 Depth=1
	ds_store_b32 v1, v12
; %bb.9:                                ;   in Loop: Header=BB226_3 Depth=1
	s_or_b32 exec_lo, exec_lo, s2
	s_wait_dscnt 0x0
	ds_bpermute_b32 v2, v6, v13
	s_wait_dscnt 0x0
	s_barrier_signal -1
	s_barrier_wait -1
	v_add_f32_e32 v2, v13, v2
	ds_bpermute_b32 v3, v7, v2
	s_wait_dscnt 0x0
	v_add_f32_e32 v2, v2, v3
	ds_bpermute_b32 v3, v8, v2
	s_wait_dscnt 0x0
	;; [unrolled: 3-line block ×3, first 2 shown]
	v_add_f32_e32 v2, v2, v3
	ds_bpermute_b32 v3, v10, v2
	s_and_saveexec_b32 s2, s0
	s_cbranch_execz .LBB226_11
; %bb.10:                               ;   in Loop: Header=BB226_3 Depth=1
	s_wait_dscnt 0x0
	v_add_f32_e32 v2, v2, v3
	ds_store_b32 v11, v2
.LBB226_11:                             ;   in Loop: Header=BB226_3 Depth=1
	s_or_b32 exec_lo, exec_lo, s2
	v_mov_b32_e32 v2, 0
	s_wait_dscnt 0x0
	s_barrier_signal -1
	s_barrier_wait -1
	s_and_saveexec_b32 s2, vcc_lo
	s_cbranch_execnz .LBB226_14
; %bb.12:                               ;   in Loop: Header=BB226_3 Depth=1
	s_or_b32 exec_lo, exec_lo, s2
	s_and_saveexec_b32 s2, vcc_lo
	s_cbranch_execnz .LBB226_15
.LBB226_13:                             ;   in Loop: Header=BB226_3 Depth=1
	s_or_b32 exec_lo, exec_lo, s2
	s_and_saveexec_b32 s2, s1
	s_cbranch_execz .LBB226_2
	s_branch .LBB226_16
.LBB226_14:                             ;   in Loop: Header=BB226_3 Depth=1
	ds_load_b32 v2, v1
	s_or_b32 exec_lo, exec_lo, s2
	s_and_saveexec_b32 s2, vcc_lo
	s_cbranch_execz .LBB226_13
.LBB226_15:                             ;   in Loop: Header=BB226_3 Depth=1
	s_wait_dscnt 0x0
	ds_bpermute_b32 v3, v6, v2
	s_wait_dscnt 0x0
	v_add_f32_e32 v2, v2, v3
	ds_bpermute_b32 v3, v7, v2
	s_wait_dscnt 0x0
	v_add_f32_e32 v2, v2, v3
	;; [unrolled: 3-line block ×5, first 2 shown]
	s_or_b32 exec_lo, exec_lo, s2
	s_and_saveexec_b32 s2, s1
	s_cbranch_execz .LBB226_2
.LBB226_16:                             ;   in Loop: Header=BB226_3 Depth=1
	s_lshl_b64 s[28:29], s[16:17], 2
	s_delay_alu instid0(SALU_CYCLE_1)
	s_add_nc_u64 s[28:29], s[12:13], s[28:29]
	s_wait_dscnt 0x0
	global_store_b32 v12, v2, s[28:29]
	s_branch .LBB226_2
.LBB226_17:
	s_endpgm
	.section	.rodata,"a",@progbits
	.p2align	6, 0x0
	.amdhsa_kernel _ZL18rocblas_dot_kernelIiLb1ELi1024ELi32ELb1EfPKPKffEviT5_lT_lS4_lS5_liPT6_PT4_
		.amdhsa_group_segment_fixed_size 128
		.amdhsa_private_segment_fixed_size 0
		.amdhsa_kernarg_size 352
		.amdhsa_user_sgpr_count 2
		.amdhsa_user_sgpr_dispatch_ptr 0
		.amdhsa_user_sgpr_queue_ptr 0
		.amdhsa_user_sgpr_kernarg_segment_ptr 1
		.amdhsa_user_sgpr_dispatch_id 0
		.amdhsa_user_sgpr_kernarg_preload_length 0
		.amdhsa_user_sgpr_kernarg_preload_offset 0
		.amdhsa_user_sgpr_private_segment_size 0
		.amdhsa_wavefront_size32 1
		.amdhsa_uses_dynamic_stack 0
		.amdhsa_enable_private_segment 0
		.amdhsa_system_sgpr_workgroup_id_x 1
		.amdhsa_system_sgpr_workgroup_id_y 0
		.amdhsa_system_sgpr_workgroup_id_z 1
		.amdhsa_system_sgpr_workgroup_info 0
		.amdhsa_system_vgpr_workitem_id 0
		.amdhsa_next_free_vgpr 16
		.amdhsa_next_free_sgpr 38
		.amdhsa_named_barrier_count 0
		.amdhsa_reserve_vcc 1
		.amdhsa_float_round_mode_32 0
		.amdhsa_float_round_mode_16_64 0
		.amdhsa_float_denorm_mode_32 3
		.amdhsa_float_denorm_mode_16_64 3
		.amdhsa_fp16_overflow 0
		.amdhsa_memory_ordered 1
		.amdhsa_forward_progress 1
		.amdhsa_inst_pref_size 8
		.amdhsa_round_robin_scheduling 0
		.amdhsa_exception_fp_ieee_invalid_op 0
		.amdhsa_exception_fp_denorm_src 0
		.amdhsa_exception_fp_ieee_div_zero 0
		.amdhsa_exception_fp_ieee_overflow 0
		.amdhsa_exception_fp_ieee_underflow 0
		.amdhsa_exception_fp_ieee_inexact 0
		.amdhsa_exception_int_div_zero 0
	.end_amdhsa_kernel
	.section	.text._ZL18rocblas_dot_kernelIiLb1ELi1024ELi32ELb1EfPKPKffEviT5_lT_lS4_lS5_liPT6_PT4_,"axG",@progbits,_ZL18rocblas_dot_kernelIiLb1ELi1024ELi32ELb1EfPKPKffEviT5_lT_lS4_lS5_liPT6_PT4_,comdat
.Lfunc_end226:
	.size	_ZL18rocblas_dot_kernelIiLb1ELi1024ELi32ELb1EfPKPKffEviT5_lT_lS4_lS5_liPT6_PT4_, .Lfunc_end226-_ZL18rocblas_dot_kernelIiLb1ELi1024ELi32ELb1EfPKPKffEviT5_lT_lS4_lS5_liPT6_PT4_
                                        ; -- End function
	.set _ZL18rocblas_dot_kernelIiLb1ELi1024ELi32ELb1EfPKPKffEviT5_lT_lS4_lS5_liPT6_PT4_.num_vgpr, 16
	.set _ZL18rocblas_dot_kernelIiLb1ELi1024ELi32ELb1EfPKPKffEviT5_lT_lS4_lS5_liPT6_PT4_.num_agpr, 0
	.set _ZL18rocblas_dot_kernelIiLb1ELi1024ELi32ELb1EfPKPKffEviT5_lT_lS4_lS5_liPT6_PT4_.numbered_sgpr, 38
	.set _ZL18rocblas_dot_kernelIiLb1ELi1024ELi32ELb1EfPKPKffEviT5_lT_lS4_lS5_liPT6_PT4_.num_named_barrier, 0
	.set _ZL18rocblas_dot_kernelIiLb1ELi1024ELi32ELb1EfPKPKffEviT5_lT_lS4_lS5_liPT6_PT4_.private_seg_size, 0
	.set _ZL18rocblas_dot_kernelIiLb1ELi1024ELi32ELb1EfPKPKffEviT5_lT_lS4_lS5_liPT6_PT4_.uses_vcc, 1
	.set _ZL18rocblas_dot_kernelIiLb1ELi1024ELi32ELb1EfPKPKffEviT5_lT_lS4_lS5_liPT6_PT4_.uses_flat_scratch, 0
	.set _ZL18rocblas_dot_kernelIiLb1ELi1024ELi32ELb1EfPKPKffEviT5_lT_lS4_lS5_liPT6_PT4_.has_dyn_sized_stack, 0
	.set _ZL18rocblas_dot_kernelIiLb1ELi1024ELi32ELb1EfPKPKffEviT5_lT_lS4_lS5_liPT6_PT4_.has_recursion, 0
	.set _ZL18rocblas_dot_kernelIiLb1ELi1024ELi32ELb1EfPKPKffEviT5_lT_lS4_lS5_liPT6_PT4_.has_indirect_call, 0
	.section	.AMDGPU.csdata,"",@progbits
; Kernel info:
; codeLenInByte = 948
; TotalNumSgprs: 40
; NumVgprs: 16
; ScratchSize: 0
; MemoryBound: 0
; FloatMode: 240
; IeeeMode: 1
; LDSByteSize: 128 bytes/workgroup (compile time only)
; SGPRBlocks: 0
; VGPRBlocks: 0
; NumSGPRsForWavesPerEU: 40
; NumVGPRsForWavesPerEU: 16
; NamedBarCnt: 0
; Occupancy: 16
; WaveLimiterHint : 0
; COMPUTE_PGM_RSRC2:SCRATCH_EN: 0
; COMPUTE_PGM_RSRC2:USER_SGPR: 2
; COMPUTE_PGM_RSRC2:TRAP_HANDLER: 0
; COMPUTE_PGM_RSRC2:TGID_X_EN: 1
; COMPUTE_PGM_RSRC2:TGID_Y_EN: 0
; COMPUTE_PGM_RSRC2:TGID_Z_EN: 1
; COMPUTE_PGM_RSRC2:TIDIG_COMP_CNT: 0
	.section	.text._ZL24rocblas_dot_kernel_magsqIiLb1ELi1024ELi32ELb1EfPKPKffEviT5_lT_liPT6_PT4_,"axG",@progbits,_ZL24rocblas_dot_kernel_magsqIiLb1ELi1024ELi32ELb1EfPKPKffEviT5_lT_liPT6_PT4_,comdat
	.globl	_ZL24rocblas_dot_kernel_magsqIiLb1ELi1024ELi32ELb1EfPKPKffEviT5_lT_liPT6_PT4_ ; -- Begin function _ZL24rocblas_dot_kernel_magsqIiLb1ELi1024ELi32ELb1EfPKPKffEviT5_lT_liPT6_PT4_
	.p2align	8
	.type	_ZL24rocblas_dot_kernel_magsqIiLb1ELi1024ELi32ELb1EfPKPKffEviT5_lT_liPT6_PT4_,@function
_ZL24rocblas_dot_kernel_magsqIiLb1ELi1024ELi32ELb1EfPKPKffEviT5_lT_liPT6_PT4_: ; @_ZL24rocblas_dot_kernel_magsqIiLb1ELi1024ELi32ELb1EfPKPKffEviT5_lT_liPT6_PT4_
; %bb.0:
	s_load_b32 s3, s[0:1], 0x28
	s_bfe_u32 s2, ttmp6, 0x40014
	s_lshr_b32 s4, ttmp7, 16
	s_add_co_i32 s2, s2, 1
	s_bfe_u32 s5, ttmp6, 0x40008
	s_mul_i32 s2, s4, s2
	s_getreg_b32 s6, hwreg(HW_REG_IB_STS2, 6, 4)
	s_add_co_i32 s5, s5, s2
	s_cmp_eq_u32 s6, 0
	s_mov_b32 s13, 0
	s_cselect_b32 s12, s4, s5
	s_wait_kmcnt 0x0
	s_cmp_ge_u32 s12, s3
	s_cbranch_scc1 .LBB227_17
; %bb.1:
	v_mbcnt_lo_u32_b32 v3, -1, 0
	s_clause 0x3
	s_load_b32 s14, s[0:1], 0x18
	s_load_b96 s[8:10], s[0:1], 0x38
	s_load_b128 s[4:7], s[0:1], 0x8
	s_load_b32 s18, s[0:1], 0x0
	v_dual_lshrrev_b32 v9, 3, v0 :: v_dual_bitop2_b32 v2, 31, v0 bitop3:0x40
	s_wait_xcnt 0x0
	v_cmp_gt_u32_e64 s0, 24, v3
	v_lshl_or_b32 v4, v3, 2, 64
	v_cmp_eq_u32_e64 s1, 0, v0
	v_mov_b32_e32 v10, 0
	v_and_b32_e32 v9, 0x7c, v9
	v_cndmask_b32_e64 v5, 0, 8, s0
	v_cmp_gt_u32_e64 s0, 28, v3
	v_cmp_gt_u32_e32 vcc_lo, 32, v0
	s_delay_alu instid0(VALU_DEP_3) | instskip(NEXT) | instid1(VALU_DEP_3)
	v_add_lshl_u32 v5, v5, v3, 2
	v_cndmask_b32_e64 v6, 0, 4, s0
	v_cmp_gt_u32_e64 s0, 30, v3
	s_wait_kmcnt 0x0
	s_ashr_i32 s15, s14, 31
	s_lshl_b32 s10, s10, 10
	v_cndmask_b32_e64 v7, 0, 2, s0
	v_cmp_ne_u32_e64 s0, 31, v3
	s_ashr_i32 s11, s10, 31
	v_add_lshl_u32 v6, v6, v3, 2
	s_mul_u64 s[16:17], s[14:15], s[10:11]
	v_add_lshl_u32 v7, v7, v3, 2
	v_add_co_ci_u32_e64 v8, null, 0, v3, s0
	v_lshlrev_b32_e32 v1, 2, v2
	v_cmp_eq_u32_e64 s0, 0, v2
	s_lshl_b64 s[6:7], s[6:7], 2
	v_lshlrev_b32_e32 v8, 2, v8
	s_lshl_b64 s[14:15], s[14:15], 2
	s_lshl_b64 s[16:17], s[16:17], 2
	s_branch .LBB227_3
.LBB227_2:                              ;   in Loop: Header=BB227_3 Depth=1
	s_wait_xcnt 0x0
	s_or_b32 exec_lo, exec_lo, s2
	s_add_co_i32 s12, s12, 0x10000
	s_delay_alu instid0(SALU_CYCLE_1)
	s_cmp_lt_u32 s12, s3
	s_cbranch_scc0 .LBB227_17
.LBB227_3:                              ; =>This Loop Header: Depth=1
                                        ;     Child Loop BB227_5 Depth 2
	v_mov_b32_e32 v11, 0
	s_mov_b32 s11, exec_lo
	v_cmpx_gt_i32_e64 s18, v0
	s_cbranch_execz .LBB227_7
; %bb.4:                                ;   in Loop: Header=BB227_3 Depth=1
	s_lshl_b64 s[20:21], s[12:13], 3
	v_ashrrev_i32_e32 v11, 31, v0
	s_add_nc_u64 s[20:21], s[4:5], s[20:21]
	s_mov_b32 s19, 0
	s_load_b64 s[20:21], s[20:21], 0x0
	s_wait_kmcnt 0x0
	s_wait_xcnt 0x0
	s_add_nc_u64 s[20:21], s[20:21], s[6:7]
	s_wait_dscnt 0x0
	v_mad_nc_u64_u32 v[2:3], s14, v0, s[20:21]
	s_mov_b32 s20, 0
	s_delay_alu instid0(VALU_DEP_1) | instskip(NEXT) | instid1(VALU_DEP_1)
	v_mad_u32 v3, s15, v0, v3
	v_mad_u32 v3, s14, v11, v3
	v_mov_b32_e32 v11, 0
.LBB227_5:                              ;   Parent Loop BB227_3 Depth=1
                                        ; =>  This Inner Loop Header: Depth=2
	flat_load_b32 v12, v[2:3]
	v_add_nc_u32_e32 v0, s10, v0
	s_add_co_i32 s21, s20, 1
	s_cmp_gt_u32 s20, 30
	s_wait_xcnt 0x0
	v_add_nc_u64_e32 v[2:3], s[16:17], v[2:3]
	s_cselect_b32 s20, -1, 0
	v_cmp_le_i32_e64 s2, s18, v0
	s_or_b32 s2, s20, s2
	s_mov_b32 s20, s21
	s_and_b32 s2, exec_lo, s2
	s_delay_alu instid0(SALU_CYCLE_1)
	s_or_b32 s19, s2, s19
	s_wait_loadcnt_dscnt 0x0
	v_fmac_f32_e32 v11, v12, v12
	s_and_not1_b32 exec_lo, exec_lo, s19
	s_cbranch_execnz .LBB227_5
; %bb.6:                                ;   in Loop: Header=BB227_3 Depth=1
	s_or_b32 exec_lo, exec_lo, s19
.LBB227_7:                              ;   in Loop: Header=BB227_3 Depth=1
	s_delay_alu instid0(SALU_CYCLE_1)
	s_or_b32 exec_lo, exec_lo, s11
	s_and_saveexec_b32 s2, vcc_lo
; %bb.8:                                ;   in Loop: Header=BB227_3 Depth=1
	ds_store_b32 v1, v10
; %bb.9:                                ;   in Loop: Header=BB227_3 Depth=1
	s_or_b32 exec_lo, exec_lo, s2
	s_wait_dscnt 0x0
	ds_bpermute_b32 v2, v4, v11
	s_wait_dscnt 0x0
	s_barrier_signal -1
	s_barrier_wait -1
	v_add_f32_e32 v2, v11, v2
	ds_bpermute_b32 v3, v5, v2
	s_wait_dscnt 0x0
	v_add_f32_e32 v2, v2, v3
	ds_bpermute_b32 v3, v6, v2
	s_wait_dscnt 0x0
	;; [unrolled: 3-line block ×3, first 2 shown]
	v_add_f32_e32 v2, v2, v3
	ds_bpermute_b32 v3, v8, v2
	s_and_saveexec_b32 s2, s0
	s_cbranch_execz .LBB227_11
; %bb.10:                               ;   in Loop: Header=BB227_3 Depth=1
	s_wait_dscnt 0x0
	v_add_f32_e32 v2, v2, v3
	ds_store_b32 v9, v2
.LBB227_11:                             ;   in Loop: Header=BB227_3 Depth=1
	s_or_b32 exec_lo, exec_lo, s2
	v_mov_b32_e32 v2, 0
	s_wait_dscnt 0x0
	s_barrier_signal -1
	s_barrier_wait -1
	s_and_saveexec_b32 s2, vcc_lo
	s_cbranch_execnz .LBB227_14
; %bb.12:                               ;   in Loop: Header=BB227_3 Depth=1
	s_or_b32 exec_lo, exec_lo, s2
	s_and_saveexec_b32 s2, vcc_lo
	s_cbranch_execnz .LBB227_15
.LBB227_13:                             ;   in Loop: Header=BB227_3 Depth=1
	s_or_b32 exec_lo, exec_lo, s2
	s_and_saveexec_b32 s2, s1
	s_cbranch_execz .LBB227_2
	s_branch .LBB227_16
.LBB227_14:                             ;   in Loop: Header=BB227_3 Depth=1
	ds_load_b32 v2, v1
	s_or_b32 exec_lo, exec_lo, s2
	s_and_saveexec_b32 s2, vcc_lo
	s_cbranch_execz .LBB227_13
.LBB227_15:                             ;   in Loop: Header=BB227_3 Depth=1
	s_wait_dscnt 0x0
	ds_bpermute_b32 v3, v4, v2
	s_wait_dscnt 0x0
	v_add_f32_e32 v2, v2, v3
	ds_bpermute_b32 v3, v5, v2
	s_wait_dscnt 0x0
	v_add_f32_e32 v2, v2, v3
	;; [unrolled: 3-line block ×5, first 2 shown]
	s_or_b32 exec_lo, exec_lo, s2
	s_and_saveexec_b32 s2, s1
	s_cbranch_execz .LBB227_2
.LBB227_16:                             ;   in Loop: Header=BB227_3 Depth=1
	s_lshl_b64 s[20:21], s[12:13], 2
	s_delay_alu instid0(SALU_CYCLE_1)
	s_add_nc_u64 s[20:21], s[8:9], s[20:21]
	s_wait_dscnt 0x0
	global_store_b32 v10, v2, s[20:21]
	s_branch .LBB227_2
.LBB227_17:
	s_endpgm
	.section	.rodata,"a",@progbits
	.p2align	6, 0x0
	.amdhsa_kernel _ZL24rocblas_dot_kernel_magsqIiLb1ELi1024ELi32ELb1EfPKPKffEviT5_lT_liPT6_PT4_
		.amdhsa_group_segment_fixed_size 128
		.amdhsa_private_segment_fixed_size 0
		.amdhsa_kernarg_size 320
		.amdhsa_user_sgpr_count 2
		.amdhsa_user_sgpr_dispatch_ptr 0
		.amdhsa_user_sgpr_queue_ptr 0
		.amdhsa_user_sgpr_kernarg_segment_ptr 1
		.amdhsa_user_sgpr_dispatch_id 0
		.amdhsa_user_sgpr_kernarg_preload_length 0
		.amdhsa_user_sgpr_kernarg_preload_offset 0
		.amdhsa_user_sgpr_private_segment_size 0
		.amdhsa_wavefront_size32 1
		.amdhsa_uses_dynamic_stack 0
		.amdhsa_enable_private_segment 0
		.amdhsa_system_sgpr_workgroup_id_x 1
		.amdhsa_system_sgpr_workgroup_id_y 0
		.amdhsa_system_sgpr_workgroup_id_z 1
		.amdhsa_system_sgpr_workgroup_info 0
		.amdhsa_system_vgpr_workitem_id 0
		.amdhsa_next_free_vgpr 13
		.amdhsa_next_free_sgpr 22
		.amdhsa_named_barrier_count 0
		.amdhsa_reserve_vcc 1
		.amdhsa_float_round_mode_32 0
		.amdhsa_float_round_mode_16_64 0
		.amdhsa_float_denorm_mode_32 3
		.amdhsa_float_denorm_mode_16_64 3
		.amdhsa_fp16_overflow 0
		.amdhsa_memory_ordered 1
		.amdhsa_forward_progress 1
		.amdhsa_inst_pref_size 7
		.amdhsa_round_robin_scheduling 0
		.amdhsa_exception_fp_ieee_invalid_op 0
		.amdhsa_exception_fp_denorm_src 0
		.amdhsa_exception_fp_ieee_div_zero 0
		.amdhsa_exception_fp_ieee_overflow 0
		.amdhsa_exception_fp_ieee_underflow 0
		.amdhsa_exception_fp_ieee_inexact 0
		.amdhsa_exception_int_div_zero 0
	.end_amdhsa_kernel
	.section	.text._ZL24rocblas_dot_kernel_magsqIiLb1ELi1024ELi32ELb1EfPKPKffEviT5_lT_liPT6_PT4_,"axG",@progbits,_ZL24rocblas_dot_kernel_magsqIiLb1ELi1024ELi32ELb1EfPKPKffEviT5_lT_liPT6_PT4_,comdat
.Lfunc_end227:
	.size	_ZL24rocblas_dot_kernel_magsqIiLb1ELi1024ELi32ELb1EfPKPKffEviT5_lT_liPT6_PT4_, .Lfunc_end227-_ZL24rocblas_dot_kernel_magsqIiLb1ELi1024ELi32ELb1EfPKPKffEviT5_lT_liPT6_PT4_
                                        ; -- End function
	.set _ZL24rocblas_dot_kernel_magsqIiLb1ELi1024ELi32ELb1EfPKPKffEviT5_lT_liPT6_PT4_.num_vgpr, 13
	.set _ZL24rocblas_dot_kernel_magsqIiLb1ELi1024ELi32ELb1EfPKPKffEviT5_lT_liPT6_PT4_.num_agpr, 0
	.set _ZL24rocblas_dot_kernel_magsqIiLb1ELi1024ELi32ELb1EfPKPKffEviT5_lT_liPT6_PT4_.numbered_sgpr, 22
	.set _ZL24rocblas_dot_kernel_magsqIiLb1ELi1024ELi32ELb1EfPKPKffEviT5_lT_liPT6_PT4_.num_named_barrier, 0
	.set _ZL24rocblas_dot_kernel_magsqIiLb1ELi1024ELi32ELb1EfPKPKffEviT5_lT_liPT6_PT4_.private_seg_size, 0
	.set _ZL24rocblas_dot_kernel_magsqIiLb1ELi1024ELi32ELb1EfPKPKffEviT5_lT_liPT6_PT4_.uses_vcc, 1
	.set _ZL24rocblas_dot_kernel_magsqIiLb1ELi1024ELi32ELb1EfPKPKffEviT5_lT_liPT6_PT4_.uses_flat_scratch, 0
	.set _ZL24rocblas_dot_kernel_magsqIiLb1ELi1024ELi32ELb1EfPKPKffEviT5_lT_liPT6_PT4_.has_dyn_sized_stack, 0
	.set _ZL24rocblas_dot_kernel_magsqIiLb1ELi1024ELi32ELb1EfPKPKffEviT5_lT_liPT6_PT4_.has_recursion, 0
	.set _ZL24rocblas_dot_kernel_magsqIiLb1ELi1024ELi32ELb1EfPKPKffEviT5_lT_liPT6_PT4_.has_indirect_call, 0
	.section	.AMDGPU.csdata,"",@progbits
; Kernel info:
; codeLenInByte = 852
; TotalNumSgprs: 24
; NumVgprs: 13
; ScratchSize: 0
; MemoryBound: 0
; FloatMode: 240
; IeeeMode: 1
; LDSByteSize: 128 bytes/workgroup (compile time only)
; SGPRBlocks: 0
; VGPRBlocks: 0
; NumSGPRsForWavesPerEU: 24
; NumVGPRsForWavesPerEU: 13
; NamedBarCnt: 0
; Occupancy: 16
; WaveLimiterHint : 0
; COMPUTE_PGM_RSRC2:SCRATCH_EN: 0
; COMPUTE_PGM_RSRC2:USER_SGPR: 2
; COMPUTE_PGM_RSRC2:TRAP_HANDLER: 0
; COMPUTE_PGM_RSRC2:TGID_X_EN: 1
; COMPUTE_PGM_RSRC2:TGID_Y_EN: 0
; COMPUTE_PGM_RSRC2:TGID_Z_EN: 1
; COMPUTE_PGM_RSRC2:TIDIG_COMP_CNT: 0
	.section	.text._ZL38rocblas_dot_kernel_gfx942_float_doubleIiLi1024EfPKPKffEviT2_lT_lS4_lS5_lPT3_PT1_,"axG",@progbits,_ZL38rocblas_dot_kernel_gfx942_float_doubleIiLi1024EfPKPKffEviT2_lT_lS4_lS5_lPT3_PT1_,comdat
	.globl	_ZL38rocblas_dot_kernel_gfx942_float_doubleIiLi1024EfPKPKffEviT2_lT_lS4_lS5_lPT3_PT1_ ; -- Begin function _ZL38rocblas_dot_kernel_gfx942_float_doubleIiLi1024EfPKPKffEviT2_lT_lS4_lS5_lPT3_PT1_
	.p2align	8
	.type	_ZL38rocblas_dot_kernel_gfx942_float_doubleIiLi1024EfPKPKffEviT2_lT_lS4_lS5_lPT3_PT1_,@function
_ZL38rocblas_dot_kernel_gfx942_float_doubleIiLi1024EfPKPKffEviT2_lT_lS4_lS5_lPT3_PT1_: ; @_ZL38rocblas_dot_kernel_gfx942_float_doubleIiLi1024EfPKPKffEviT2_lT_lS4_lS5_lPT3_PT1_
; %bb.0:
	s_endpgm
	.section	.rodata,"a",@progbits
	.p2align	6, 0x0
	.amdhsa_kernel _ZL38rocblas_dot_kernel_gfx942_float_doubleIiLi1024EfPKPKffEviT2_lT_lS4_lS5_lPT3_PT1_
		.amdhsa_group_segment_fixed_size 0
		.amdhsa_private_segment_fixed_size 0
		.amdhsa_kernarg_size 88
		.amdhsa_user_sgpr_count 2
		.amdhsa_user_sgpr_dispatch_ptr 0
		.amdhsa_user_sgpr_queue_ptr 0
		.amdhsa_user_sgpr_kernarg_segment_ptr 1
		.amdhsa_user_sgpr_dispatch_id 0
		.amdhsa_user_sgpr_kernarg_preload_length 0
		.amdhsa_user_sgpr_kernarg_preload_offset 0
		.amdhsa_user_sgpr_private_segment_size 0
		.amdhsa_wavefront_size32 1
		.amdhsa_uses_dynamic_stack 0
		.amdhsa_enable_private_segment 0
		.amdhsa_system_sgpr_workgroup_id_x 1
		.amdhsa_system_sgpr_workgroup_id_y 0
		.amdhsa_system_sgpr_workgroup_id_z 0
		.amdhsa_system_sgpr_workgroup_info 0
		.amdhsa_system_vgpr_workitem_id 0
		.amdhsa_next_free_vgpr 1
		.amdhsa_next_free_sgpr 1
		.amdhsa_named_barrier_count 0
		.amdhsa_reserve_vcc 0
		.amdhsa_float_round_mode_32 0
		.amdhsa_float_round_mode_16_64 0
		.amdhsa_float_denorm_mode_32 3
		.amdhsa_float_denorm_mode_16_64 3
		.amdhsa_fp16_overflow 0
		.amdhsa_memory_ordered 1
		.amdhsa_forward_progress 1
		.amdhsa_inst_pref_size 1
		.amdhsa_round_robin_scheduling 0
		.amdhsa_exception_fp_ieee_invalid_op 0
		.amdhsa_exception_fp_denorm_src 0
		.amdhsa_exception_fp_ieee_div_zero 0
		.amdhsa_exception_fp_ieee_overflow 0
		.amdhsa_exception_fp_ieee_underflow 0
		.amdhsa_exception_fp_ieee_inexact 0
		.amdhsa_exception_int_div_zero 0
	.end_amdhsa_kernel
	.section	.text._ZL38rocblas_dot_kernel_gfx942_float_doubleIiLi1024EfPKPKffEviT2_lT_lS4_lS5_lPT3_PT1_,"axG",@progbits,_ZL38rocblas_dot_kernel_gfx942_float_doubleIiLi1024EfPKPKffEviT2_lT_lS4_lS5_lPT3_PT1_,comdat
.Lfunc_end228:
	.size	_ZL38rocblas_dot_kernel_gfx942_float_doubleIiLi1024EfPKPKffEviT2_lT_lS4_lS5_lPT3_PT1_, .Lfunc_end228-_ZL38rocblas_dot_kernel_gfx942_float_doubleIiLi1024EfPKPKffEviT2_lT_lS4_lS5_lPT3_PT1_
                                        ; -- End function
	.set _ZL38rocblas_dot_kernel_gfx942_float_doubleIiLi1024EfPKPKffEviT2_lT_lS4_lS5_lPT3_PT1_.num_vgpr, 0
	.set _ZL38rocblas_dot_kernel_gfx942_float_doubleIiLi1024EfPKPKffEviT2_lT_lS4_lS5_lPT3_PT1_.num_agpr, 0
	.set _ZL38rocblas_dot_kernel_gfx942_float_doubleIiLi1024EfPKPKffEviT2_lT_lS4_lS5_lPT3_PT1_.numbered_sgpr, 0
	.set _ZL38rocblas_dot_kernel_gfx942_float_doubleIiLi1024EfPKPKffEviT2_lT_lS4_lS5_lPT3_PT1_.num_named_barrier, 0
	.set _ZL38rocblas_dot_kernel_gfx942_float_doubleIiLi1024EfPKPKffEviT2_lT_lS4_lS5_lPT3_PT1_.private_seg_size, 0
	.set _ZL38rocblas_dot_kernel_gfx942_float_doubleIiLi1024EfPKPKffEviT2_lT_lS4_lS5_lPT3_PT1_.uses_vcc, 0
	.set _ZL38rocblas_dot_kernel_gfx942_float_doubleIiLi1024EfPKPKffEviT2_lT_lS4_lS5_lPT3_PT1_.uses_flat_scratch, 0
	.set _ZL38rocblas_dot_kernel_gfx942_float_doubleIiLi1024EfPKPKffEviT2_lT_lS4_lS5_lPT3_PT1_.has_dyn_sized_stack, 0
	.set _ZL38rocblas_dot_kernel_gfx942_float_doubleIiLi1024EfPKPKffEviT2_lT_lS4_lS5_lPT3_PT1_.has_recursion, 0
	.set _ZL38rocblas_dot_kernel_gfx942_float_doubleIiLi1024EfPKPKffEviT2_lT_lS4_lS5_lPT3_PT1_.has_indirect_call, 0
	.section	.AMDGPU.csdata,"",@progbits
; Kernel info:
; codeLenInByte = 4
; TotalNumSgprs: 0
; NumVgprs: 0
; ScratchSize: 0
; MemoryBound: 0
; FloatMode: 240
; IeeeMode: 1
; LDSByteSize: 0 bytes/workgroup (compile time only)
; SGPRBlocks: 0
; VGPRBlocks: 0
; NumSGPRsForWavesPerEU: 1
; NumVGPRsForWavesPerEU: 1
; NamedBarCnt: 0
; Occupancy: 16
; WaveLimiterHint : 0
; COMPUTE_PGM_RSRC2:SCRATCH_EN: 0
; COMPUTE_PGM_RSRC2:USER_SGPR: 2
; COMPUTE_PGM_RSRC2:TRAP_HANDLER: 0
; COMPUTE_PGM_RSRC2:TGID_X_EN: 1
; COMPUTE_PGM_RSRC2:TGID_Y_EN: 0
; COMPUTE_PGM_RSRC2:TGID_Z_EN: 0
; COMPUTE_PGM_RSRC2:TIDIG_COMP_CNT: 0
	.section	.text._ZL23rocblas_dot_kernel_inc1ILb0ELi512ELi4ELb1EfPKPKffEviT4_llS4_lliPT5_PT3_,"axG",@progbits,_ZL23rocblas_dot_kernel_inc1ILb0ELi512ELi4ELb1EfPKPKffEviT4_llS4_lliPT5_PT3_,comdat
	.globl	_ZL23rocblas_dot_kernel_inc1ILb0ELi512ELi4ELb1EfPKPKffEviT4_llS4_lliPT5_PT3_ ; -- Begin function _ZL23rocblas_dot_kernel_inc1ILb0ELi512ELi4ELb1EfPKPKffEviT4_llS4_lliPT5_PT3_
	.p2align	8
	.type	_ZL23rocblas_dot_kernel_inc1ILb0ELi512ELi4ELb1EfPKPKffEviT4_llS4_lliPT5_PT3_,@function
_ZL23rocblas_dot_kernel_inc1ILb0ELi512ELi4ELb1EfPKPKffEviT4_llS4_lliPT5_PT3_: ; @_ZL23rocblas_dot_kernel_inc1ILb0ELi512ELi4ELb1EfPKPKffEviT4_llS4_lliPT5_PT3_
; %bb.0:
	s_load_b32 s28, s[0:1], 0x38
	s_bfe_u32 s2, ttmp6, 0x40014
	s_lshr_b32 s3, ttmp7, 16
	s_add_co_i32 s2, s2, 1
	s_bfe_u32 s5, ttmp6, 0x40008
	s_mul_i32 s4, s3, s2
	s_getreg_b32 s2, hwreg(HW_REG_IB_STS2, 6, 4)
	s_add_co_i32 s5, s5, s4
	s_cmp_eq_u32 s2, 0
	s_mov_b32 s17, 0
	s_cselect_b32 s16, s3, s5
	s_wait_kmcnt 0x0
	s_cmp_ge_u32 s16, s28
	s_cbranch_scc1 .LBB229_20
; %bb.1:
	v_mbcnt_lo_u32_b32 v3, -1, 0
	s_clause 0x4
	s_load_b32 s18, s[0:1], 0x50
	s_load_b128 s[4:7], s[0:1], 0x40
	s_load_b128 s[8:11], s[0:1], 0x20
	;; [unrolled: 1-line block ×3, first 2 shown]
	s_load_b32 s29, s[0:1], 0x0
	s_bfe_u32 s3, ttmp6, 0x4000c
	s_wait_xcnt 0x0
	s_and_b32 s1, ttmp6, 15
	s_add_co_i32 s3, s3, 1
	v_cmp_gt_u32_e32 vcc_lo, 24, v3
	s_mul_i32 s3, ttmp9, s3
	v_dual_lshrrev_b32 v10, 3, v0 :: v_dual_bitop2_b32 v1, 31, v0 bitop3:0x40
	s_add_co_i32 s1, s1, s3
	v_cndmask_b32_e64 v6, 0, 8, vcc_lo
	v_cmp_gt_u32_e32 vcc_lo, 28, v3
	s_cmp_eq_u32 s2, 0
	s_mov_b32 s23, s17
	s_cselect_b32 s22, ttmp9, s1
	v_cmp_gt_u32_e64 s0, 32, v0
	v_cndmask_b32_e64 v7, 0, 4, vcc_lo
	v_cmp_gt_u32_e32 vcc_lo, 30, v3
	s_wait_kmcnt 0x0
	s_cmp_lg_u32 s18, 1
	v_dual_lshlrev_b32 v4, 2, v1 :: v_dual_bitop2_b32 v10, 60, v10 bitop3:0x40
	s_cselect_b32 s30, -1, 0
	v_cndmask_b32_e64 v8, 0, 2, vcc_lo
	v_cmp_ne_u32_e32 vcc_lo, 31, v3
	s_lshl_b32 s20, s18, 9
	v_lshl_or_b32 v5, v3, 2, 64
	v_lshl_or_b32 v2, s22, 9, v0
	v_add_lshl_u32 v6, v6, v3, 2
	v_add_co_ci_u32_e64 v9, null, 0, v3, vcc_lo
	v_add_lshl_u32 v7, v7, v3, 2
	v_add_lshl_u32 v8, v8, v3, 2
	v_cmp_eq_u32_e64 s1, 0, v1
	s_delay_alu instid0(VALU_DEP_4)
	v_dual_lshlrev_b32 v9, 2, v9 :: v_dual_mov_b32 v11, 0
	v_cmp_gt_u32_e64 s2, 16, v0
	v_cmp_eq_u32_e64 s3, 0, v0
	s_lshl_b64 s[22:23], s[22:23], 2
	s_ashr_i32 s21, s20, 31
	s_mov_b32 s19, s17
	s_add_nc_u64 s[4:5], s[4:5], s[22:23]
	s_lshl_b64 s[22:23], s[20:21], 2
	s_lshl_b64 s[14:15], s[14:15], 2
	;; [unrolled: 1-line block ×3, first 2 shown]
	s_branch .LBB229_3
.LBB229_2:                              ;   in Loop: Header=BB229_3 Depth=1
	s_wait_xcnt 0x0
	s_or_b32 exec_lo, exec_lo, s21
	s_add_co_i32 s16, s16, 0x10000
	s_delay_alu instid0(SALU_CYCLE_1)
	s_cmp_lt_u32 s16, s28
	s_cbranch_scc0 .LBB229_20
.LBB229_3:                              ; =>This Loop Header: Depth=1
                                        ;     Child Loop BB229_5 Depth 2
	v_mov_b32_e32 v3, 0
	s_mov_b32 s21, exec_lo
	v_cmpx_gt_i32_e64 s29, v2
	s_cbranch_execz .LBB229_7
; %bb.4:                                ;   in Loop: Header=BB229_3 Depth=1
	s_lshl_b64 s[24:25], s[16:17], 3
	v_ashrrev_i32_e32 v3, 31, v2
	s_add_nc_u64 s[26:27], s[12:13], s[24:25]
	s_add_nc_u64 s[24:25], s[8:9], s[24:25]
	s_load_b64 s[34:35], s[26:27], 0x0
	s_load_b64 s[36:37], s[24:25], 0x0
	s_mov_b32 s31, 0
	s_wait_dscnt 0x0
	v_lshlrev_b64_e32 v[0:1], 2, v[2:3]
	v_mov_b32_e32 v3, 0
	s_mov_b32 s33, 0
	s_wait_kmcnt 0x0
	s_wait_xcnt 0x0
	s_add_nc_u64 s[24:25], s[34:35], s[14:15]
	s_add_nc_u64 s[26:27], s[36:37], s[10:11]
.LBB229_5:                              ;   Parent Loop BB229_3 Depth=1
                                        ; =>  This Inner Loop Header: Depth=2
	s_delay_alu instid0(SALU_CYCLE_1)
	v_add_nc_u64_e32 v[12:13], s[26:27], v[0:1]
	v_add_nc_u64_e32 v[14:15], s[24:25], v[0:1]
	s_add_co_i32 s34, s33, 1
	s_cmp_gt_u32 s33, 2
	v_add_nc_u64_e32 v[0:1], s[22:23], v[0:1]
	s_cselect_b32 s33, -1, 0
	flat_load_b32 v16, v[12:13]
	flat_load_b32 v17, v[14:15]
	s_wait_loadcnt_dscnt 0x0
	v_dual_fmac_f32 v3, v16, v17 :: v_dual_add_nc_u32 v2, s20, v2
	s_delay_alu instid0(VALU_DEP_1) | instskip(SKIP_1) | instid1(SALU_CYCLE_1)
	v_cmp_le_i32_e32 vcc_lo, s29, v2
	s_or_b32 s33, s33, vcc_lo
	s_and_b32 s33, exec_lo, s33
	s_delay_alu instid0(SALU_CYCLE_1)
	s_or_b32 s31, s33, s31
	s_mov_b32 s33, s34
	s_wait_xcnt 0x0
	s_and_not1_b32 exec_lo, exec_lo, s31
	s_cbranch_execnz .LBB229_5
; %bb.6:                                ;   in Loop: Header=BB229_3 Depth=1
	s_or_b32 exec_lo, exec_lo, s31
.LBB229_7:                              ;   in Loop: Header=BB229_3 Depth=1
	s_delay_alu instid0(SALU_CYCLE_1)
	s_or_b32 exec_lo, exec_lo, s21
	s_and_saveexec_b32 s21, s0
; %bb.8:                                ;   in Loop: Header=BB229_3 Depth=1
	ds_store_b32 v4, v11
; %bb.9:                                ;   in Loop: Header=BB229_3 Depth=1
	s_or_b32 exec_lo, exec_lo, s21
	s_wait_dscnt 0x0
	ds_bpermute_b32 v0, v5, v3
	s_wait_dscnt 0x0
	s_barrier_signal -1
	s_barrier_wait -1
	v_add_f32_e32 v0, v3, v0
	ds_bpermute_b32 v1, v6, v0
	s_wait_dscnt 0x0
	v_add_f32_e32 v0, v0, v1
	ds_bpermute_b32 v1, v7, v0
	s_wait_dscnt 0x0
	;; [unrolled: 3-line block ×3, first 2 shown]
	v_add_f32_e32 v0, v0, v1
	ds_bpermute_b32 v1, v9, v0
	s_and_saveexec_b32 s21, s1
	s_cbranch_execz .LBB229_11
; %bb.10:                               ;   in Loop: Header=BB229_3 Depth=1
	s_wait_dscnt 0x0
	v_add_f32_e32 v0, v0, v1
	ds_store_b32 v10, v0
.LBB229_11:                             ;   in Loop: Header=BB229_3 Depth=1
	s_or_b32 exec_lo, exec_lo, s21
	v_mov_b32_e32 v0, 0
	s_wait_dscnt 0x0
	s_barrier_signal -1
	s_barrier_wait -1
	s_and_saveexec_b32 s21, s2
	s_cbranch_execnz .LBB229_14
; %bb.12:                               ;   in Loop: Header=BB229_3 Depth=1
	s_or_b32 exec_lo, exec_lo, s21
	s_and_saveexec_b32 s21, s0
	s_cbranch_execnz .LBB229_15
.LBB229_13:                             ;   in Loop: Header=BB229_3 Depth=1
	s_or_b32 exec_lo, exec_lo, s21
	s_and_saveexec_b32 s21, s3
	s_cbranch_execz .LBB229_2
	s_branch .LBB229_16
.LBB229_14:                             ;   in Loop: Header=BB229_3 Depth=1
	ds_load_b32 v0, v4
	s_or_b32 exec_lo, exec_lo, s21
	s_and_saveexec_b32 s21, s0
	s_cbranch_execz .LBB229_13
.LBB229_15:                             ;   in Loop: Header=BB229_3 Depth=1
	s_wait_dscnt 0x0
	ds_bpermute_b32 v1, v6, v0
	s_wait_dscnt 0x0
	v_add_f32_e32 v0, v0, v1
	ds_bpermute_b32 v1, v7, v0
	s_wait_dscnt 0x0
	v_add_f32_e32 v0, v0, v1
	;; [unrolled: 3-line block ×4, first 2 shown]
	s_or_b32 exec_lo, exec_lo, s21
	s_and_saveexec_b32 s21, s3
	s_cbranch_execz .LBB229_2
.LBB229_16:                             ;   in Loop: Header=BB229_3 Depth=1
	s_and_b32 vcc_lo, exec_lo, s30
	s_mov_b32 s24, -1
	s_cbranch_vccz .LBB229_18
; %bb.17:                               ;   in Loop: Header=BB229_3 Depth=1
	s_mul_u64 s[24:25], s[18:19], s[16:17]
	s_delay_alu instid0(SALU_CYCLE_1) | instskip(NEXT) | instid1(SALU_CYCLE_1)
	s_lshl_b64 s[24:25], s[24:25], 2
	s_add_nc_u64 s[26:27], s[4:5], s[24:25]
	s_mov_b32 s24, 0
	s_wait_dscnt 0x0
	global_store_b32 v11, v0, s[26:27]
.LBB229_18:                             ;   in Loop: Header=BB229_3 Depth=1
	s_and_not1_b32 vcc_lo, exec_lo, s24
	s_cbranch_vccnz .LBB229_2
; %bb.19:                               ;   in Loop: Header=BB229_3 Depth=1
	s_lshl_b64 s[24:25], s[16:17], 2
	s_delay_alu instid0(SALU_CYCLE_1)
	s_add_nc_u64 s[24:25], s[6:7], s[24:25]
	s_wait_dscnt 0x0
	global_store_b32 v11, v0, s[24:25]
	s_branch .LBB229_2
.LBB229_20:
	s_endpgm
	.section	.rodata,"a",@progbits
	.p2align	6, 0x0
	.amdhsa_kernel _ZL23rocblas_dot_kernel_inc1ILb0ELi512ELi4ELb1EfPKPKffEviT4_llS4_lliPT5_PT3_
		.amdhsa_group_segment_fixed_size 128
		.amdhsa_private_segment_fixed_size 0
		.amdhsa_kernarg_size 336
		.amdhsa_user_sgpr_count 2
		.amdhsa_user_sgpr_dispatch_ptr 0
		.amdhsa_user_sgpr_queue_ptr 0
		.amdhsa_user_sgpr_kernarg_segment_ptr 1
		.amdhsa_user_sgpr_dispatch_id 0
		.amdhsa_user_sgpr_kernarg_preload_length 0
		.amdhsa_user_sgpr_kernarg_preload_offset 0
		.amdhsa_user_sgpr_private_segment_size 0
		.amdhsa_wavefront_size32 1
		.amdhsa_uses_dynamic_stack 0
		.amdhsa_enable_private_segment 0
		.amdhsa_system_sgpr_workgroup_id_x 1
		.amdhsa_system_sgpr_workgroup_id_y 0
		.amdhsa_system_sgpr_workgroup_id_z 1
		.amdhsa_system_sgpr_workgroup_info 0
		.amdhsa_system_vgpr_workitem_id 0
		.amdhsa_next_free_vgpr 18
		.amdhsa_next_free_sgpr 38
		.amdhsa_named_barrier_count 0
		.amdhsa_reserve_vcc 1
		.amdhsa_float_round_mode_32 0
		.amdhsa_float_round_mode_16_64 0
		.amdhsa_float_denorm_mode_32 3
		.amdhsa_float_denorm_mode_16_64 3
		.amdhsa_fp16_overflow 0
		.amdhsa_memory_ordered 1
		.amdhsa_forward_progress 1
		.amdhsa_inst_pref_size 8
		.amdhsa_round_robin_scheduling 0
		.amdhsa_exception_fp_ieee_invalid_op 0
		.amdhsa_exception_fp_denorm_src 0
		.amdhsa_exception_fp_ieee_div_zero 0
		.amdhsa_exception_fp_ieee_overflow 0
		.amdhsa_exception_fp_ieee_underflow 0
		.amdhsa_exception_fp_ieee_inexact 0
		.amdhsa_exception_int_div_zero 0
	.end_amdhsa_kernel
	.section	.text._ZL23rocblas_dot_kernel_inc1ILb0ELi512ELi4ELb1EfPKPKffEviT4_llS4_lliPT5_PT3_,"axG",@progbits,_ZL23rocblas_dot_kernel_inc1ILb0ELi512ELi4ELb1EfPKPKffEviT4_llS4_lliPT5_PT3_,comdat
.Lfunc_end229:
	.size	_ZL23rocblas_dot_kernel_inc1ILb0ELi512ELi4ELb1EfPKPKffEviT4_llS4_lliPT5_PT3_, .Lfunc_end229-_ZL23rocblas_dot_kernel_inc1ILb0ELi512ELi4ELb1EfPKPKffEviT4_llS4_lliPT5_PT3_
                                        ; -- End function
	.set _ZL23rocblas_dot_kernel_inc1ILb0ELi512ELi4ELb1EfPKPKffEviT4_llS4_lliPT5_PT3_.num_vgpr, 18
	.set _ZL23rocblas_dot_kernel_inc1ILb0ELi512ELi4ELb1EfPKPKffEviT4_llS4_lliPT5_PT3_.num_agpr, 0
	.set _ZL23rocblas_dot_kernel_inc1ILb0ELi512ELi4ELb1EfPKPKffEviT4_llS4_lliPT5_PT3_.numbered_sgpr, 38
	.set _ZL23rocblas_dot_kernel_inc1ILb0ELi512ELi4ELb1EfPKPKffEviT4_llS4_lliPT5_PT3_.num_named_barrier, 0
	.set _ZL23rocblas_dot_kernel_inc1ILb0ELi512ELi4ELb1EfPKPKffEviT4_llS4_lliPT5_PT3_.private_seg_size, 0
	.set _ZL23rocblas_dot_kernel_inc1ILb0ELi512ELi4ELb1EfPKPKffEviT4_llS4_lliPT5_PT3_.uses_vcc, 1
	.set _ZL23rocblas_dot_kernel_inc1ILb0ELi512ELi4ELb1EfPKPKffEviT4_llS4_lliPT5_PT3_.uses_flat_scratch, 0
	.set _ZL23rocblas_dot_kernel_inc1ILb0ELi512ELi4ELb1EfPKPKffEviT4_llS4_lliPT5_PT3_.has_dyn_sized_stack, 0
	.set _ZL23rocblas_dot_kernel_inc1ILb0ELi512ELi4ELb1EfPKPKffEviT4_llS4_lliPT5_PT3_.has_recursion, 0
	.set _ZL23rocblas_dot_kernel_inc1ILb0ELi512ELi4ELb1EfPKPKffEviT4_llS4_lliPT5_PT3_.has_indirect_call, 0
	.section	.AMDGPU.csdata,"",@progbits
; Kernel info:
; codeLenInByte = 972
; TotalNumSgprs: 40
; NumVgprs: 18
; ScratchSize: 0
; MemoryBound: 0
; FloatMode: 240
; IeeeMode: 1
; LDSByteSize: 128 bytes/workgroup (compile time only)
; SGPRBlocks: 0
; VGPRBlocks: 1
; NumSGPRsForWavesPerEU: 40
; NumVGPRsForWavesPerEU: 18
; NamedBarCnt: 0
; Occupancy: 16
; WaveLimiterHint : 1
; COMPUTE_PGM_RSRC2:SCRATCH_EN: 0
; COMPUTE_PGM_RSRC2:USER_SGPR: 2
; COMPUTE_PGM_RSRC2:TRAP_HANDLER: 0
; COMPUTE_PGM_RSRC2:TGID_X_EN: 1
; COMPUTE_PGM_RSRC2:TGID_Y_EN: 0
; COMPUTE_PGM_RSRC2:TGID_Z_EN: 1
; COMPUTE_PGM_RSRC2:TIDIG_COMP_CNT: 0
	.section	.text._ZL18rocblas_dot_kernelIiLb0ELi512ELi4ELb1EfPKPKffEviT5_lT_lS4_lS5_liPT6_PT4_,"axG",@progbits,_ZL18rocblas_dot_kernelIiLb0ELi512ELi4ELb1EfPKPKffEviT5_lT_lS4_lS5_liPT6_PT4_,comdat
	.globl	_ZL18rocblas_dot_kernelIiLb0ELi512ELi4ELb1EfPKPKffEviT5_lT_lS4_lS5_liPT6_PT4_ ; -- Begin function _ZL18rocblas_dot_kernelIiLb0ELi512ELi4ELb1EfPKPKffEviT5_lT_lS4_lS5_liPT6_PT4_
	.p2align	8
	.type	_ZL18rocblas_dot_kernelIiLb0ELi512ELi4ELb1EfPKPKffEviT5_lT_lS4_lS5_liPT6_PT4_,@function
_ZL18rocblas_dot_kernelIiLb0ELi512ELi4ELb1EfPKPKffEviT5_lT_lS4_lS5_liPT6_PT4_: ; @_ZL18rocblas_dot_kernelIiLb0ELi512ELi4ELb1EfPKPKffEviT5_lT_lS4_lS5_liPT6_PT4_
; %bb.0:
	s_load_b32 s30, s[0:1], 0x48
	s_bfe_u32 s2, ttmp6, 0x40014
	s_lshr_b32 s3, ttmp7, 16
	s_add_co_i32 s2, s2, 1
	s_bfe_u32 s5, ttmp6, 0x40008
	s_mul_i32 s4, s3, s2
	s_getreg_b32 s2, hwreg(HW_REG_IB_STS2, 6, 4)
	s_add_co_i32 s5, s5, s4
	s_cmp_eq_u32 s2, 0
	s_mov_b32 s17, 0
	s_cselect_b32 s16, s3, s5
	s_wait_kmcnt 0x0
	s_cmp_ge_u32 s16, s30
	s_cbranch_scc1 .LBB230_20
; %bb.1:
	v_mbcnt_lo_u32_b32 v2, -1, 0
	s_clause 0x6
	s_load_b32 s22, s[0:1], 0x18
	s_load_b32 s26, s[0:1], 0x38
	s_load_b32 s18, s[0:1], 0x60
	s_load_b128 s[4:7], s[0:1], 0x50
	s_load_b128 s[8:11], s[0:1], 0x28
	;; [unrolled: 1-line block ×3, first 2 shown]
	s_load_b32 s31, s[0:1], 0x0
	s_bfe_u32 s3, ttmp6, 0x4000c
	s_wait_xcnt 0x0
	s_and_b32 s1, ttmp6, 15
	s_add_co_i32 s3, s3, 1
	v_cmp_gt_u32_e32 vcc_lo, 24, v2
	s_mul_i32 s3, ttmp9, s3
	v_and_b32_e32 v1, 31, v0
	s_add_co_i32 s1, s1, s3
	s_mov_b32 s25, s17
	v_cndmask_b32_e64 v3, 0, 8, vcc_lo
	v_cmp_gt_u32_e32 vcc_lo, 28, v2
	v_cmp_gt_u32_e64 s0, 32, v0
	v_lshl_or_b32 v5, v2, 2, 64
	v_cmp_eq_u32_e64 s3, 0, v0
	s_wait_kmcnt 0x0
	s_ashr_i32 s23, s22, 31
	v_cndmask_b32_e64 v8, 0, 4, vcc_lo
	v_cmp_gt_u32_e32 vcc_lo, 30, v2
	s_ashr_i32 s27, s26, 31
	s_cmp_eq_u32 s2, 0
	v_add_lshl_u32 v7, v3, v2, 2
	s_cselect_b32 s24, ttmp9, s1
	v_cndmask_b32_e64 v9, 0, 2, vcc_lo
	v_cmp_ne_u32_e32 vcc_lo, 31, v2
	s_cmp_lg_u32 s18, 1
	v_lshrrev_b32_e32 v3, 3, v0
	s_cselect_b32 s33, -1, 0
	s_lshl_b32 s20, s18, 9
	v_add_co_ci_u32_e64 v10, null, 0, v2, vcc_lo
	v_lshl_or_b32 v6, s24, 9, v0
	s_lshl_b64 s[24:25], s[24:25], 2
	s_ashr_i32 s21, s20, 31
	s_delay_alu instid0(VALU_DEP_2)
	v_dual_lshlrev_b32 v4, 2, v1 :: v_dual_lshlrev_b32 v10, 2, v10
	v_add_lshl_u32 v8, v8, v2, 2
	v_add_lshl_u32 v9, v9, v2, 2
	v_cmp_eq_u32_e64 s1, 0, v1
	v_dual_mov_b32 v12, 0 :: v_dual_bitop2_b32 v11, 60, v3 bitop3:0x40
	v_cmp_gt_u32_e64 s2, 16, v0
	s_add_nc_u64 s[4:5], s[4:5], s[24:25]
	s_mul_u64 s[24:25], s[22:23], s[20:21]
	s_mul_u64 s[28:29], s[26:27], s[20:21]
	s_mov_b32 s19, s17
	s_lshl_b64 s[14:15], s[14:15], 2
	s_lshl_b64 s[22:23], s[22:23], 2
	;; [unrolled: 1-line block ×6, first 2 shown]
	s_branch .LBB230_3
.LBB230_2:                              ;   in Loop: Header=BB230_3 Depth=1
	s_wait_xcnt 0x0
	s_or_b32 exec_lo, exec_lo, s21
	s_add_co_i32 s16, s16, 0x10000
	s_delay_alu instid0(SALU_CYCLE_1)
	s_cmp_lt_u32 s16, s30
	s_cbranch_scc0 .LBB230_20
.LBB230_3:                              ; =>This Loop Header: Depth=1
                                        ;     Child Loop BB230_5 Depth 2
	v_mov_b32_e32 v13, 0
	s_mov_b32 s21, exec_lo
	v_cmpx_gt_i32_e64 s31, v6
	s_cbranch_execz .LBB230_7
; %bb.4:                                ;   in Loop: Header=BB230_3 Depth=1
	s_lshl_b64 s[34:35], s[16:17], 3
	v_ashrrev_i32_e32 v13, 31, v6
	s_add_nc_u64 s[36:37], s[12:13], s[34:35]
	s_add_nc_u64 s[34:35], s[8:9], s[34:35]
	s_load_b64 s[38:39], s[36:37], 0x0
	s_load_b64 s[40:41], s[34:35], 0x0
	s_wait_kmcnt 0x0
	s_wait_xcnt 0x0
	s_add_nc_u64 s[34:35], s[38:39], s[14:15]
	s_add_nc_u64 s[36:37], s[40:41], s[10:11]
	s_wait_dscnt 0x0
	v_mad_nc_u64_u32 v[0:1], s22, v6, s[34:35]
	v_mad_nc_u64_u32 v[2:3], s26, v6, s[36:37]
	s_mov_b32 s34, 0
	s_mov_b32 s35, 0
	s_delay_alu instid0(VALU_DEP_2) | instskip(NEXT) | instid1(VALU_DEP_2)
	v_mad_u32 v1, s23, v6, v1
	v_mad_u32 v3, s27, v6, v3
	s_delay_alu instid0(VALU_DEP_2) | instskip(NEXT) | instid1(VALU_DEP_2)
	v_mad_u32 v1, s22, v13, v1
	v_mad_u32 v3, s26, v13, v3
	v_mov_b32_e32 v13, 0
.LBB230_5:                              ;   Parent Loop BB230_3 Depth=1
                                        ; =>  This Inner Loop Header: Depth=2
	flat_load_b32 v14, v[2:3]
	flat_load_b32 v15, v[0:1]
	v_add_nc_u32_e32 v6, s20, v6
	s_add_co_i32 s36, s35, 1
	s_cmp_gt_u32 s35, 2
	s_wait_xcnt 0x0
	v_add_nc_u64_e32 v[0:1], s[24:25], v[0:1]
	s_cselect_b32 s35, -1, 0
	v_add_nc_u64_e32 v[2:3], s[28:29], v[2:3]
	s_wait_loadcnt_dscnt 0x0
	v_fmac_f32_e32 v13, v14, v15
	v_cmp_le_i32_e32 vcc_lo, s31, v6
	s_or_b32 s35, s35, vcc_lo
	s_delay_alu instid0(SALU_CYCLE_1) | instskip(NEXT) | instid1(SALU_CYCLE_1)
	s_and_b32 s35, exec_lo, s35
	s_or_b32 s34, s35, s34
	s_mov_b32 s35, s36
	s_and_not1_b32 exec_lo, exec_lo, s34
	s_cbranch_execnz .LBB230_5
; %bb.6:                                ;   in Loop: Header=BB230_3 Depth=1
	s_or_b32 exec_lo, exec_lo, s34
.LBB230_7:                              ;   in Loop: Header=BB230_3 Depth=1
	s_delay_alu instid0(SALU_CYCLE_1)
	s_or_b32 exec_lo, exec_lo, s21
	s_and_saveexec_b32 s21, s0
; %bb.8:                                ;   in Loop: Header=BB230_3 Depth=1
	ds_store_b32 v4, v12
; %bb.9:                                ;   in Loop: Header=BB230_3 Depth=1
	s_or_b32 exec_lo, exec_lo, s21
	s_wait_dscnt 0x0
	ds_bpermute_b32 v0, v5, v13
	s_wait_dscnt 0x0
	s_barrier_signal -1
	s_barrier_wait -1
	v_add_f32_e32 v0, v13, v0
	ds_bpermute_b32 v1, v7, v0
	s_wait_dscnt 0x0
	v_add_f32_e32 v0, v0, v1
	ds_bpermute_b32 v1, v8, v0
	s_wait_dscnt 0x0
	;; [unrolled: 3-line block ×3, first 2 shown]
	v_add_f32_e32 v0, v0, v1
	ds_bpermute_b32 v1, v10, v0
	s_and_saveexec_b32 s21, s1
	s_cbranch_execz .LBB230_11
; %bb.10:                               ;   in Loop: Header=BB230_3 Depth=1
	s_wait_dscnt 0x0
	v_add_f32_e32 v0, v0, v1
	ds_store_b32 v11, v0
.LBB230_11:                             ;   in Loop: Header=BB230_3 Depth=1
	s_or_b32 exec_lo, exec_lo, s21
	v_mov_b32_e32 v0, 0
	s_wait_dscnt 0x0
	s_barrier_signal -1
	s_barrier_wait -1
	s_and_saveexec_b32 s21, s2
	s_cbranch_execnz .LBB230_14
; %bb.12:                               ;   in Loop: Header=BB230_3 Depth=1
	s_or_b32 exec_lo, exec_lo, s21
	s_and_saveexec_b32 s21, s0
	s_cbranch_execnz .LBB230_15
.LBB230_13:                             ;   in Loop: Header=BB230_3 Depth=1
	s_or_b32 exec_lo, exec_lo, s21
	s_and_saveexec_b32 s21, s3
	s_cbranch_execz .LBB230_2
	s_branch .LBB230_16
.LBB230_14:                             ;   in Loop: Header=BB230_3 Depth=1
	ds_load_b32 v0, v4
	s_or_b32 exec_lo, exec_lo, s21
	s_and_saveexec_b32 s21, s0
	s_cbranch_execz .LBB230_13
.LBB230_15:                             ;   in Loop: Header=BB230_3 Depth=1
	s_wait_dscnt 0x0
	ds_bpermute_b32 v1, v7, v0
	s_wait_dscnt 0x0
	v_add_f32_e32 v0, v0, v1
	ds_bpermute_b32 v1, v8, v0
	s_wait_dscnt 0x0
	v_add_f32_e32 v0, v0, v1
	;; [unrolled: 3-line block ×4, first 2 shown]
	s_or_b32 exec_lo, exec_lo, s21
	s_and_saveexec_b32 s21, s3
	s_cbranch_execz .LBB230_2
.LBB230_16:                             ;   in Loop: Header=BB230_3 Depth=1
	s_and_b32 vcc_lo, exec_lo, s33
	s_mov_b32 s34, -1
	s_cbranch_vccz .LBB230_18
; %bb.17:                               ;   in Loop: Header=BB230_3 Depth=1
	s_mul_u64 s[34:35], s[18:19], s[16:17]
	s_delay_alu instid0(SALU_CYCLE_1) | instskip(NEXT) | instid1(SALU_CYCLE_1)
	s_lshl_b64 s[34:35], s[34:35], 2
	s_add_nc_u64 s[36:37], s[4:5], s[34:35]
	s_mov_b32 s34, 0
	s_wait_dscnt 0x0
	global_store_b32 v12, v0, s[36:37]
.LBB230_18:                             ;   in Loop: Header=BB230_3 Depth=1
	s_and_not1_b32 vcc_lo, exec_lo, s34
	s_cbranch_vccnz .LBB230_2
; %bb.19:                               ;   in Loop: Header=BB230_3 Depth=1
	s_lshl_b64 s[34:35], s[16:17], 2
	s_delay_alu instid0(SALU_CYCLE_1)
	s_add_nc_u64 s[34:35], s[6:7], s[34:35]
	s_wait_dscnt 0x0
	global_store_b32 v12, v0, s[34:35]
	s_branch .LBB230_2
.LBB230_20:
	s_endpgm
	.section	.rodata,"a",@progbits
	.p2align	6, 0x0
	.amdhsa_kernel _ZL18rocblas_dot_kernelIiLb0ELi512ELi4ELb1EfPKPKffEviT5_lT_lS4_lS5_liPT6_PT4_
		.amdhsa_group_segment_fixed_size 128
		.amdhsa_private_segment_fixed_size 0
		.amdhsa_kernarg_size 352
		.amdhsa_user_sgpr_count 2
		.amdhsa_user_sgpr_dispatch_ptr 0
		.amdhsa_user_sgpr_queue_ptr 0
		.amdhsa_user_sgpr_kernarg_segment_ptr 1
		.amdhsa_user_sgpr_dispatch_id 0
		.amdhsa_user_sgpr_kernarg_preload_length 0
		.amdhsa_user_sgpr_kernarg_preload_offset 0
		.amdhsa_user_sgpr_private_segment_size 0
		.amdhsa_wavefront_size32 1
		.amdhsa_uses_dynamic_stack 0
		.amdhsa_enable_private_segment 0
		.amdhsa_system_sgpr_workgroup_id_x 1
		.amdhsa_system_sgpr_workgroup_id_y 0
		.amdhsa_system_sgpr_workgroup_id_z 1
		.amdhsa_system_sgpr_workgroup_info 0
		.amdhsa_system_vgpr_workitem_id 0
		.amdhsa_next_free_vgpr 16
		.amdhsa_next_free_sgpr 42
		.amdhsa_named_barrier_count 0
		.amdhsa_reserve_vcc 1
		.amdhsa_float_round_mode_32 0
		.amdhsa_float_round_mode_16_64 0
		.amdhsa_float_denorm_mode_32 3
		.amdhsa_float_denorm_mode_16_64 3
		.amdhsa_fp16_overflow 0
		.amdhsa_memory_ordered 1
		.amdhsa_forward_progress 1
		.amdhsa_inst_pref_size 9
		.amdhsa_round_robin_scheduling 0
		.amdhsa_exception_fp_ieee_invalid_op 0
		.amdhsa_exception_fp_denorm_src 0
		.amdhsa_exception_fp_ieee_div_zero 0
		.amdhsa_exception_fp_ieee_overflow 0
		.amdhsa_exception_fp_ieee_underflow 0
		.amdhsa_exception_fp_ieee_inexact 0
		.amdhsa_exception_int_div_zero 0
	.end_amdhsa_kernel
	.section	.text._ZL18rocblas_dot_kernelIiLb0ELi512ELi4ELb1EfPKPKffEviT5_lT_lS4_lS5_liPT6_PT4_,"axG",@progbits,_ZL18rocblas_dot_kernelIiLb0ELi512ELi4ELb1EfPKPKffEviT5_lT_lS4_lS5_liPT6_PT4_,comdat
.Lfunc_end230:
	.size	_ZL18rocblas_dot_kernelIiLb0ELi512ELi4ELb1EfPKPKffEviT5_lT_lS4_lS5_liPT6_PT4_, .Lfunc_end230-_ZL18rocblas_dot_kernelIiLb0ELi512ELi4ELb1EfPKPKffEviT5_lT_lS4_lS5_liPT6_PT4_
                                        ; -- End function
	.set _ZL18rocblas_dot_kernelIiLb0ELi512ELi4ELb1EfPKPKffEviT5_lT_lS4_lS5_liPT6_PT4_.num_vgpr, 16
	.set _ZL18rocblas_dot_kernelIiLb0ELi512ELi4ELb1EfPKPKffEviT5_lT_lS4_lS5_liPT6_PT4_.num_agpr, 0
	.set _ZL18rocblas_dot_kernelIiLb0ELi512ELi4ELb1EfPKPKffEviT5_lT_lS4_lS5_liPT6_PT4_.numbered_sgpr, 42
	.set _ZL18rocblas_dot_kernelIiLb0ELi512ELi4ELb1EfPKPKffEviT5_lT_lS4_lS5_liPT6_PT4_.num_named_barrier, 0
	.set _ZL18rocblas_dot_kernelIiLb0ELi512ELi4ELb1EfPKPKffEviT5_lT_lS4_lS5_liPT6_PT4_.private_seg_size, 0
	.set _ZL18rocblas_dot_kernelIiLb0ELi512ELi4ELb1EfPKPKffEviT5_lT_lS4_lS5_liPT6_PT4_.uses_vcc, 1
	.set _ZL18rocblas_dot_kernelIiLb0ELi512ELi4ELb1EfPKPKffEviT5_lT_lS4_lS5_liPT6_PT4_.uses_flat_scratch, 0
	.set _ZL18rocblas_dot_kernelIiLb0ELi512ELi4ELb1EfPKPKffEviT5_lT_lS4_lS5_liPT6_PT4_.has_dyn_sized_stack, 0
	.set _ZL18rocblas_dot_kernelIiLb0ELi512ELi4ELb1EfPKPKffEviT5_lT_lS4_lS5_liPT6_PT4_.has_recursion, 0
	.set _ZL18rocblas_dot_kernelIiLb0ELi512ELi4ELb1EfPKPKffEviT5_lT_lS4_lS5_liPT6_PT4_.has_indirect_call, 0
	.section	.AMDGPU.csdata,"",@progbits
; Kernel info:
; codeLenInByte = 1052
; TotalNumSgprs: 44
; NumVgprs: 16
; ScratchSize: 0
; MemoryBound: 0
; FloatMode: 240
; IeeeMode: 1
; LDSByteSize: 128 bytes/workgroup (compile time only)
; SGPRBlocks: 0
; VGPRBlocks: 0
; NumSGPRsForWavesPerEU: 44
; NumVGPRsForWavesPerEU: 16
; NamedBarCnt: 0
; Occupancy: 16
; WaveLimiterHint : 0
; COMPUTE_PGM_RSRC2:SCRATCH_EN: 0
; COMPUTE_PGM_RSRC2:USER_SGPR: 2
; COMPUTE_PGM_RSRC2:TRAP_HANDLER: 0
; COMPUTE_PGM_RSRC2:TGID_X_EN: 1
; COMPUTE_PGM_RSRC2:TGID_Y_EN: 0
; COMPUTE_PGM_RSRC2:TGID_Z_EN: 1
; COMPUTE_PGM_RSRC2:TIDIG_COMP_CNT: 0
	.section	.text._ZL24rocblas_dot_kernel_magsqIiLb0ELi512ELi4ELb1EfPKPKffEviT5_lT_liPT6_PT4_,"axG",@progbits,_ZL24rocblas_dot_kernel_magsqIiLb0ELi512ELi4ELb1EfPKPKffEviT5_lT_liPT6_PT4_,comdat
	.globl	_ZL24rocblas_dot_kernel_magsqIiLb0ELi512ELi4ELb1EfPKPKffEviT5_lT_liPT6_PT4_ ; -- Begin function _ZL24rocblas_dot_kernel_magsqIiLb0ELi512ELi4ELb1EfPKPKffEviT5_lT_liPT6_PT4_
	.p2align	8
	.type	_ZL24rocblas_dot_kernel_magsqIiLb0ELi512ELi4ELb1EfPKPKffEviT5_lT_liPT6_PT4_,@function
_ZL24rocblas_dot_kernel_magsqIiLb0ELi512ELi4ELb1EfPKPKffEviT5_lT_liPT6_PT4_: ; @_ZL24rocblas_dot_kernel_magsqIiLb0ELi512ELi4ELb1EfPKPKffEviT5_lT_liPT6_PT4_
; %bb.0:
	s_load_b32 s22, s[0:1], 0x28
	s_bfe_u32 s2, ttmp6, 0x40014
	s_lshr_b32 s3, ttmp7, 16
	s_add_co_i32 s2, s2, 1
	s_bfe_u32 s5, ttmp6, 0x40008
	s_mul_i32 s4, s3, s2
	s_getreg_b32 s2, hwreg(HW_REG_IB_STS2, 6, 4)
	s_add_co_i32 s5, s5, s4
	s_cmp_eq_u32 s2, 0
	s_mov_b32 s13, 0
	s_cselect_b32 s12, s3, s5
	s_wait_kmcnt 0x0
	s_cmp_ge_u32 s12, s22
	s_cbranch_scc1 .LBB231_20
; %bb.1:
	v_mbcnt_lo_u32_b32 v7, -1, 0
	s_clause 0x4
	s_load_b32 s18, s[0:1], 0x18
	s_load_b32 s14, s[0:1], 0x40
	s_load_b128 s[4:7], s[0:1], 0x30
	s_load_b128 s[8:11], s[0:1], 0x8
	s_load_b32 s23, s[0:1], 0x0
	s_wait_xcnt 0x0
	s_bfe_u32 s0, ttmp6, 0x4000c
	s_and_b32 s1, ttmp6, 15
	s_add_co_i32 s3, s0, 1
	v_cmp_gt_u32_e32 vcc_lo, 24, v7
	s_mul_i32 s3, ttmp9, s3
	v_dual_lshrrev_b32 v10, 3, v0 :: v_dual_bitop2_b32 v1, 31, v0 bitop3:0x40
	s_add_co_i32 s1, s1, s3
	v_cndmask_b32_e64 v5, 0, 8, vcc_lo
	v_cmp_gt_u32_e32 vcc_lo, 28, v7
	s_mov_b32 s21, s13
	v_cmp_gt_u32_e64 s0, 32, v0
	v_lshlrev_b32_e32 v2, 2, v1
	v_lshl_or_b32 v3, v7, 2, 64
	v_cndmask_b32_e64 v6, 0, 4, vcc_lo
	v_cmp_gt_u32_e32 vcc_lo, 30, v7
	s_wait_kmcnt 0x0
	s_ashr_i32 s19, s18, 31
	s_cmp_eq_u32 s2, 0
	v_add_lshl_u32 v5, v5, v7, 2
	s_cselect_b32 s20, ttmp9, s1
	v_cndmask_b32_e64 v8, 0, 2, vcc_lo
	v_cmp_ne_u32_e32 vcc_lo, 31, v7
	s_cmp_lg_u32 s14, 1
	v_lshl_or_b32 v4, s20, 9, v0
	s_cselect_b32 s24, -1, 0
	s_lshl_b32 s16, s14, 9
	v_add_co_ci_u32_e64 v9, null, 0, v7, vcc_lo
	s_lshl_b64 s[20:21], s[20:21], 2
	s_ashr_i32 s17, s16, 31
	v_add_lshl_u32 v6, v6, v7, 2
	v_add_lshl_u32 v7, v8, v7, 2
	v_lshlrev_b32_e32 v8, 2, v9
	v_cmp_eq_u32_e64 s1, 0, v1
	v_and_b32_e32 v9, 60, v10
	v_cmp_gt_u32_e64 s2, 16, v0
	v_cmp_eq_u32_e64 s3, 0, v0
	v_mov_b32_e32 v10, 0
	s_add_nc_u64 s[4:5], s[4:5], s[20:21]
	s_mul_u64 s[20:21], s[18:19], s[16:17]
	s_mov_b32 s15, s13
	s_lshl_b64 s[10:11], s[10:11], 2
	s_lshl_b64 s[18:19], s[18:19], 2
	;; [unrolled: 1-line block ×3, first 2 shown]
	s_branch .LBB231_3
.LBB231_2:                              ;   in Loop: Header=BB231_3 Depth=1
	s_wait_xcnt 0x0
	s_or_b32 exec_lo, exec_lo, s17
	s_add_co_i32 s12, s12, 0x10000
	s_delay_alu instid0(SALU_CYCLE_1)
	s_cmp_lt_u32 s12, s22
	s_cbranch_scc0 .LBB231_20
.LBB231_3:                              ; =>This Loop Header: Depth=1
                                        ;     Child Loop BB231_5 Depth 2
	v_mov_b32_e32 v11, 0
	s_mov_b32 s17, exec_lo
	v_cmpx_gt_i32_e64 s23, v4
	s_cbranch_execz .LBB231_7
; %bb.4:                                ;   in Loop: Header=BB231_3 Depth=1
	s_lshl_b64 s[26:27], s[12:13], 3
	v_ashrrev_i32_e32 v11, 31, v4
	s_add_nc_u64 s[26:27], s[8:9], s[26:27]
	s_mov_b32 s25, 0
	s_load_b64 s[26:27], s[26:27], 0x0
	s_wait_kmcnt 0x0
	s_wait_xcnt 0x0
	s_add_nc_u64 s[26:27], s[26:27], s[10:11]
	s_wait_dscnt 0x0
	v_mad_nc_u64_u32 v[0:1], s18, v4, s[26:27]
	s_mov_b32 s26, 0
	s_delay_alu instid0(VALU_DEP_1) | instskip(NEXT) | instid1(VALU_DEP_1)
	v_mad_u32 v1, s19, v4, v1
	v_mad_u32 v1, s18, v11, v1
	v_mov_b32_e32 v11, 0
.LBB231_5:                              ;   Parent Loop BB231_3 Depth=1
                                        ; =>  This Inner Loop Header: Depth=2
	flat_load_b32 v12, v[0:1]
	v_add_nc_u32_e32 v4, s16, v4
	s_add_co_i32 s27, s26, 1
	s_cmp_gt_u32 s26, 2
	s_wait_xcnt 0x0
	v_add_nc_u64_e32 v[0:1], s[20:21], v[0:1]
	s_cselect_b32 s26, -1, 0
	v_cmp_le_i32_e32 vcc_lo, s23, v4
	s_or_b32 s26, s26, vcc_lo
	s_delay_alu instid0(SALU_CYCLE_1) | instskip(NEXT) | instid1(SALU_CYCLE_1)
	s_and_b32 s26, exec_lo, s26
	s_or_b32 s25, s26, s25
	s_mov_b32 s26, s27
	s_wait_loadcnt_dscnt 0x0
	v_fmac_f32_e32 v11, v12, v12
	s_and_not1_b32 exec_lo, exec_lo, s25
	s_cbranch_execnz .LBB231_5
; %bb.6:                                ;   in Loop: Header=BB231_3 Depth=1
	s_or_b32 exec_lo, exec_lo, s25
.LBB231_7:                              ;   in Loop: Header=BB231_3 Depth=1
	s_delay_alu instid0(SALU_CYCLE_1)
	s_or_b32 exec_lo, exec_lo, s17
	s_and_saveexec_b32 s17, s0
; %bb.8:                                ;   in Loop: Header=BB231_3 Depth=1
	ds_store_b32 v2, v10
; %bb.9:                                ;   in Loop: Header=BB231_3 Depth=1
	s_or_b32 exec_lo, exec_lo, s17
	s_wait_dscnt 0x0
	ds_bpermute_b32 v0, v3, v11
	s_wait_dscnt 0x0
	s_barrier_signal -1
	s_barrier_wait -1
	v_add_f32_e32 v0, v11, v0
	ds_bpermute_b32 v1, v5, v0
	s_wait_dscnt 0x0
	v_add_f32_e32 v0, v0, v1
	ds_bpermute_b32 v1, v6, v0
	s_wait_dscnt 0x0
	;; [unrolled: 3-line block ×3, first 2 shown]
	v_add_f32_e32 v0, v0, v1
	ds_bpermute_b32 v1, v8, v0
	s_and_saveexec_b32 s17, s1
	s_cbranch_execz .LBB231_11
; %bb.10:                               ;   in Loop: Header=BB231_3 Depth=1
	s_wait_dscnt 0x0
	v_add_f32_e32 v0, v0, v1
	ds_store_b32 v9, v0
.LBB231_11:                             ;   in Loop: Header=BB231_3 Depth=1
	s_or_b32 exec_lo, exec_lo, s17
	v_mov_b32_e32 v0, 0
	s_wait_dscnt 0x0
	s_barrier_signal -1
	s_barrier_wait -1
	s_and_saveexec_b32 s17, s2
	s_cbranch_execnz .LBB231_14
; %bb.12:                               ;   in Loop: Header=BB231_3 Depth=1
	s_or_b32 exec_lo, exec_lo, s17
	s_and_saveexec_b32 s17, s0
	s_cbranch_execnz .LBB231_15
.LBB231_13:                             ;   in Loop: Header=BB231_3 Depth=1
	s_or_b32 exec_lo, exec_lo, s17
	s_and_saveexec_b32 s17, s3
	s_cbranch_execz .LBB231_2
	s_branch .LBB231_16
.LBB231_14:                             ;   in Loop: Header=BB231_3 Depth=1
	ds_load_b32 v0, v2
	s_or_b32 exec_lo, exec_lo, s17
	s_and_saveexec_b32 s17, s0
	s_cbranch_execz .LBB231_13
.LBB231_15:                             ;   in Loop: Header=BB231_3 Depth=1
	s_wait_dscnt 0x0
	ds_bpermute_b32 v1, v5, v0
	s_wait_dscnt 0x0
	v_add_f32_e32 v0, v0, v1
	ds_bpermute_b32 v1, v6, v0
	s_wait_dscnt 0x0
	v_add_f32_e32 v0, v0, v1
	;; [unrolled: 3-line block ×4, first 2 shown]
	s_or_b32 exec_lo, exec_lo, s17
	s_and_saveexec_b32 s17, s3
	s_cbranch_execz .LBB231_2
.LBB231_16:                             ;   in Loop: Header=BB231_3 Depth=1
	s_and_b32 vcc_lo, exec_lo, s24
	s_mov_b32 s25, -1
	s_cbranch_vccz .LBB231_18
; %bb.17:                               ;   in Loop: Header=BB231_3 Depth=1
	s_mul_u64 s[26:27], s[14:15], s[12:13]
	s_mov_b32 s25, 0
	s_lshl_b64 s[26:27], s[26:27], 2
	s_delay_alu instid0(SALU_CYCLE_1)
	s_add_nc_u64 s[26:27], s[4:5], s[26:27]
	s_wait_dscnt 0x0
	global_store_b32 v10, v0, s[26:27]
.LBB231_18:                             ;   in Loop: Header=BB231_3 Depth=1
	s_and_not1_b32 vcc_lo, exec_lo, s25
	s_cbranch_vccnz .LBB231_2
; %bb.19:                               ;   in Loop: Header=BB231_3 Depth=1
	s_wait_xcnt 0x0
	s_lshl_b64 s[26:27], s[12:13], 2
	s_delay_alu instid0(SALU_CYCLE_1)
	s_add_nc_u64 s[26:27], s[6:7], s[26:27]
	s_wait_dscnt 0x0
	global_store_b32 v10, v0, s[26:27]
	s_branch .LBB231_2
.LBB231_20:
	s_endpgm
	.section	.rodata,"a",@progbits
	.p2align	6, 0x0
	.amdhsa_kernel _ZL24rocblas_dot_kernel_magsqIiLb0ELi512ELi4ELb1EfPKPKffEviT5_lT_liPT6_PT4_
		.amdhsa_group_segment_fixed_size 128
		.amdhsa_private_segment_fixed_size 0
		.amdhsa_kernarg_size 320
		.amdhsa_user_sgpr_count 2
		.amdhsa_user_sgpr_dispatch_ptr 0
		.amdhsa_user_sgpr_queue_ptr 0
		.amdhsa_user_sgpr_kernarg_segment_ptr 1
		.amdhsa_user_sgpr_dispatch_id 0
		.amdhsa_user_sgpr_kernarg_preload_length 0
		.amdhsa_user_sgpr_kernarg_preload_offset 0
		.amdhsa_user_sgpr_private_segment_size 0
		.amdhsa_wavefront_size32 1
		.amdhsa_uses_dynamic_stack 0
		.amdhsa_enable_private_segment 0
		.amdhsa_system_sgpr_workgroup_id_x 1
		.amdhsa_system_sgpr_workgroup_id_y 0
		.amdhsa_system_sgpr_workgroup_id_z 1
		.amdhsa_system_sgpr_workgroup_info 0
		.amdhsa_system_vgpr_workitem_id 0
		.amdhsa_next_free_vgpr 13
		.amdhsa_next_free_sgpr 28
		.amdhsa_named_barrier_count 0
		.amdhsa_reserve_vcc 1
		.amdhsa_float_round_mode_32 0
		.amdhsa_float_round_mode_16_64 0
		.amdhsa_float_denorm_mode_32 3
		.amdhsa_float_denorm_mode_16_64 3
		.amdhsa_fp16_overflow 0
		.amdhsa_memory_ordered 1
		.amdhsa_forward_progress 1
		.amdhsa_inst_pref_size 8
		.amdhsa_round_robin_scheduling 0
		.amdhsa_exception_fp_ieee_invalid_op 0
		.amdhsa_exception_fp_denorm_src 0
		.amdhsa_exception_fp_ieee_div_zero 0
		.amdhsa_exception_fp_ieee_overflow 0
		.amdhsa_exception_fp_ieee_underflow 0
		.amdhsa_exception_fp_ieee_inexact 0
		.amdhsa_exception_int_div_zero 0
	.end_amdhsa_kernel
	.section	.text._ZL24rocblas_dot_kernel_magsqIiLb0ELi512ELi4ELb1EfPKPKffEviT5_lT_liPT6_PT4_,"axG",@progbits,_ZL24rocblas_dot_kernel_magsqIiLb0ELi512ELi4ELb1EfPKPKffEviT5_lT_liPT6_PT4_,comdat
.Lfunc_end231:
	.size	_ZL24rocblas_dot_kernel_magsqIiLb0ELi512ELi4ELb1EfPKPKffEviT5_lT_liPT6_PT4_, .Lfunc_end231-_ZL24rocblas_dot_kernel_magsqIiLb0ELi512ELi4ELb1EfPKPKffEviT5_lT_liPT6_PT4_
                                        ; -- End function
	.set _ZL24rocblas_dot_kernel_magsqIiLb0ELi512ELi4ELb1EfPKPKffEviT5_lT_liPT6_PT4_.num_vgpr, 13
	.set _ZL24rocblas_dot_kernel_magsqIiLb0ELi512ELi4ELb1EfPKPKffEviT5_lT_liPT6_PT4_.num_agpr, 0
	.set _ZL24rocblas_dot_kernel_magsqIiLb0ELi512ELi4ELb1EfPKPKffEviT5_lT_liPT6_PT4_.numbered_sgpr, 28
	.set _ZL24rocblas_dot_kernel_magsqIiLb0ELi512ELi4ELb1EfPKPKffEviT5_lT_liPT6_PT4_.num_named_barrier, 0
	.set _ZL24rocblas_dot_kernel_magsqIiLb0ELi512ELi4ELb1EfPKPKffEviT5_lT_liPT6_PT4_.private_seg_size, 0
	.set _ZL24rocblas_dot_kernel_magsqIiLb0ELi512ELi4ELb1EfPKPKffEviT5_lT_liPT6_PT4_.uses_vcc, 1
	.set _ZL24rocblas_dot_kernel_magsqIiLb0ELi512ELi4ELb1EfPKPKffEviT5_lT_liPT6_PT4_.uses_flat_scratch, 0
	.set _ZL24rocblas_dot_kernel_magsqIiLb0ELi512ELi4ELb1EfPKPKffEviT5_lT_liPT6_PT4_.has_dyn_sized_stack, 0
	.set _ZL24rocblas_dot_kernel_magsqIiLb0ELi512ELi4ELb1EfPKPKffEviT5_lT_liPT6_PT4_.has_recursion, 0
	.set _ZL24rocblas_dot_kernel_magsqIiLb0ELi512ELi4ELb1EfPKPKffEviT5_lT_liPT6_PT4_.has_indirect_call, 0
	.section	.AMDGPU.csdata,"",@progbits
; Kernel info:
; codeLenInByte = 952
; TotalNumSgprs: 30
; NumVgprs: 13
; ScratchSize: 0
; MemoryBound: 0
; FloatMode: 240
; IeeeMode: 1
; LDSByteSize: 128 bytes/workgroup (compile time only)
; SGPRBlocks: 0
; VGPRBlocks: 0
; NumSGPRsForWavesPerEU: 30
; NumVGPRsForWavesPerEU: 13
; NamedBarCnt: 0
; Occupancy: 16
; WaveLimiterHint : 0
; COMPUTE_PGM_RSRC2:SCRATCH_EN: 0
; COMPUTE_PGM_RSRC2:USER_SGPR: 2
; COMPUTE_PGM_RSRC2:TRAP_HANDLER: 0
; COMPUTE_PGM_RSRC2:TGID_X_EN: 1
; COMPUTE_PGM_RSRC2:TGID_Y_EN: 0
; COMPUTE_PGM_RSRC2:TGID_Z_EN: 1
; COMPUTE_PGM_RSRC2:TIDIG_COMP_CNT: 0
	.section	.text._ZL28rocblas_dot_batched_4_kernelIiLi32ELi4ELb1EdfPKdEviT5_lT_lS2_lS3_liPT4_,"axG",@progbits,_ZL28rocblas_dot_batched_4_kernelIiLi32ELi4ELb1EdfPKdEviT5_lT_lS2_lS3_liPT4_,comdat
	.globl	_ZL28rocblas_dot_batched_4_kernelIiLi32ELi4ELb1EdfPKdEviT5_lT_lS2_lS3_liPT4_ ; -- Begin function _ZL28rocblas_dot_batched_4_kernelIiLi32ELi4ELb1EdfPKdEviT5_lT_lS2_lS3_liPT4_
	.p2align	8
	.type	_ZL28rocblas_dot_batched_4_kernelIiLi32ELi4ELb1EdfPKdEviT5_lT_lS2_lS3_liPT4_,@function
_ZL28rocblas_dot_batched_4_kernelIiLi32ELi4ELb1EdfPKdEviT5_lT_lS2_lS3_liPT4_: ; @_ZL28rocblas_dot_batched_4_kernelIiLi32ELi4ELb1EdfPKdEviT5_lT_lS2_lS3_liPT4_
; %bb.0:
	s_load_b32 s2, s[0:1], 0x48
	s_bfe_u32 s3, ttmp6, 0x4000c
	s_and_b32 s4, ttmp6, 15
	s_add_co_i32 s3, s3, 1
	v_bfe_u32 v1, v0, 10, 10
	s_mul_i32 s3, ttmp9, s3
	s_delay_alu instid0(SALU_CYCLE_1) | instskip(SKIP_1) | instid1(SALU_CYCLE_1)
	s_add_co_i32 s4, s4, s3
	s_getreg_b32 s3, hwreg(HW_REG_IB_STS2, 6, 4)
	s_cmp_eq_u32 s3, 0
	s_cselect_b32 s3, ttmp9, s4
	s_delay_alu instid0(SALU_CYCLE_1) | instskip(SKIP_1) | instid1(VALU_DEP_1)
	v_lshl_add_u32 v2, s3, 2, v1
	s_wait_kmcnt 0x0
	v_cmp_gt_u32_e32 vcc_lo, s2, v2
	s_and_saveexec_b32 s2, vcc_lo
	s_cbranch_execz .LBB232_7
; %bb.1:
	s_load_b32 s6, s[0:1], 0x0
	v_mov_b64_e32 v[4:5], 0
	v_and_b32_e32 v0, 0x3ff, v0
	v_mov_b32_e32 v3, 0
	s_mov_b32 s7, exec_lo
	s_wait_kmcnt 0x0
	s_delay_alu instid0(VALU_DEP_2)
	v_cmpx_gt_i32_e64 s6, v0
	s_cbranch_execz .LBB232_5
; %bb.2:
	s_clause 0x3
	s_load_b128 s[8:11], s[0:1], 0x20
	s_load_b64 s[2:3], s[0:1], 0x40
	s_load_b32 s4, s[0:1], 0x18
	s_load_b96 s[16:18], s[0:1], 0x30
	v_mov_b32_e32 v1, v3
	s_load_b128 s[12:15], s[0:1], 0x8
	s_wait_kmcnt 0x0
	v_mul_u64_e32 v[4:5], s[8:9], v[2:3]
	v_mul_u64_e32 v[6:7], s[2:3], v[2:3]
	s_ashr_i32 s5, s4, 31
	s_ashr_i32 s9, s18, 31
	s_mov_b32 s8, s18
	v_mul_u64_e32 v[8:9], s[4:5], v[0:1]
	v_mul_u64_e32 v[10:11], s[8:9], v[0:1]
	s_lshl_b64 s[2:3], s[14:15], 3
	s_lshl_b64 s[14:15], s[16:17], 3
	s_add_nc_u64 s[2:3], s[12:13], s[2:3]
	s_add_nc_u64 s[10:11], s[10:11], s[14:15]
	v_mov_b32_e32 v1, v0
	v_lshlrev_b64_e32 v[4:5], 3, v[4:5]
	v_lshlrev_b64_e32 v[6:7], 3, v[6:7]
	s_delay_alu instid0(VALU_DEP_2) | instskip(NEXT) | instid1(VALU_DEP_2)
	v_lshl_add_u64 v[4:5], v[8:9], 3, v[4:5]
	v_lshl_add_u64 v[8:9], v[10:11], 3, v[6:7]
	s_delay_alu instid0(VALU_DEP_2) | instskip(NEXT) | instid1(VALU_DEP_2)
	v_add_nc_u64_e32 v[6:7], s[2:3], v[4:5]
	v_add_nc_u64_e32 v[8:9], s[10:11], v[8:9]
	v_mov_b64_e32 v[4:5], 0
	s_lshl_b64 s[2:3], s[4:5], 8
	s_lshl_b64 s[4:5], s[8:9], 8
	s_mov_b32 s8, 0
.LBB232_3:                              ; =>This Inner Loop Header: Depth=1
	global_load_b64 v[10:11], v[6:7], off
	global_load_b64 v[12:13], v[8:9], off
	v_add_nc_u32_e32 v1, 32, v1
	s_wait_xcnt 0x1
	v_add_nc_u64_e32 v[6:7], s[2:3], v[6:7]
	s_wait_xcnt 0x0
	v_add_nc_u64_e32 v[8:9], s[4:5], v[8:9]
	v_cmp_le_i32_e32 vcc_lo, s6, v1
	s_or_b32 s8, vcc_lo, s8
	s_wait_loadcnt 0x0
	v_fmac_f64_e32 v[4:5], v[10:11], v[12:13]
	s_and_not1_b32 exec_lo, exec_lo, s8
	s_cbranch_execnz .LBB232_3
; %bb.4:
	s_or_b32 exec_lo, exec_lo, s8
.LBB232_5:
	s_delay_alu instid0(SALU_CYCLE_1) | instskip(SKIP_4) | instid1(VALU_DEP_1)
	s_or_b32 exec_lo, exec_lo, s7
	v_mbcnt_lo_u32_b32 v1, -1, 0
	s_load_b64 s[0:1], s[0:1], 0x50
	s_barrier_signal -1
	s_barrier_wait -1
	v_lshl_or_b32 v7, v1, 2, 64
	v_cmp_gt_u32_e32 vcc_lo, 24, v1
	ds_bpermute_b32 v6, v7, v4
	ds_bpermute_b32 v7, v7, v5
	s_wait_dscnt 0x0
	v_add_f64_e32 v[4:5], v[4:5], v[6:7]
	v_cndmask_b32_e64 v6, 0, 8, vcc_lo
	v_cmp_gt_u32_e32 vcc_lo, 28, v1
	s_delay_alu instid0(VALU_DEP_2)
	v_add_lshl_u32 v7, v6, v1, 2
	ds_bpermute_b32 v6, v7, v4
	ds_bpermute_b32 v7, v7, v5
	s_wait_dscnt 0x0
	v_add_f64_e32 v[4:5], v[4:5], v[6:7]
	v_cndmask_b32_e64 v6, 0, 4, vcc_lo
	v_cmp_gt_u32_e32 vcc_lo, 30, v1
	s_delay_alu instid0(VALU_DEP_2)
	v_add_lshl_u32 v7, v6, v1, 2
	ds_bpermute_b32 v6, v7, v4
	ds_bpermute_b32 v7, v7, v5
	s_wait_dscnt 0x0
	v_add_f64_e32 v[4:5], v[4:5], v[6:7]
	v_cndmask_b32_e64 v6, 0, 2, vcc_lo
	v_cmp_ne_u32_e32 vcc_lo, 31, v1
	s_delay_alu instid0(VALU_DEP_2) | instskip(SKIP_2) | instid1(VALU_DEP_2)
	v_add_lshl_u32 v7, v6, v1, 2
	v_add_co_ci_u32_e64 v1, null, 0, v1, vcc_lo
	v_cmp_eq_u32_e32 vcc_lo, 0, v0
	v_lshlrev_b32_e32 v1, 2, v1
	ds_bpermute_b32 v6, v7, v4
	ds_bpermute_b32 v7, v7, v5
	s_wait_dscnt 0x0
	v_add_f64_e32 v[4:5], v[4:5], v[6:7]
	ds_bpermute_b32 v6, v1, v4
	ds_bpermute_b32 v7, v1, v5
	s_and_b32 exec_lo, exec_lo, vcc_lo
	s_cbranch_execz .LBB232_7
; %bb.6:
	s_wait_dscnt 0x0
	v_add_f64_e32 v[0:1], v[4:5], v[6:7]
	s_delay_alu instid0(VALU_DEP_1)
	v_cvt_f32_f64_e32 v4, v[0:1]
	s_wait_kmcnt 0x0
	v_lshl_add_u64 v[0:1], v[2:3], 2, s[0:1]
	global_store_b32 v[0:1], v4, off
.LBB232_7:
	s_endpgm
	.section	.rodata,"a",@progbits
	.p2align	6, 0x0
	.amdhsa_kernel _ZL28rocblas_dot_batched_4_kernelIiLi32ELi4ELb1EdfPKdEviT5_lT_lS2_lS3_liPT4_
		.amdhsa_group_segment_fixed_size 0
		.amdhsa_private_segment_fixed_size 0
		.amdhsa_kernarg_size 88
		.amdhsa_user_sgpr_count 2
		.amdhsa_user_sgpr_dispatch_ptr 0
		.amdhsa_user_sgpr_queue_ptr 0
		.amdhsa_user_sgpr_kernarg_segment_ptr 1
		.amdhsa_user_sgpr_dispatch_id 0
		.amdhsa_user_sgpr_kernarg_preload_length 0
		.amdhsa_user_sgpr_kernarg_preload_offset 0
		.amdhsa_user_sgpr_private_segment_size 0
		.amdhsa_wavefront_size32 1
		.amdhsa_uses_dynamic_stack 0
		.amdhsa_enable_private_segment 0
		.amdhsa_system_sgpr_workgroup_id_x 1
		.amdhsa_system_sgpr_workgroup_id_y 0
		.amdhsa_system_sgpr_workgroup_id_z 0
		.amdhsa_system_sgpr_workgroup_info 0
		.amdhsa_system_vgpr_workitem_id 1
		.amdhsa_next_free_vgpr 14
		.amdhsa_next_free_sgpr 19
		.amdhsa_named_barrier_count 0
		.amdhsa_reserve_vcc 1
		.amdhsa_float_round_mode_32 0
		.amdhsa_float_round_mode_16_64 0
		.amdhsa_float_denorm_mode_32 3
		.amdhsa_float_denorm_mode_16_64 3
		.amdhsa_fp16_overflow 0
		.amdhsa_memory_ordered 1
		.amdhsa_forward_progress 1
		.amdhsa_inst_pref_size 6
		.amdhsa_round_robin_scheduling 0
		.amdhsa_exception_fp_ieee_invalid_op 0
		.amdhsa_exception_fp_denorm_src 0
		.amdhsa_exception_fp_ieee_div_zero 0
		.amdhsa_exception_fp_ieee_overflow 0
		.amdhsa_exception_fp_ieee_underflow 0
		.amdhsa_exception_fp_ieee_inexact 0
		.amdhsa_exception_int_div_zero 0
	.end_amdhsa_kernel
	.section	.text._ZL28rocblas_dot_batched_4_kernelIiLi32ELi4ELb1EdfPKdEviT5_lT_lS2_lS3_liPT4_,"axG",@progbits,_ZL28rocblas_dot_batched_4_kernelIiLi32ELi4ELb1EdfPKdEviT5_lT_lS2_lS3_liPT4_,comdat
.Lfunc_end232:
	.size	_ZL28rocblas_dot_batched_4_kernelIiLi32ELi4ELb1EdfPKdEviT5_lT_lS2_lS3_liPT4_, .Lfunc_end232-_ZL28rocblas_dot_batched_4_kernelIiLi32ELi4ELb1EdfPKdEviT5_lT_lS2_lS3_liPT4_
                                        ; -- End function
	.set _ZL28rocblas_dot_batched_4_kernelIiLi32ELi4ELb1EdfPKdEviT5_lT_lS2_lS3_liPT4_.num_vgpr, 14
	.set _ZL28rocblas_dot_batched_4_kernelIiLi32ELi4ELb1EdfPKdEviT5_lT_lS2_lS3_liPT4_.num_agpr, 0
	.set _ZL28rocblas_dot_batched_4_kernelIiLi32ELi4ELb1EdfPKdEviT5_lT_lS2_lS3_liPT4_.numbered_sgpr, 19
	.set _ZL28rocblas_dot_batched_4_kernelIiLi32ELi4ELb1EdfPKdEviT5_lT_lS2_lS3_liPT4_.num_named_barrier, 0
	.set _ZL28rocblas_dot_batched_4_kernelIiLi32ELi4ELb1EdfPKdEviT5_lT_lS2_lS3_liPT4_.private_seg_size, 0
	.set _ZL28rocblas_dot_batched_4_kernelIiLi32ELi4ELb1EdfPKdEviT5_lT_lS2_lS3_liPT4_.uses_vcc, 1
	.set _ZL28rocblas_dot_batched_4_kernelIiLi32ELi4ELb1EdfPKdEviT5_lT_lS2_lS3_liPT4_.uses_flat_scratch, 0
	.set _ZL28rocblas_dot_batched_4_kernelIiLi32ELi4ELb1EdfPKdEviT5_lT_lS2_lS3_liPT4_.has_dyn_sized_stack, 0
	.set _ZL28rocblas_dot_batched_4_kernelIiLi32ELi4ELb1EdfPKdEviT5_lT_lS2_lS3_liPT4_.has_recursion, 0
	.set _ZL28rocblas_dot_batched_4_kernelIiLi32ELi4ELb1EdfPKdEviT5_lT_lS2_lS3_liPT4_.has_indirect_call, 0
	.section	.AMDGPU.csdata,"",@progbits
; Kernel info:
; codeLenInByte = 656
; TotalNumSgprs: 21
; NumVgprs: 14
; ScratchSize: 0
; MemoryBound: 0
; FloatMode: 240
; IeeeMode: 1
; LDSByteSize: 0 bytes/workgroup (compile time only)
; SGPRBlocks: 0
; VGPRBlocks: 0
; NumSGPRsForWavesPerEU: 21
; NumVGPRsForWavesPerEU: 14
; NamedBarCnt: 0
; Occupancy: 16
; WaveLimiterHint : 0
; COMPUTE_PGM_RSRC2:SCRATCH_EN: 0
; COMPUTE_PGM_RSRC2:USER_SGPR: 2
; COMPUTE_PGM_RSRC2:TRAP_HANDLER: 0
; COMPUTE_PGM_RSRC2:TGID_X_EN: 1
; COMPUTE_PGM_RSRC2:TGID_Y_EN: 0
; COMPUTE_PGM_RSRC2:TGID_Z_EN: 0
; COMPUTE_PGM_RSRC2:TIDIG_COMP_CNT: 1
	.section	.text._ZL28rocblas_dot_batched_4_kernelIiLi64ELi4ELb1EdfPKdEviT5_lT_lS2_lS3_liPT4_,"axG",@progbits,_ZL28rocblas_dot_batched_4_kernelIiLi64ELi4ELb1EdfPKdEviT5_lT_lS2_lS3_liPT4_,comdat
	.globl	_ZL28rocblas_dot_batched_4_kernelIiLi64ELi4ELb1EdfPKdEviT5_lT_lS2_lS3_liPT4_ ; -- Begin function _ZL28rocblas_dot_batched_4_kernelIiLi64ELi4ELb1EdfPKdEviT5_lT_lS2_lS3_liPT4_
	.p2align	8
	.type	_ZL28rocblas_dot_batched_4_kernelIiLi64ELi4ELb1EdfPKdEviT5_lT_lS2_lS3_liPT4_,@function
_ZL28rocblas_dot_batched_4_kernelIiLi64ELi4ELb1EdfPKdEviT5_lT_lS2_lS3_liPT4_: ; @_ZL28rocblas_dot_batched_4_kernelIiLi64ELi4ELb1EdfPKdEviT5_lT_lS2_lS3_liPT4_
; %bb.0:
	s_load_b32 s2, s[0:1], 0x48
	s_bfe_u32 s3, ttmp6, 0x4000c
	s_and_b32 s4, ttmp6, 15
	s_add_co_i32 s3, s3, 1
	v_bfe_u32 v1, v0, 10, 10
	s_mul_i32 s3, ttmp9, s3
	s_delay_alu instid0(SALU_CYCLE_1) | instskip(SKIP_1) | instid1(SALU_CYCLE_1)
	s_add_co_i32 s4, s4, s3
	s_getreg_b32 s3, hwreg(HW_REG_IB_STS2, 6, 4)
	s_cmp_eq_u32 s3, 0
	s_cselect_b32 s3, ttmp9, s4
	s_delay_alu instid0(SALU_CYCLE_1) | instskip(SKIP_1) | instid1(VALU_DEP_1)
	v_lshl_add_u32 v2, s3, 2, v1
	s_wait_kmcnt 0x0
	v_cmp_gt_u32_e32 vcc_lo, s2, v2
	s_and_saveexec_b32 s2, vcc_lo
	s_cbranch_execz .LBB233_7
; %bb.1:
	s_load_b32 s6, s[0:1], 0x0
	v_mov_b64_e32 v[4:5], 0
	v_and_b32_e32 v0, 0x3ff, v0
	v_mov_b32_e32 v3, 0
	s_mov_b32 s7, exec_lo
	s_wait_kmcnt 0x0
	s_delay_alu instid0(VALU_DEP_2)
	v_cmpx_gt_i32_e64 s6, v0
	s_cbranch_execz .LBB233_5
; %bb.2:
	s_clause 0x3
	s_load_b128 s[8:11], s[0:1], 0x20
	s_load_b64 s[2:3], s[0:1], 0x40
	s_load_b32 s4, s[0:1], 0x18
	s_load_b96 s[16:18], s[0:1], 0x30
	v_mov_b32_e32 v1, v3
	s_load_b128 s[12:15], s[0:1], 0x8
	s_wait_kmcnt 0x0
	v_mul_u64_e32 v[4:5], s[8:9], v[2:3]
	v_mul_u64_e32 v[6:7], s[2:3], v[2:3]
	s_ashr_i32 s5, s4, 31
	s_ashr_i32 s9, s18, 31
	s_mov_b32 s8, s18
	v_mul_u64_e32 v[8:9], s[4:5], v[0:1]
	v_mul_u64_e32 v[10:11], s[8:9], v[0:1]
	s_lshl_b64 s[2:3], s[14:15], 3
	s_lshl_b64 s[14:15], s[16:17], 3
	s_add_nc_u64 s[2:3], s[12:13], s[2:3]
	s_add_nc_u64 s[10:11], s[10:11], s[14:15]
	v_mov_b32_e32 v1, v0
	v_lshlrev_b64_e32 v[4:5], 3, v[4:5]
	v_lshlrev_b64_e32 v[6:7], 3, v[6:7]
	s_delay_alu instid0(VALU_DEP_2) | instskip(NEXT) | instid1(VALU_DEP_2)
	v_lshl_add_u64 v[4:5], v[8:9], 3, v[4:5]
	v_lshl_add_u64 v[8:9], v[10:11], 3, v[6:7]
	s_delay_alu instid0(VALU_DEP_2) | instskip(NEXT) | instid1(VALU_DEP_2)
	v_add_nc_u64_e32 v[6:7], s[2:3], v[4:5]
	v_add_nc_u64_e32 v[8:9], s[10:11], v[8:9]
	v_mov_b64_e32 v[4:5], 0
	s_lshl_b64 s[2:3], s[4:5], 9
	s_lshl_b64 s[4:5], s[8:9], 9
	s_mov_b32 s8, 0
.LBB233_3:                              ; =>This Inner Loop Header: Depth=1
	global_load_b64 v[10:11], v[6:7], off
	global_load_b64 v[12:13], v[8:9], off
	v_add_nc_u32_e32 v1, 64, v1
	s_wait_xcnt 0x1
	v_add_nc_u64_e32 v[6:7], s[2:3], v[6:7]
	s_wait_xcnt 0x0
	v_add_nc_u64_e32 v[8:9], s[4:5], v[8:9]
	v_cmp_le_i32_e32 vcc_lo, s6, v1
	s_or_b32 s8, vcc_lo, s8
	s_wait_loadcnt 0x0
	v_fmac_f64_e32 v[4:5], v[10:11], v[12:13]
	s_and_not1_b32 exec_lo, exec_lo, s8
	s_cbranch_execnz .LBB233_3
; %bb.4:
	s_or_b32 exec_lo, exec_lo, s8
.LBB233_5:
	s_delay_alu instid0(SALU_CYCLE_1) | instskip(SKIP_4) | instid1(VALU_DEP_1)
	s_or_b32 exec_lo, exec_lo, s7
	v_mbcnt_lo_u32_b32 v1, -1, 0
	s_load_b64 s[0:1], s[0:1], 0x50
	s_barrier_signal -1
	s_barrier_wait -1
	v_lshlrev_b32_e32 v8, 2, v1
	v_cmp_gt_u32_e32 vcc_lo, 24, v1
	ds_bpermute_b32 v6, v8, v4
	ds_bpermute_b32 v7, v8, v5
	s_wait_dscnt 0x0
	v_dual_add_f64 v[4:5], v[4:5], v[6:7] :: v_dual_bitop2_b32 v7, 64, v8 bitop3:0x54
	ds_bpermute_b32 v6, v7, v4
	ds_bpermute_b32 v7, v7, v5
	s_wait_dscnt 0x0
	v_add_f64_e32 v[4:5], v[4:5], v[6:7]
	v_cndmask_b32_e64 v6, 0, 8, vcc_lo
	v_cmp_gt_u32_e32 vcc_lo, 28, v1
	s_delay_alu instid0(VALU_DEP_2)
	v_add_lshl_u32 v7, v6, v1, 2
	ds_bpermute_b32 v6, v7, v4
	ds_bpermute_b32 v7, v7, v5
	s_wait_dscnt 0x0
	v_add_f64_e32 v[4:5], v[4:5], v[6:7]
	v_cndmask_b32_e64 v6, 0, 4, vcc_lo
	v_cmp_gt_u32_e32 vcc_lo, 30, v1
	s_delay_alu instid0(VALU_DEP_2)
	v_add_lshl_u32 v7, v6, v1, 2
	ds_bpermute_b32 v6, v7, v4
	ds_bpermute_b32 v7, v7, v5
	s_wait_dscnt 0x0
	v_add_f64_e32 v[4:5], v[4:5], v[6:7]
	v_cndmask_b32_e64 v6, 0, 2, vcc_lo
	v_cmp_ne_u32_e32 vcc_lo, 31, v1
	s_delay_alu instid0(VALU_DEP_2) | instskip(SKIP_2) | instid1(VALU_DEP_2)
	v_add_lshl_u32 v7, v6, v1, 2
	v_add_co_ci_u32_e64 v1, null, 0, v1, vcc_lo
	v_cmp_eq_u32_e32 vcc_lo, 0, v0
	v_lshlrev_b32_e32 v1, 2, v1
	ds_bpermute_b32 v6, v7, v4
	ds_bpermute_b32 v7, v7, v5
	s_wait_dscnt 0x0
	v_add_f64_e32 v[4:5], v[4:5], v[6:7]
	ds_bpermute_b32 v6, v1, v4
	ds_bpermute_b32 v7, v1, v5
	s_and_b32 exec_lo, exec_lo, vcc_lo
	s_cbranch_execz .LBB233_7
; %bb.6:
	s_wait_dscnt 0x0
	v_add_f64_e32 v[0:1], v[4:5], v[6:7]
	s_delay_alu instid0(VALU_DEP_1)
	v_cvt_f32_f64_e32 v4, v[0:1]
	s_wait_kmcnt 0x0
	v_lshl_add_u64 v[0:1], v[2:3], 2, s[0:1]
	global_store_b32 v[0:1], v4, off
.LBB233_7:
	s_endpgm
	.section	.rodata,"a",@progbits
	.p2align	6, 0x0
	.amdhsa_kernel _ZL28rocblas_dot_batched_4_kernelIiLi64ELi4ELb1EdfPKdEviT5_lT_lS2_lS3_liPT4_
		.amdhsa_group_segment_fixed_size 0
		.amdhsa_private_segment_fixed_size 0
		.amdhsa_kernarg_size 88
		.amdhsa_user_sgpr_count 2
		.amdhsa_user_sgpr_dispatch_ptr 0
		.amdhsa_user_sgpr_queue_ptr 0
		.amdhsa_user_sgpr_kernarg_segment_ptr 1
		.amdhsa_user_sgpr_dispatch_id 0
		.amdhsa_user_sgpr_kernarg_preload_length 0
		.amdhsa_user_sgpr_kernarg_preload_offset 0
		.amdhsa_user_sgpr_private_segment_size 0
		.amdhsa_wavefront_size32 1
		.amdhsa_uses_dynamic_stack 0
		.amdhsa_enable_private_segment 0
		.amdhsa_system_sgpr_workgroup_id_x 1
		.amdhsa_system_sgpr_workgroup_id_y 0
		.amdhsa_system_sgpr_workgroup_id_z 0
		.amdhsa_system_sgpr_workgroup_info 0
		.amdhsa_system_vgpr_workitem_id 1
		.amdhsa_next_free_vgpr 14
		.amdhsa_next_free_sgpr 19
		.amdhsa_named_barrier_count 0
		.amdhsa_reserve_vcc 1
		.amdhsa_float_round_mode_32 0
		.amdhsa_float_round_mode_16_64 0
		.amdhsa_float_denorm_mode_32 3
		.amdhsa_float_denorm_mode_16_64 3
		.amdhsa_fp16_overflow 0
		.amdhsa_memory_ordered 1
		.amdhsa_forward_progress 1
		.amdhsa_inst_pref_size 6
		.amdhsa_round_robin_scheduling 0
		.amdhsa_exception_fp_ieee_invalid_op 0
		.amdhsa_exception_fp_denorm_src 0
		.amdhsa_exception_fp_ieee_div_zero 0
		.amdhsa_exception_fp_ieee_overflow 0
		.amdhsa_exception_fp_ieee_underflow 0
		.amdhsa_exception_fp_ieee_inexact 0
		.amdhsa_exception_int_div_zero 0
	.end_amdhsa_kernel
	.section	.text._ZL28rocblas_dot_batched_4_kernelIiLi64ELi4ELb1EdfPKdEviT5_lT_lS2_lS3_liPT4_,"axG",@progbits,_ZL28rocblas_dot_batched_4_kernelIiLi64ELi4ELb1EdfPKdEviT5_lT_lS2_lS3_liPT4_,comdat
.Lfunc_end233:
	.size	_ZL28rocblas_dot_batched_4_kernelIiLi64ELi4ELb1EdfPKdEviT5_lT_lS2_lS3_liPT4_, .Lfunc_end233-_ZL28rocblas_dot_batched_4_kernelIiLi64ELi4ELb1EdfPKdEviT5_lT_lS2_lS3_liPT4_
                                        ; -- End function
	.set _ZL28rocblas_dot_batched_4_kernelIiLi64ELi4ELb1EdfPKdEviT5_lT_lS2_lS3_liPT4_.num_vgpr, 14
	.set _ZL28rocblas_dot_batched_4_kernelIiLi64ELi4ELb1EdfPKdEviT5_lT_lS2_lS3_liPT4_.num_agpr, 0
	.set _ZL28rocblas_dot_batched_4_kernelIiLi64ELi4ELb1EdfPKdEviT5_lT_lS2_lS3_liPT4_.numbered_sgpr, 19
	.set _ZL28rocblas_dot_batched_4_kernelIiLi64ELi4ELb1EdfPKdEviT5_lT_lS2_lS3_liPT4_.num_named_barrier, 0
	.set _ZL28rocblas_dot_batched_4_kernelIiLi64ELi4ELb1EdfPKdEviT5_lT_lS2_lS3_liPT4_.private_seg_size, 0
	.set _ZL28rocblas_dot_batched_4_kernelIiLi64ELi4ELb1EdfPKdEviT5_lT_lS2_lS3_liPT4_.uses_vcc, 1
	.set _ZL28rocblas_dot_batched_4_kernelIiLi64ELi4ELb1EdfPKdEviT5_lT_lS2_lS3_liPT4_.uses_flat_scratch, 0
	.set _ZL28rocblas_dot_batched_4_kernelIiLi64ELi4ELb1EdfPKdEviT5_lT_lS2_lS3_liPT4_.has_dyn_sized_stack, 0
	.set _ZL28rocblas_dot_batched_4_kernelIiLi64ELi4ELb1EdfPKdEviT5_lT_lS2_lS3_liPT4_.has_recursion, 0
	.set _ZL28rocblas_dot_batched_4_kernelIiLi64ELi4ELb1EdfPKdEviT5_lT_lS2_lS3_liPT4_.has_indirect_call, 0
	.section	.AMDGPU.csdata,"",@progbits
; Kernel info:
; codeLenInByte = 684
; TotalNumSgprs: 21
; NumVgprs: 14
; ScratchSize: 0
; MemoryBound: 0
; FloatMode: 240
; IeeeMode: 1
; LDSByteSize: 0 bytes/workgroup (compile time only)
; SGPRBlocks: 0
; VGPRBlocks: 0
; NumSGPRsForWavesPerEU: 21
; NumVGPRsForWavesPerEU: 14
; NamedBarCnt: 0
; Occupancy: 16
; WaveLimiterHint : 0
; COMPUTE_PGM_RSRC2:SCRATCH_EN: 0
; COMPUTE_PGM_RSRC2:USER_SGPR: 2
; COMPUTE_PGM_RSRC2:TRAP_HANDLER: 0
; COMPUTE_PGM_RSRC2:TGID_X_EN: 1
; COMPUTE_PGM_RSRC2:TGID_Y_EN: 0
; COMPUTE_PGM_RSRC2:TGID_Z_EN: 0
; COMPUTE_PGM_RSRC2:TIDIG_COMP_CNT: 1
	.section	.text._ZL26rocblas_dot_kernel_inc1by2ILb1ELi1024ELi32ELb1EfPKddEviT4_llS2_lliPT5_PT3_,"axG",@progbits,_ZL26rocblas_dot_kernel_inc1by2ILb1ELi1024ELi32ELb1EfPKddEviT4_llS2_lliPT5_PT3_,comdat
	.globl	_ZL26rocblas_dot_kernel_inc1by2ILb1ELi1024ELi32ELb1EfPKddEviT4_llS2_lliPT5_PT3_ ; -- Begin function _ZL26rocblas_dot_kernel_inc1by2ILb1ELi1024ELi32ELb1EfPKddEviT4_llS2_lliPT5_PT3_
	.p2align	8
	.type	_ZL26rocblas_dot_kernel_inc1by2ILb1ELi1024ELi32ELb1EfPKddEviT4_llS2_lliPT5_PT3_,@function
_ZL26rocblas_dot_kernel_inc1by2ILb1ELi1024ELi32ELb1EfPKddEviT4_llS2_lliPT5_PT3_: ; @_ZL26rocblas_dot_kernel_inc1by2ILb1ELi1024ELi32ELb1EfPKddEviT4_llS2_lliPT5_PT3_
; %bb.0:
	s_load_b32 s3, s[0:1], 0x38
	s_bfe_u32 s2, ttmp6, 0x40014
	s_lshr_b32 s4, ttmp7, 16
	s_add_co_i32 s2, s2, 1
	s_bfe_u32 s5, ttmp6, 0x40008
	s_mul_i32 s2, s4, s2
	s_getreg_b32 s6, hwreg(HW_REG_IB_STS2, 6, 4)
	s_add_co_i32 s5, s5, s2
	s_cmp_eq_u32 s6, 0
	s_mov_b32 s13, 0
	s_cselect_b32 s12, s4, s5
	s_wait_kmcnt 0x0
	s_cmp_ge_u32 s12, s3
	s_cbranch_scc1 .LBB234_19
; %bb.1:
	s_clause 0x4
	s_load_b32 s24, s[0:1], 0x0
	s_load_b128 s[4:7], s[0:1], 0x10
	s_load_b128 s[8:11], s[0:1], 0x28
	s_load_b64 s[16:17], s[0:1], 0x8
	s_load_b64 s[18:19], s[0:1], 0x20
	v_mbcnt_lo_u32_b32 v2, -1, 0
	s_load_b64 s[14:15], s[0:1], 0x48
	v_dual_mov_b32 v17, 0 :: v_dual_bitop2_b32 v1, 31, v0 bitop3:0x40
	v_cmp_gt_u32_e32 vcc_lo, 32, v0
	s_wait_xcnt 0x0
	v_cmp_gt_u32_e64 s0, 24, v2
	v_lshl_or_b32 v11, v2, 2, 64
	s_delay_alu instid0(VALU_DEP_2) | instskip(SKIP_1) | instid1(VALU_DEP_2)
	v_cndmask_b32_e64 v3, 0, 8, s0
	v_cmp_gt_u32_e64 s0, 28, v2
	v_add_lshl_u32 v12, v3, v2, 2
	s_delay_alu instid0(VALU_DEP_2)
	v_cndmask_b32_e64 v4, 0, 4, s0
	s_wait_kmcnt 0x0
	s_lshl_b64 s[0:1], s[4:5], 3
	v_lshrrev_b32_e32 v3, 2, v0
	s_add_nc_u64 s[4:5], s[16:17], s[0:1]
	v_cmp_gt_u32_e64 s0, 30, v2
	v_add_lshl_u32 v13, v4, v2, 2
	s_lshl_b64 s[8:9], s[8:9], 3
	v_and_b32_e32 v16, 0xf8, v3
	s_ashr_i32 s25, s24, 31
	v_cndmask_b32_e64 v5, 0, 2, s0
	v_cmp_ne_u32_e64 s0, 31, v2
	s_add_co_i32 s26, s24, -1
	v_cmp_eq_u32_e64 s1, 0, v0
	s_bitcmp1_b32 s24, 0
	v_add_lshl_u32 v14, v5, v2, 2
	v_add_co_ci_u32_e64 v6, null, 0, v2, s0
	v_mov_b64_e32 v[2:3], 0
	v_lshlrev_b32_e32 v10, 3, v1
	v_cmp_eq_u32_e64 s0, 0, v1
	s_delay_alu instid0(VALU_DEP_4)
	v_lshlrev_b32_e32 v15, 2, v6
	s_add_nc_u64 s[8:9], s[18:19], s[8:9]
	s_cselect_b32 s27, -1, 0
	s_add_nc_u64 s[16:17], s[8:9], 8
	s_lshl_b64 s[18:19], s[10:11], 3
	s_add_nc_u64 s[20:21], s[4:5], 8
	s_lshl_b64 s[22:23], s[6:7], 3
	s_lshl_b64 s[24:25], s[24:25], 3
	s_branch .LBB234_3
.LBB234_2:                              ;   in Loop: Header=BB234_3 Depth=1
	s_wait_xcnt 0x0
	s_or_b32 exec_lo, exec_lo, s2
	s_add_co_i32 s12, s12, 0x10000
	s_delay_alu instid0(SALU_CYCLE_1)
	s_cmp_lt_u32 s12, s3
	s_cbranch_scc0 .LBB234_19
.LBB234_3:                              ; =>This Loop Header: Depth=1
                                        ;     Child Loop BB234_5 Depth 2
	s_wait_dscnt 0x0
	v_mov_b64_e32 v[4:5], 0
	v_lshlrev_b32_e32 v0, 1, v0
	s_mov_b32 s28, exec_lo
	s_delay_alu instid0(VALU_DEP_1)
	v_cmpx_gt_i32_e64 s26, v0
	s_cbranch_execz .LBB234_7
; %bb.4:                                ;   in Loop: Header=BB234_3 Depth=1
	v_ashrrev_i32_e32 v1, 31, v0
	s_mul_u64 s[30:31], s[18:19], s[12:13]
	s_mul_u64 s[34:35], s[22:23], s[12:13]
	s_add_nc_u64 s[30:31], s[16:17], s[30:31]
	s_add_nc_u64 s[34:35], s[20:21], s[34:35]
	v_lshlrev_b64_e32 v[4:5], 3, v[0:1]
	s_mov_b32 s29, 0
	s_delay_alu instid0(VALU_DEP_1)
	v_add_nc_u64_e32 v[6:7], s[30:31], v[4:5]
	v_add_nc_u64_e32 v[8:9], s[34:35], v[4:5]
	v_mov_b64_e32 v[4:5], 0
	s_mov_b32 s30, 0
.LBB234_5:                              ;   Parent Loop BB234_3 Depth=1
                                        ; =>  This Inner Loop Header: Depth=2
	global_load_b128 v[18:21], v[6:7], off offset:-8
	global_load_b128 v[22:25], v[8:9], off offset:-8
	v_add_nc_u32_e32 v0, 0x800, v0
	s_add_co_i32 s31, s30, 1
	s_cmp_gt_u32 s30, 30
	s_wait_xcnt 0x1
	v_add_nc_u64_e32 v[6:7], 0x4000, v[6:7]
	s_cselect_b32 s30, -1, 0
	v_cmp_le_i32_e64 s2, s26, v0
	s_wait_xcnt 0x0
	v_add_nc_u64_e32 v[8:9], 0x4000, v[8:9]
	s_or_b32 s2, s30, s2
	s_mov_b32 s30, s31
	s_and_b32 s2, exec_lo, s2
	s_delay_alu instid0(SALU_CYCLE_1) | instskip(SKIP_2) | instid1(VALU_DEP_1)
	s_or_b32 s29, s2, s29
	s_wait_loadcnt 0x0
	v_fmac_f64_e32 v[4:5], v[18:19], v[22:23]
	v_fmac_f64_e32 v[4:5], v[20:21], v[24:25]
	s_and_not1_b32 exec_lo, exec_lo, s29
	s_cbranch_execnz .LBB234_5
; %bb.6:                                ;   in Loop: Header=BB234_3 Depth=1
	s_or_b32 exec_lo, exec_lo, s29
.LBB234_7:                              ;   in Loop: Header=BB234_3 Depth=1
	s_delay_alu instid0(SALU_CYCLE_1) | instskip(SKIP_2) | instid1(SALU_CYCLE_1)
	s_or_b32 exec_lo, exec_lo, s28
	v_cmp_eq_u32_e64 s2, s26, v0
	s_and_b32 s28, s27, s2
	s_and_saveexec_b32 s2, s28
	s_cbranch_execz .LBB234_9
; %bb.8:                                ;   in Loop: Header=BB234_3 Depth=1
	s_mul_u64 s[28:29], s[10:11], s[12:13]
	s_mul_u64 s[30:31], s[6:7], s[12:13]
	s_lshl_b64 s[28:29], s[28:29], 3
	s_lshl_b64 s[30:31], s[30:31], 3
	s_add_nc_u64 s[28:29], s[8:9], s[28:29]
	s_add_nc_u64 s[30:31], s[4:5], s[30:31]
	;; [unrolled: 1-line block ×4, first 2 shown]
	s_add_nc_u64 s[28:29], s[28:29], -8
	s_add_nc_u64 s[30:31], s[30:31], -8
	s_load_b64 s[34:35], s[28:29], 0x0
	s_load_b64 s[36:37], s[30:31], 0x0
	s_wait_kmcnt 0x0
	v_fmac_f64_e64 v[4:5], s[34:35], s[36:37]
.LBB234_9:                              ;   in Loop: Header=BB234_3 Depth=1
	s_or_b32 exec_lo, exec_lo, s2
	s_and_saveexec_b32 s2, vcc_lo
; %bb.10:                               ;   in Loop: Header=BB234_3 Depth=1
	ds_store_b64 v10, v[2:3]
; %bb.11:                               ;   in Loop: Header=BB234_3 Depth=1
	s_or_b32 exec_lo, exec_lo, s2
	ds_bpermute_b32 v6, v11, v4
	ds_bpermute_b32 v7, v11, v5
	s_wait_dscnt 0x0
	s_barrier_signal -1
	s_barrier_wait -1
	v_add_f64_e32 v[4:5], v[4:5], v[6:7]
	ds_bpermute_b32 v6, v12, v4
	ds_bpermute_b32 v7, v12, v5
	s_wait_dscnt 0x0
	v_add_f64_e32 v[4:5], v[4:5], v[6:7]
	ds_bpermute_b32 v6, v13, v4
	ds_bpermute_b32 v7, v13, v5
	s_wait_dscnt 0x0
	;; [unrolled: 4-line block ×3, first 2 shown]
	v_add_f64_e32 v[4:5], v[4:5], v[6:7]
	ds_bpermute_b32 v6, v15, v4
	ds_bpermute_b32 v7, v15, v5
	s_and_saveexec_b32 s2, s0
	s_cbranch_execz .LBB234_13
; %bb.12:                               ;   in Loop: Header=BB234_3 Depth=1
	s_wait_dscnt 0x0
	v_add_f64_e32 v[4:5], v[4:5], v[6:7]
	ds_store_b64 v16, v[4:5]
.LBB234_13:                             ;   in Loop: Header=BB234_3 Depth=1
	s_or_b32 exec_lo, exec_lo, s2
	v_mov_b64_e32 v[4:5], 0
	s_wait_dscnt 0x0
	s_barrier_signal -1
	s_barrier_wait -1
	s_and_saveexec_b32 s2, vcc_lo
	s_cbranch_execnz .LBB234_16
; %bb.14:                               ;   in Loop: Header=BB234_3 Depth=1
	s_or_b32 exec_lo, exec_lo, s2
	s_and_saveexec_b32 s2, vcc_lo
	s_cbranch_execnz .LBB234_17
.LBB234_15:                             ;   in Loop: Header=BB234_3 Depth=1
	s_or_b32 exec_lo, exec_lo, s2
	s_and_saveexec_b32 s2, s1
	s_cbranch_execz .LBB234_2
	s_branch .LBB234_18
.LBB234_16:                             ;   in Loop: Header=BB234_3 Depth=1
	ds_load_b64 v[4:5], v10
	s_or_b32 exec_lo, exec_lo, s2
	s_and_saveexec_b32 s2, vcc_lo
	s_cbranch_execz .LBB234_15
.LBB234_17:                             ;   in Loop: Header=BB234_3 Depth=1
	s_wait_dscnt 0x0
	ds_bpermute_b32 v6, v11, v4
	ds_bpermute_b32 v7, v11, v5
	s_wait_dscnt 0x0
	v_add_f64_e32 v[4:5], v[4:5], v[6:7]
	ds_bpermute_b32 v6, v12, v4
	ds_bpermute_b32 v7, v12, v5
	s_wait_dscnt 0x0
	v_add_f64_e32 v[4:5], v[4:5], v[6:7]
	ds_bpermute_b32 v6, v13, v4
	ds_bpermute_b32 v7, v13, v5
	s_wait_dscnt 0x0
	v_add_f64_e32 v[4:5], v[4:5], v[6:7]
	ds_bpermute_b32 v6, v14, v4
	ds_bpermute_b32 v7, v14, v5
	s_wait_dscnt 0x0
	v_add_f64_e32 v[4:5], v[4:5], v[6:7]
	ds_bpermute_b32 v6, v15, v4
	ds_bpermute_b32 v7, v15, v5
	s_wait_dscnt 0x0
	v_add_f64_e32 v[4:5], v[4:5], v[6:7]
	s_or_b32 exec_lo, exec_lo, s2
	s_and_saveexec_b32 s2, s1
	s_cbranch_execz .LBB234_2
.LBB234_18:                             ;   in Loop: Header=BB234_3 Depth=1
	s_wait_dscnt 0x0
	s_delay_alu instid0(VALU_DEP_1) | instskip(SKIP_2) | instid1(SALU_CYCLE_1)
	v_cvt_f32_f64_e32 v1, v[4:5]
	s_wait_xcnt 0x0
	s_lshl_b64 s[28:29], s[12:13], 2
	s_add_nc_u64 s[28:29], s[14:15], s[28:29]
	global_store_b32 v17, v1, s[28:29]
	s_branch .LBB234_2
.LBB234_19:
	s_endpgm
	.section	.rodata,"a",@progbits
	.p2align	6, 0x0
	.amdhsa_kernel _ZL26rocblas_dot_kernel_inc1by2ILb1ELi1024ELi32ELb1EfPKddEviT4_llS2_lliPT5_PT3_
		.amdhsa_group_segment_fixed_size 256
		.amdhsa_private_segment_fixed_size 0
		.amdhsa_kernarg_size 80
		.amdhsa_user_sgpr_count 2
		.amdhsa_user_sgpr_dispatch_ptr 0
		.amdhsa_user_sgpr_queue_ptr 0
		.amdhsa_user_sgpr_kernarg_segment_ptr 1
		.amdhsa_user_sgpr_dispatch_id 0
		.amdhsa_user_sgpr_kernarg_preload_length 0
		.amdhsa_user_sgpr_kernarg_preload_offset 0
		.amdhsa_user_sgpr_private_segment_size 0
		.amdhsa_wavefront_size32 1
		.amdhsa_uses_dynamic_stack 0
		.amdhsa_enable_private_segment 0
		.amdhsa_system_sgpr_workgroup_id_x 1
		.amdhsa_system_sgpr_workgroup_id_y 0
		.amdhsa_system_sgpr_workgroup_id_z 1
		.amdhsa_system_sgpr_workgroup_info 0
		.amdhsa_system_vgpr_workitem_id 0
		.amdhsa_next_free_vgpr 26
		.amdhsa_next_free_sgpr 38
		.amdhsa_named_barrier_count 0
		.amdhsa_reserve_vcc 1
		.amdhsa_float_round_mode_32 0
		.amdhsa_float_round_mode_16_64 0
		.amdhsa_float_denorm_mode_32 3
		.amdhsa_float_denorm_mode_16_64 3
		.amdhsa_fp16_overflow 0
		.amdhsa_memory_ordered 1
		.amdhsa_forward_progress 1
		.amdhsa_inst_pref_size 9
		.amdhsa_round_robin_scheduling 0
		.amdhsa_exception_fp_ieee_invalid_op 0
		.amdhsa_exception_fp_denorm_src 0
		.amdhsa_exception_fp_ieee_div_zero 0
		.amdhsa_exception_fp_ieee_overflow 0
		.amdhsa_exception_fp_ieee_underflow 0
		.amdhsa_exception_fp_ieee_inexact 0
		.amdhsa_exception_int_div_zero 0
	.end_amdhsa_kernel
	.section	.text._ZL26rocblas_dot_kernel_inc1by2ILb1ELi1024ELi32ELb1EfPKddEviT4_llS2_lliPT5_PT3_,"axG",@progbits,_ZL26rocblas_dot_kernel_inc1by2ILb1ELi1024ELi32ELb1EfPKddEviT4_llS2_lliPT5_PT3_,comdat
.Lfunc_end234:
	.size	_ZL26rocblas_dot_kernel_inc1by2ILb1ELi1024ELi32ELb1EfPKddEviT4_llS2_lliPT5_PT3_, .Lfunc_end234-_ZL26rocblas_dot_kernel_inc1by2ILb1ELi1024ELi32ELb1EfPKddEviT4_llS2_lliPT5_PT3_
                                        ; -- End function
	.set _ZL26rocblas_dot_kernel_inc1by2ILb1ELi1024ELi32ELb1EfPKddEviT4_llS2_lliPT5_PT3_.num_vgpr, 26
	.set _ZL26rocblas_dot_kernel_inc1by2ILb1ELi1024ELi32ELb1EfPKddEviT4_llS2_lliPT5_PT3_.num_agpr, 0
	.set _ZL26rocblas_dot_kernel_inc1by2ILb1ELi1024ELi32ELb1EfPKddEviT4_llS2_lliPT5_PT3_.numbered_sgpr, 38
	.set _ZL26rocblas_dot_kernel_inc1by2ILb1ELi1024ELi32ELb1EfPKddEviT4_llS2_lliPT5_PT3_.num_named_barrier, 0
	.set _ZL26rocblas_dot_kernel_inc1by2ILb1ELi1024ELi32ELb1EfPKddEviT4_llS2_lliPT5_PT3_.private_seg_size, 0
	.set _ZL26rocblas_dot_kernel_inc1by2ILb1ELi1024ELi32ELb1EfPKddEviT4_llS2_lliPT5_PT3_.uses_vcc, 1
	.set _ZL26rocblas_dot_kernel_inc1by2ILb1ELi1024ELi32ELb1EfPKddEviT4_llS2_lliPT5_PT3_.uses_flat_scratch, 0
	.set _ZL26rocblas_dot_kernel_inc1by2ILb1ELi1024ELi32ELb1EfPKddEviT4_llS2_lliPT5_PT3_.has_dyn_sized_stack, 0
	.set _ZL26rocblas_dot_kernel_inc1by2ILb1ELi1024ELi32ELb1EfPKddEviT4_llS2_lliPT5_PT3_.has_recursion, 0
	.set _ZL26rocblas_dot_kernel_inc1by2ILb1ELi1024ELi32ELb1EfPKddEviT4_llS2_lliPT5_PT3_.has_indirect_call, 0
	.section	.AMDGPU.csdata,"",@progbits
; Kernel info:
; codeLenInByte = 1100
; TotalNumSgprs: 40
; NumVgprs: 26
; ScratchSize: 0
; MemoryBound: 0
; FloatMode: 240
; IeeeMode: 1
; LDSByteSize: 256 bytes/workgroup (compile time only)
; SGPRBlocks: 0
; VGPRBlocks: 1
; NumSGPRsForWavesPerEU: 40
; NumVGPRsForWavesPerEU: 26
; NamedBarCnt: 0
; Occupancy: 16
; WaveLimiterHint : 0
; COMPUTE_PGM_RSRC2:SCRATCH_EN: 0
; COMPUTE_PGM_RSRC2:USER_SGPR: 2
; COMPUTE_PGM_RSRC2:TRAP_HANDLER: 0
; COMPUTE_PGM_RSRC2:TGID_X_EN: 1
; COMPUTE_PGM_RSRC2:TGID_Y_EN: 0
; COMPUTE_PGM_RSRC2:TGID_Z_EN: 1
; COMPUTE_PGM_RSRC2:TIDIG_COMP_CNT: 0
	.section	.text._ZL18rocblas_dot_kernelIiLb1ELi1024ELi32ELb1EfPKddEviT5_lT_lS2_lS3_liPT6_PT4_,"axG",@progbits,_ZL18rocblas_dot_kernelIiLb1ELi1024ELi32ELb1EfPKddEviT5_lT_lS2_lS3_liPT6_PT4_,comdat
	.globl	_ZL18rocblas_dot_kernelIiLb1ELi1024ELi32ELb1EfPKddEviT5_lT_lS2_lS3_liPT6_PT4_ ; -- Begin function _ZL18rocblas_dot_kernelIiLb1ELi1024ELi32ELb1EfPKddEviT5_lT_lS2_lS3_liPT6_PT4_
	.p2align	8
	.type	_ZL18rocblas_dot_kernelIiLb1ELi1024ELi32ELb1EfPKddEviT5_lT_lS2_lS3_liPT6_PT4_,@function
_ZL18rocblas_dot_kernelIiLb1ELi1024ELi32ELb1EfPKddEviT5_lT_lS2_lS3_liPT6_PT4_: ; @_ZL18rocblas_dot_kernelIiLb1ELi1024ELi32ELb1EfPKddEviT5_lT_lS2_lS3_liPT6_PT4_
; %bb.0:
	s_load_b32 s3, s[0:1], 0x48
	s_bfe_u32 s2, ttmp6, 0x40014
	s_lshr_b32 s4, ttmp7, 16
	s_add_co_i32 s2, s2, 1
	s_bfe_u32 s5, ttmp6, 0x40008
	s_mul_i32 s2, s4, s2
	s_getreg_b32 s6, hwreg(HW_REG_IB_STS2, 6, 4)
	s_add_co_i32 s5, s5, s2
	s_cmp_eq_u32 s6, 0
	s_mov_b32 s17, 0
	s_cselect_b32 s16, s4, s5
	s_wait_kmcnt 0x0
	s_cmp_ge_u32 s16, s3
	s_cbranch_scc1 .LBB235_17
; %bb.1:
	v_mbcnt_lo_u32_b32 v3, -1, 0
	s_clause 0x6
	s_load_b32 s24, s[0:1], 0x18
	s_load_b96 s[12:14], s[0:1], 0x30
	s_load_b96 s[8:10], s[0:1], 0x58
	s_load_b128 s[4:7], s[0:1], 0x20
	s_load_b128 s[20:23], s[0:1], 0x8
	s_load_b32 s26, s[0:1], 0x0
	s_load_b64 s[28:29], s[0:1], 0x40
	v_and_b32_e32 v2, 31, v0
	s_wait_xcnt 0x0
	v_cmp_eq_u32_e64 s1, 0, v0
	v_cmp_gt_u32_e64 s0, 24, v3
	v_lshl_or_b32 v10, v3, 2, 64
	v_mov_b32_e32 v16, 0
	v_cmp_gt_u32_e32 vcc_lo, 32, v0
	s_delay_alu instid0(VALU_DEP_4) | instskip(SKIP_1) | instid1(VALU_DEP_2)
	v_cndmask_b32_e64 v4, 0, 8, s0
	v_cmp_gt_u32_e64 s0, 28, v3
	v_add_lshl_u32 v11, v4, v3, 2
	s_delay_alu instid0(VALU_DEP_2)
	v_cndmask_b32_e64 v5, 0, 4, s0
	v_cmp_gt_u32_e64 s0, 30, v3
	v_lshrrev_b32_e32 v4, 2, v0
	s_wait_kmcnt 0x0
	s_ashr_i32 s25, s24, 31
	s_lshl_b32 s10, s10, 10
	v_add_lshl_u32 v12, v5, v3, 2
	v_cndmask_b32_e64 v6, 0, 2, s0
	v_cmp_ne_u32_e64 s0, 31, v3
	s_ashr_i32 s31, s14, 31
	s_mov_b32 s30, s14
	s_lshl_b64 s[14:15], s[22:23], 3
	v_add_lshl_u32 v13, v6, v3, 2
	v_add_co_ci_u32_e64 v7, null, 0, v3, s0
	v_lshlrev_b32_e32 v1, 3, v2
	v_cmp_eq_u32_e64 s0, 0, v2
	v_mov_b64_e32 v[2:3], 0
	s_ashr_i32 s11, s10, 31
	v_lshlrev_b32_e32 v14, 2, v7
	v_and_b32_e32 v15, 0xf8, v4
	s_add_nc_u64 s[14:15], s[20:21], s[14:15]
	s_lshl_b64 s[18:19], s[24:25], 3
	s_mul_u64 s[20:21], s[24:25], s[10:11]
	s_lshl_b64 s[22:23], s[12:13], 3
	s_mul_u64 s[24:25], s[30:31], s[10:11]
	s_lshl_b64 s[4:5], s[4:5], 3
	s_lshl_b64 s[12:13], s[20:21], 3
	s_add_nc_u64 s[6:7], s[6:7], s[22:23]
	s_lshl_b64 s[20:21], s[30:31], 3
	s_lshl_b64 s[22:23], s[28:29], 3
	;; [unrolled: 1-line block ×3, first 2 shown]
	s_branch .LBB235_3
.LBB235_2:                              ;   in Loop: Header=BB235_3 Depth=1
	s_wait_xcnt 0x0
	s_or_b32 exec_lo, exec_lo, s2
	s_add_co_i32 s16, s16, 0x10000
	s_delay_alu instid0(SALU_CYCLE_1)
	s_cmp_lt_u32 s16, s3
	s_cbranch_scc0 .LBB235_17
.LBB235_3:                              ; =>This Loop Header: Depth=1
                                        ;     Child Loop BB235_5 Depth 2
	s_wait_dscnt 0x0
	v_mov_b64_e32 v[4:5], 0
	s_mov_b32 s11, exec_lo
	v_cmpx_gt_i32_e64 s26, v0
	s_cbranch_execz .LBB235_7
; %bb.4:                                ;   in Loop: Header=BB235_3 Depth=1
	s_mul_u64 s[28:29], s[4:5], s[16:17]
	s_mul_u64 s[30:31], s[22:23], s[16:17]
	s_add_nc_u64 s[28:29], s[14:15], s[28:29]
	s_add_nc_u64 s[30:31], s[6:7], s[30:31]
	v_mad_nc_u64_u32 v[6:7], s18, v0, s[28:29]
	v_mad_nc_u64_u32 v[8:9], s20, v0, s[30:31]
	s_mov_b32 s27, 0
	s_mov_b32 s28, 0
	s_delay_alu instid0(VALU_DEP_2) | instskip(NEXT) | instid1(VALU_DEP_2)
	v_mad_u32 v4, s19, v0, v7
	v_mad_u32 v5, s21, v0, v9
	v_ashrrev_i32_e32 v9, 31, v0
	s_delay_alu instid0(VALU_DEP_1) | instskip(NEXT) | instid1(VALU_DEP_3)
	v_mad_u32 v7, s18, v9, v4
	v_mad_u32 v9, s20, v9, v5
	v_mov_b64_e32 v[4:5], 0
.LBB235_5:                              ;   Parent Loop BB235_3 Depth=1
                                        ; =>  This Inner Loop Header: Depth=2
	global_load_b64 v[18:19], v[8:9], off
	global_load_b64 v[20:21], v[6:7], off
	v_add_nc_u32_e32 v0, s10, v0
	s_add_co_i32 s29, s28, 1
	s_cmp_gt_u32 s28, 30
	s_wait_xcnt 0x0
	v_add_nc_u64_e32 v[6:7], s[12:13], v[6:7]
	s_cselect_b32 s28, -1, 0
	v_cmp_le_i32_e64 s2, s26, v0
	v_add_nc_u64_e32 v[8:9], s[24:25], v[8:9]
	s_or_b32 s2, s28, s2
	s_mov_b32 s28, s29
	s_and_b32 s2, exec_lo, s2
	s_delay_alu instid0(SALU_CYCLE_1)
	s_or_b32 s27, s2, s27
	s_wait_loadcnt 0x0
	v_fmac_f64_e32 v[4:5], v[18:19], v[20:21]
	s_and_not1_b32 exec_lo, exec_lo, s27
	s_cbranch_execnz .LBB235_5
; %bb.6:                                ;   in Loop: Header=BB235_3 Depth=1
	s_or_b32 exec_lo, exec_lo, s27
.LBB235_7:                              ;   in Loop: Header=BB235_3 Depth=1
	s_delay_alu instid0(SALU_CYCLE_1)
	s_or_b32 exec_lo, exec_lo, s11
	s_and_saveexec_b32 s2, vcc_lo
; %bb.8:                                ;   in Loop: Header=BB235_3 Depth=1
	ds_store_b64 v1, v[2:3]
; %bb.9:                                ;   in Loop: Header=BB235_3 Depth=1
	s_or_b32 exec_lo, exec_lo, s2
	ds_bpermute_b32 v6, v10, v4
	ds_bpermute_b32 v7, v10, v5
	s_wait_dscnt 0x0
	s_barrier_signal -1
	s_barrier_wait -1
	v_add_f64_e32 v[4:5], v[4:5], v[6:7]
	ds_bpermute_b32 v6, v11, v4
	ds_bpermute_b32 v7, v11, v5
	s_wait_dscnt 0x0
	v_add_f64_e32 v[4:5], v[4:5], v[6:7]
	ds_bpermute_b32 v6, v12, v4
	ds_bpermute_b32 v7, v12, v5
	s_wait_dscnt 0x0
	;; [unrolled: 4-line block ×3, first 2 shown]
	v_add_f64_e32 v[4:5], v[4:5], v[6:7]
	ds_bpermute_b32 v6, v14, v4
	ds_bpermute_b32 v7, v14, v5
	s_and_saveexec_b32 s2, s0
	s_cbranch_execz .LBB235_11
; %bb.10:                               ;   in Loop: Header=BB235_3 Depth=1
	s_wait_dscnt 0x0
	v_add_f64_e32 v[4:5], v[4:5], v[6:7]
	ds_store_b64 v15, v[4:5]
.LBB235_11:                             ;   in Loop: Header=BB235_3 Depth=1
	s_or_b32 exec_lo, exec_lo, s2
	v_mov_b64_e32 v[4:5], 0
	s_wait_dscnt 0x0
	s_barrier_signal -1
	s_barrier_wait -1
	s_and_saveexec_b32 s2, vcc_lo
	s_cbranch_execnz .LBB235_14
; %bb.12:                               ;   in Loop: Header=BB235_3 Depth=1
	s_or_b32 exec_lo, exec_lo, s2
	s_and_saveexec_b32 s2, vcc_lo
	s_cbranch_execnz .LBB235_15
.LBB235_13:                             ;   in Loop: Header=BB235_3 Depth=1
	s_or_b32 exec_lo, exec_lo, s2
	s_and_saveexec_b32 s2, s1
	s_cbranch_execz .LBB235_2
	s_branch .LBB235_16
.LBB235_14:                             ;   in Loop: Header=BB235_3 Depth=1
	ds_load_b64 v[4:5], v1
	s_or_b32 exec_lo, exec_lo, s2
	s_and_saveexec_b32 s2, vcc_lo
	s_cbranch_execz .LBB235_13
.LBB235_15:                             ;   in Loop: Header=BB235_3 Depth=1
	s_wait_dscnt 0x0
	ds_bpermute_b32 v6, v10, v4
	ds_bpermute_b32 v7, v10, v5
	s_wait_dscnt 0x0
	v_add_f64_e32 v[4:5], v[4:5], v[6:7]
	ds_bpermute_b32 v6, v11, v4
	ds_bpermute_b32 v7, v11, v5
	s_wait_dscnt 0x0
	v_add_f64_e32 v[4:5], v[4:5], v[6:7]
	;; [unrolled: 4-line block ×5, first 2 shown]
	s_or_b32 exec_lo, exec_lo, s2
	s_and_saveexec_b32 s2, s1
	s_cbranch_execz .LBB235_2
.LBB235_16:                             ;   in Loop: Header=BB235_3 Depth=1
	s_wait_dscnt 0x0
	s_delay_alu instid0(VALU_DEP_1) | instskip(SKIP_1) | instid1(SALU_CYCLE_1)
	v_cvt_f32_f64_e32 v4, v[4:5]
	s_lshl_b64 s[28:29], s[16:17], 2
	s_add_nc_u64 s[28:29], s[8:9], s[28:29]
	global_store_b32 v16, v4, s[28:29]
	s_branch .LBB235_2
.LBB235_17:
	s_endpgm
	.section	.rodata,"a",@progbits
	.p2align	6, 0x0
	.amdhsa_kernel _ZL18rocblas_dot_kernelIiLb1ELi1024ELi32ELb1EfPKddEviT5_lT_lS2_lS3_liPT6_PT4_
		.amdhsa_group_segment_fixed_size 256
		.amdhsa_private_segment_fixed_size 0
		.amdhsa_kernarg_size 352
		.amdhsa_user_sgpr_count 2
		.amdhsa_user_sgpr_dispatch_ptr 0
		.amdhsa_user_sgpr_queue_ptr 0
		.amdhsa_user_sgpr_kernarg_segment_ptr 1
		.amdhsa_user_sgpr_dispatch_id 0
		.amdhsa_user_sgpr_kernarg_preload_length 0
		.amdhsa_user_sgpr_kernarg_preload_offset 0
		.amdhsa_user_sgpr_private_segment_size 0
		.amdhsa_wavefront_size32 1
		.amdhsa_uses_dynamic_stack 0
		.amdhsa_enable_private_segment 0
		.amdhsa_system_sgpr_workgroup_id_x 1
		.amdhsa_system_sgpr_workgroup_id_y 0
		.amdhsa_system_sgpr_workgroup_id_z 1
		.amdhsa_system_sgpr_workgroup_info 0
		.amdhsa_system_vgpr_workitem_id 0
		.amdhsa_next_free_vgpr 22
		.amdhsa_next_free_sgpr 32
		.amdhsa_named_barrier_count 0
		.amdhsa_reserve_vcc 1
		.amdhsa_float_round_mode_32 0
		.amdhsa_float_round_mode_16_64 0
		.amdhsa_float_denorm_mode_32 3
		.amdhsa_float_denorm_mode_16_64 3
		.amdhsa_fp16_overflow 0
		.amdhsa_memory_ordered 1
		.amdhsa_forward_progress 1
		.amdhsa_inst_pref_size 9
		.amdhsa_round_robin_scheduling 0
		.amdhsa_exception_fp_ieee_invalid_op 0
		.amdhsa_exception_fp_denorm_src 0
		.amdhsa_exception_fp_ieee_div_zero 0
		.amdhsa_exception_fp_ieee_overflow 0
		.amdhsa_exception_fp_ieee_underflow 0
		.amdhsa_exception_fp_ieee_inexact 0
		.amdhsa_exception_int_div_zero 0
	.end_amdhsa_kernel
	.section	.text._ZL18rocblas_dot_kernelIiLb1ELi1024ELi32ELb1EfPKddEviT5_lT_lS2_lS3_liPT6_PT4_,"axG",@progbits,_ZL18rocblas_dot_kernelIiLb1ELi1024ELi32ELb1EfPKddEviT5_lT_lS2_lS3_liPT6_PT4_,comdat
.Lfunc_end235:
	.size	_ZL18rocblas_dot_kernelIiLb1ELi1024ELi32ELb1EfPKddEviT5_lT_lS2_lS3_liPT6_PT4_, .Lfunc_end235-_ZL18rocblas_dot_kernelIiLb1ELi1024ELi32ELb1EfPKddEviT5_lT_lS2_lS3_liPT6_PT4_
                                        ; -- End function
	.set _ZL18rocblas_dot_kernelIiLb1ELi1024ELi32ELb1EfPKddEviT5_lT_lS2_lS3_liPT6_PT4_.num_vgpr, 22
	.set _ZL18rocblas_dot_kernelIiLb1ELi1024ELi32ELb1EfPKddEviT5_lT_lS2_lS3_liPT6_PT4_.num_agpr, 0
	.set _ZL18rocblas_dot_kernelIiLb1ELi1024ELi32ELb1EfPKddEviT5_lT_lS2_lS3_liPT6_PT4_.numbered_sgpr, 32
	.set _ZL18rocblas_dot_kernelIiLb1ELi1024ELi32ELb1EfPKddEviT5_lT_lS2_lS3_liPT6_PT4_.num_named_barrier, 0
	.set _ZL18rocblas_dot_kernelIiLb1ELi1024ELi32ELb1EfPKddEviT5_lT_lS2_lS3_liPT6_PT4_.private_seg_size, 0
	.set _ZL18rocblas_dot_kernelIiLb1ELi1024ELi32ELb1EfPKddEviT5_lT_lS2_lS3_liPT6_PT4_.uses_vcc, 1
	.set _ZL18rocblas_dot_kernelIiLb1ELi1024ELi32ELb1EfPKddEviT5_lT_lS2_lS3_liPT6_PT4_.uses_flat_scratch, 0
	.set _ZL18rocblas_dot_kernelIiLb1ELi1024ELi32ELb1EfPKddEviT5_lT_lS2_lS3_liPT6_PT4_.has_dyn_sized_stack, 0
	.set _ZL18rocblas_dot_kernelIiLb1ELi1024ELi32ELb1EfPKddEviT5_lT_lS2_lS3_liPT6_PT4_.has_recursion, 0
	.set _ZL18rocblas_dot_kernelIiLb1ELi1024ELi32ELb1EfPKddEviT5_lT_lS2_lS3_liPT6_PT4_.has_indirect_call, 0
	.section	.AMDGPU.csdata,"",@progbits
; Kernel info:
; codeLenInByte = 1032
; TotalNumSgprs: 34
; NumVgprs: 22
; ScratchSize: 0
; MemoryBound: 0
; FloatMode: 240
; IeeeMode: 1
; LDSByteSize: 256 bytes/workgroup (compile time only)
; SGPRBlocks: 0
; VGPRBlocks: 1
; NumSGPRsForWavesPerEU: 34
; NumVGPRsForWavesPerEU: 22
; NamedBarCnt: 0
; Occupancy: 16
; WaveLimiterHint : 0
; COMPUTE_PGM_RSRC2:SCRATCH_EN: 0
; COMPUTE_PGM_RSRC2:USER_SGPR: 2
; COMPUTE_PGM_RSRC2:TRAP_HANDLER: 0
; COMPUTE_PGM_RSRC2:TGID_X_EN: 1
; COMPUTE_PGM_RSRC2:TGID_Y_EN: 0
; COMPUTE_PGM_RSRC2:TGID_Z_EN: 1
; COMPUTE_PGM_RSRC2:TIDIG_COMP_CNT: 0
	.section	.text._ZL24rocblas_dot_kernel_magsqIiLb1ELi1024ELi32ELb1EfPKddEviT5_lT_liPT6_PT4_,"axG",@progbits,_ZL24rocblas_dot_kernel_magsqIiLb1ELi1024ELi32ELb1EfPKddEviT5_lT_liPT6_PT4_,comdat
	.globl	_ZL24rocblas_dot_kernel_magsqIiLb1ELi1024ELi32ELb1EfPKddEviT5_lT_liPT6_PT4_ ; -- Begin function _ZL24rocblas_dot_kernel_magsqIiLb1ELi1024ELi32ELb1EfPKddEviT5_lT_liPT6_PT4_
	.p2align	8
	.type	_ZL24rocblas_dot_kernel_magsqIiLb1ELi1024ELi32ELb1EfPKddEviT5_lT_liPT6_PT4_,@function
_ZL24rocblas_dot_kernel_magsqIiLb1ELi1024ELi32ELb1EfPKddEviT5_lT_liPT6_PT4_: ; @_ZL24rocblas_dot_kernel_magsqIiLb1ELi1024ELi32ELb1EfPKddEviT5_lT_liPT6_PT4_
; %bb.0:
	s_load_b32 s3, s[0:1], 0x28
	s_bfe_u32 s2, ttmp6, 0x40014
	s_lshr_b32 s4, ttmp7, 16
	s_add_co_i32 s2, s2, 1
	s_bfe_u32 s5, ttmp6, 0x40008
	s_mul_i32 s2, s4, s2
	s_getreg_b32 s6, hwreg(HW_REG_IB_STS2, 6, 4)
	s_add_co_i32 s5, s5, s2
	s_cmp_eq_u32 s6, 0
	s_mov_b32 s9, 0
	s_cselect_b32 s8, s4, s5
	s_wait_kmcnt 0x0
	s_cmp_ge_u32 s8, s3
	s_cbranch_scc1 .LBB236_17
; %bb.1:
	v_mbcnt_lo_u32_b32 v3, -1, 0
	s_clause 0x4
	s_load_b32 s16, s[0:1], 0x18
	s_load_b96 s[4:6], s[0:1], 0x38
	s_load_b128 s[12:15], s[0:1], 0x8
	s_load_b64 s[20:21], s[0:1], 0x20
	s_load_b32 s18, s[0:1], 0x0
	v_and_b32_e32 v2, 31, v0
	s_wait_xcnt 0x0
	v_cmp_eq_u32_e64 s1, 0, v0
	v_cmp_gt_u32_e64 s0, 24, v3
	v_lshl_or_b32 v8, v3, 2, 64
	v_mov_b32_e32 v14, 0
	v_cmp_gt_u32_e32 vcc_lo, 32, v0
	s_delay_alu instid0(VALU_DEP_4) | instskip(SKIP_1) | instid1(VALU_DEP_2)
	v_cndmask_b32_e64 v4, 0, 8, s0
	v_cmp_gt_u32_e64 s0, 28, v3
	v_add_lshl_u32 v9, v4, v3, 2
	s_delay_alu instid0(VALU_DEP_2)
	v_cndmask_b32_e64 v5, 0, 4, s0
	v_cmp_gt_u32_e64 s0, 30, v3
	v_lshrrev_b32_e32 v4, 2, v0
	s_wait_kmcnt 0x0
	s_ashr_i32 s17, s16, 31
	s_lshl_b32 s6, s6, 10
	v_cndmask_b32_e64 v6, 0, 2, s0
	v_cmp_ne_u32_e64 s0, 31, v3
	v_add_lshl_u32 v10, v5, v3, 2
	s_lshl_b64 s[10:11], s[14:15], 3
	s_ashr_i32 s7, s6, 31
	v_add_lshl_u32 v11, v6, v3, 2
	v_add_co_ci_u32_e64 v7, null, 0, v3, s0
	v_lshlrev_b32_e32 v1, 3, v2
	v_cmp_eq_u32_e64 s0, 0, v2
	v_mov_b64_e32 v[2:3], 0
	s_delay_alu instid0(VALU_DEP_4)
	v_lshlrev_b32_e32 v12, 2, v7
	v_and_b32_e32 v13, 0xf8, v4
	s_add_nc_u64 s[10:11], s[12:13], s[10:11]
	s_lshl_b64 s[12:13], s[16:17], 3
	s_mul_u64 s[16:17], s[16:17], s[6:7]
	s_lshl_b64 s[14:15], s[20:21], 3
	s_lshl_b64 s[16:17], s[16:17], 3
	s_branch .LBB236_3
.LBB236_2:                              ;   in Loop: Header=BB236_3 Depth=1
	s_wait_xcnt 0x0
	s_or_b32 exec_lo, exec_lo, s2
	s_add_co_i32 s8, s8, 0x10000
	s_delay_alu instid0(SALU_CYCLE_1)
	s_cmp_lt_u32 s8, s3
	s_cbranch_scc0 .LBB236_17
.LBB236_3:                              ; =>This Loop Header: Depth=1
                                        ;     Child Loop BB236_5 Depth 2
	s_wait_dscnt 0x0
	v_mov_b64_e32 v[4:5], 0
	s_mov_b32 s7, exec_lo
	v_cmpx_gt_i32_e64 s18, v0
	s_cbranch_execz .LBB236_7
; %bb.4:                                ;   in Loop: Header=BB236_3 Depth=1
	s_mul_u64 s[20:21], s[14:15], s[8:9]
	v_ashrrev_i32_e32 v5, 31, v0
	s_add_nc_u64 s[20:21], s[10:11], s[20:21]
	s_mov_b32 s19, 0
	v_mad_nc_u64_u32 v[6:7], s12, v0, s[20:21]
	s_mov_b32 s20, 0
	s_delay_alu instid0(VALU_DEP_1) | instskip(NEXT) | instid1(VALU_DEP_1)
	v_mad_u32 v4, s13, v0, v7
	v_mad_u32 v7, s12, v5, v4
	v_mov_b64_e32 v[4:5], 0
.LBB236_5:                              ;   Parent Loop BB236_3 Depth=1
                                        ; =>  This Inner Loop Header: Depth=2
	global_load_b64 v[16:17], v[6:7], off
	v_add_nc_u32_e32 v0, s6, v0
	s_add_co_i32 s21, s20, 1
	s_cmp_gt_u32 s20, 30
	s_wait_xcnt 0x0
	v_add_nc_u64_e32 v[6:7], s[16:17], v[6:7]
	s_cselect_b32 s20, -1, 0
	v_cmp_le_i32_e64 s2, s18, v0
	s_or_b32 s2, s20, s2
	s_mov_b32 s20, s21
	s_and_b32 s2, exec_lo, s2
	s_delay_alu instid0(SALU_CYCLE_1)
	s_or_b32 s19, s2, s19
	s_wait_loadcnt 0x0
	v_fmac_f64_e32 v[4:5], v[16:17], v[16:17]
	s_and_not1_b32 exec_lo, exec_lo, s19
	s_cbranch_execnz .LBB236_5
; %bb.6:                                ;   in Loop: Header=BB236_3 Depth=1
	s_or_b32 exec_lo, exec_lo, s19
.LBB236_7:                              ;   in Loop: Header=BB236_3 Depth=1
	s_delay_alu instid0(SALU_CYCLE_1)
	s_or_b32 exec_lo, exec_lo, s7
	s_and_saveexec_b32 s2, vcc_lo
; %bb.8:                                ;   in Loop: Header=BB236_3 Depth=1
	ds_store_b64 v1, v[2:3]
; %bb.9:                                ;   in Loop: Header=BB236_3 Depth=1
	s_or_b32 exec_lo, exec_lo, s2
	ds_bpermute_b32 v6, v8, v4
	ds_bpermute_b32 v7, v8, v5
	s_wait_dscnt 0x0
	s_barrier_signal -1
	s_barrier_wait -1
	v_add_f64_e32 v[4:5], v[4:5], v[6:7]
	ds_bpermute_b32 v6, v9, v4
	ds_bpermute_b32 v7, v9, v5
	s_wait_dscnt 0x0
	v_add_f64_e32 v[4:5], v[4:5], v[6:7]
	ds_bpermute_b32 v6, v10, v4
	ds_bpermute_b32 v7, v10, v5
	s_wait_dscnt 0x0
	;; [unrolled: 4-line block ×3, first 2 shown]
	v_add_f64_e32 v[4:5], v[4:5], v[6:7]
	ds_bpermute_b32 v6, v12, v4
	ds_bpermute_b32 v7, v12, v5
	s_and_saveexec_b32 s2, s0
	s_cbranch_execz .LBB236_11
; %bb.10:                               ;   in Loop: Header=BB236_3 Depth=1
	s_wait_dscnt 0x0
	v_add_f64_e32 v[4:5], v[4:5], v[6:7]
	ds_store_b64 v13, v[4:5]
.LBB236_11:                             ;   in Loop: Header=BB236_3 Depth=1
	s_or_b32 exec_lo, exec_lo, s2
	v_mov_b64_e32 v[4:5], 0
	s_wait_dscnt 0x0
	s_barrier_signal -1
	s_barrier_wait -1
	s_and_saveexec_b32 s2, vcc_lo
	s_cbranch_execnz .LBB236_14
; %bb.12:                               ;   in Loop: Header=BB236_3 Depth=1
	s_or_b32 exec_lo, exec_lo, s2
	s_and_saveexec_b32 s2, vcc_lo
	s_cbranch_execnz .LBB236_15
.LBB236_13:                             ;   in Loop: Header=BB236_3 Depth=1
	s_or_b32 exec_lo, exec_lo, s2
	s_and_saveexec_b32 s2, s1
	s_cbranch_execz .LBB236_2
	s_branch .LBB236_16
.LBB236_14:                             ;   in Loop: Header=BB236_3 Depth=1
	ds_load_b64 v[4:5], v1
	s_or_b32 exec_lo, exec_lo, s2
	s_and_saveexec_b32 s2, vcc_lo
	s_cbranch_execz .LBB236_13
.LBB236_15:                             ;   in Loop: Header=BB236_3 Depth=1
	s_wait_dscnt 0x0
	ds_bpermute_b32 v6, v8, v4
	ds_bpermute_b32 v7, v8, v5
	s_wait_dscnt 0x0
	v_add_f64_e32 v[4:5], v[4:5], v[6:7]
	ds_bpermute_b32 v6, v9, v4
	ds_bpermute_b32 v7, v9, v5
	s_wait_dscnt 0x0
	v_add_f64_e32 v[4:5], v[4:5], v[6:7]
	;; [unrolled: 4-line block ×5, first 2 shown]
	s_or_b32 exec_lo, exec_lo, s2
	s_and_saveexec_b32 s2, s1
	s_cbranch_execz .LBB236_2
.LBB236_16:                             ;   in Loop: Header=BB236_3 Depth=1
	s_wait_dscnt 0x0
	s_delay_alu instid0(VALU_DEP_1) | instskip(SKIP_1) | instid1(SALU_CYCLE_1)
	v_cvt_f32_f64_e32 v4, v[4:5]
	s_lshl_b64 s[20:21], s[8:9], 2
	s_add_nc_u64 s[20:21], s[4:5], s[20:21]
	global_store_b32 v14, v4, s[20:21]
	s_branch .LBB236_2
.LBB236_17:
	s_endpgm
	.section	.rodata,"a",@progbits
	.p2align	6, 0x0
	.amdhsa_kernel _ZL24rocblas_dot_kernel_magsqIiLb1ELi1024ELi32ELb1EfPKddEviT5_lT_liPT6_PT4_
		.amdhsa_group_segment_fixed_size 256
		.amdhsa_private_segment_fixed_size 0
		.amdhsa_kernarg_size 320
		.amdhsa_user_sgpr_count 2
		.amdhsa_user_sgpr_dispatch_ptr 0
		.amdhsa_user_sgpr_queue_ptr 0
		.amdhsa_user_sgpr_kernarg_segment_ptr 1
		.amdhsa_user_sgpr_dispatch_id 0
		.amdhsa_user_sgpr_kernarg_preload_length 0
		.amdhsa_user_sgpr_kernarg_preload_offset 0
		.amdhsa_user_sgpr_private_segment_size 0
		.amdhsa_wavefront_size32 1
		.amdhsa_uses_dynamic_stack 0
		.amdhsa_enable_private_segment 0
		.amdhsa_system_sgpr_workgroup_id_x 1
		.amdhsa_system_sgpr_workgroup_id_y 0
		.amdhsa_system_sgpr_workgroup_id_z 1
		.amdhsa_system_sgpr_workgroup_info 0
		.amdhsa_system_vgpr_workitem_id 0
		.amdhsa_next_free_vgpr 18
		.amdhsa_next_free_sgpr 22
		.amdhsa_named_barrier_count 0
		.amdhsa_reserve_vcc 1
		.amdhsa_float_round_mode_32 0
		.amdhsa_float_round_mode_16_64 0
		.amdhsa_float_denorm_mode_32 3
		.amdhsa_float_denorm_mode_16_64 3
		.amdhsa_fp16_overflow 0
		.amdhsa_memory_ordered 1
		.amdhsa_forward_progress 1
		.amdhsa_inst_pref_size 8
		.amdhsa_round_robin_scheduling 0
		.amdhsa_exception_fp_ieee_invalid_op 0
		.amdhsa_exception_fp_denorm_src 0
		.amdhsa_exception_fp_ieee_div_zero 0
		.amdhsa_exception_fp_ieee_overflow 0
		.amdhsa_exception_fp_ieee_underflow 0
		.amdhsa_exception_fp_ieee_inexact 0
		.amdhsa_exception_int_div_zero 0
	.end_amdhsa_kernel
	.section	.text._ZL24rocblas_dot_kernel_magsqIiLb1ELi1024ELi32ELb1EfPKddEviT5_lT_liPT6_PT4_,"axG",@progbits,_ZL24rocblas_dot_kernel_magsqIiLb1ELi1024ELi32ELb1EfPKddEviT5_lT_liPT6_PT4_,comdat
.Lfunc_end236:
	.size	_ZL24rocblas_dot_kernel_magsqIiLb1ELi1024ELi32ELb1EfPKddEviT5_lT_liPT6_PT4_, .Lfunc_end236-_ZL24rocblas_dot_kernel_magsqIiLb1ELi1024ELi32ELb1EfPKddEviT5_lT_liPT6_PT4_
                                        ; -- End function
	.set _ZL24rocblas_dot_kernel_magsqIiLb1ELi1024ELi32ELb1EfPKddEviT5_lT_liPT6_PT4_.num_vgpr, 18
	.set _ZL24rocblas_dot_kernel_magsqIiLb1ELi1024ELi32ELb1EfPKddEviT5_lT_liPT6_PT4_.num_agpr, 0
	.set _ZL24rocblas_dot_kernel_magsqIiLb1ELi1024ELi32ELb1EfPKddEviT5_lT_liPT6_PT4_.numbered_sgpr, 22
	.set _ZL24rocblas_dot_kernel_magsqIiLb1ELi1024ELi32ELb1EfPKddEviT5_lT_liPT6_PT4_.num_named_barrier, 0
	.set _ZL24rocblas_dot_kernel_magsqIiLb1ELi1024ELi32ELb1EfPKddEviT5_lT_liPT6_PT4_.private_seg_size, 0
	.set _ZL24rocblas_dot_kernel_magsqIiLb1ELi1024ELi32ELb1EfPKddEviT5_lT_liPT6_PT4_.uses_vcc, 1
	.set _ZL24rocblas_dot_kernel_magsqIiLb1ELi1024ELi32ELb1EfPKddEviT5_lT_liPT6_PT4_.uses_flat_scratch, 0
	.set _ZL24rocblas_dot_kernel_magsqIiLb1ELi1024ELi32ELb1EfPKddEviT5_lT_liPT6_PT4_.has_dyn_sized_stack, 0
	.set _ZL24rocblas_dot_kernel_magsqIiLb1ELi1024ELi32ELb1EfPKddEviT5_lT_liPT6_PT4_.has_recursion, 0
	.set _ZL24rocblas_dot_kernel_magsqIiLb1ELi1024ELi32ELb1EfPKddEviT5_lT_liPT6_PT4_.has_indirect_call, 0
	.section	.AMDGPU.csdata,"",@progbits
; Kernel info:
; codeLenInByte = 936
; TotalNumSgprs: 24
; NumVgprs: 18
; ScratchSize: 0
; MemoryBound: 0
; FloatMode: 240
; IeeeMode: 1
; LDSByteSize: 256 bytes/workgroup (compile time only)
; SGPRBlocks: 0
; VGPRBlocks: 1
; NumSGPRsForWavesPerEU: 24
; NumVGPRsForWavesPerEU: 18
; NamedBarCnt: 0
; Occupancy: 16
; WaveLimiterHint : 0
; COMPUTE_PGM_RSRC2:SCRATCH_EN: 0
; COMPUTE_PGM_RSRC2:USER_SGPR: 2
; COMPUTE_PGM_RSRC2:TRAP_HANDLER: 0
; COMPUTE_PGM_RSRC2:TGID_X_EN: 1
; COMPUTE_PGM_RSRC2:TGID_Y_EN: 0
; COMPUTE_PGM_RSRC2:TGID_Z_EN: 1
; COMPUTE_PGM_RSRC2:TIDIG_COMP_CNT: 0
	.section	.text._ZL38rocblas_dot_kernel_gfx942_float_doubleIiLi1024EfPKddEviT2_lT_lS2_lS3_lPT3_PT1_,"axG",@progbits,_ZL38rocblas_dot_kernel_gfx942_float_doubleIiLi1024EfPKddEviT2_lT_lS2_lS3_lPT3_PT1_,comdat
	.globl	_ZL38rocblas_dot_kernel_gfx942_float_doubleIiLi1024EfPKddEviT2_lT_lS2_lS3_lPT3_PT1_ ; -- Begin function _ZL38rocblas_dot_kernel_gfx942_float_doubleIiLi1024EfPKddEviT2_lT_lS2_lS3_lPT3_PT1_
	.p2align	8
	.type	_ZL38rocblas_dot_kernel_gfx942_float_doubleIiLi1024EfPKddEviT2_lT_lS2_lS3_lPT3_PT1_,@function
_ZL38rocblas_dot_kernel_gfx942_float_doubleIiLi1024EfPKddEviT2_lT_lS2_lS3_lPT3_PT1_: ; @_ZL38rocblas_dot_kernel_gfx942_float_doubleIiLi1024EfPKddEviT2_lT_lS2_lS3_lPT3_PT1_
; %bb.0:
	s_endpgm
	.section	.rodata,"a",@progbits
	.p2align	6, 0x0
	.amdhsa_kernel _ZL38rocblas_dot_kernel_gfx942_float_doubleIiLi1024EfPKddEviT2_lT_lS2_lS3_lPT3_PT1_
		.amdhsa_group_segment_fixed_size 0
		.amdhsa_private_segment_fixed_size 0
		.amdhsa_kernarg_size 88
		.amdhsa_user_sgpr_count 2
		.amdhsa_user_sgpr_dispatch_ptr 0
		.amdhsa_user_sgpr_queue_ptr 0
		.amdhsa_user_sgpr_kernarg_segment_ptr 1
		.amdhsa_user_sgpr_dispatch_id 0
		.amdhsa_user_sgpr_kernarg_preload_length 0
		.amdhsa_user_sgpr_kernarg_preload_offset 0
		.amdhsa_user_sgpr_private_segment_size 0
		.amdhsa_wavefront_size32 1
		.amdhsa_uses_dynamic_stack 0
		.amdhsa_enable_private_segment 0
		.amdhsa_system_sgpr_workgroup_id_x 1
		.amdhsa_system_sgpr_workgroup_id_y 0
		.amdhsa_system_sgpr_workgroup_id_z 0
		.amdhsa_system_sgpr_workgroup_info 0
		.amdhsa_system_vgpr_workitem_id 0
		.amdhsa_next_free_vgpr 1
		.amdhsa_next_free_sgpr 1
		.amdhsa_named_barrier_count 0
		.amdhsa_reserve_vcc 0
		.amdhsa_float_round_mode_32 0
		.amdhsa_float_round_mode_16_64 0
		.amdhsa_float_denorm_mode_32 3
		.amdhsa_float_denorm_mode_16_64 3
		.amdhsa_fp16_overflow 0
		.amdhsa_memory_ordered 1
		.amdhsa_forward_progress 1
		.amdhsa_inst_pref_size 1
		.amdhsa_round_robin_scheduling 0
		.amdhsa_exception_fp_ieee_invalid_op 0
		.amdhsa_exception_fp_denorm_src 0
		.amdhsa_exception_fp_ieee_div_zero 0
		.amdhsa_exception_fp_ieee_overflow 0
		.amdhsa_exception_fp_ieee_underflow 0
		.amdhsa_exception_fp_ieee_inexact 0
		.amdhsa_exception_int_div_zero 0
	.end_amdhsa_kernel
	.section	.text._ZL38rocblas_dot_kernel_gfx942_float_doubleIiLi1024EfPKddEviT2_lT_lS2_lS3_lPT3_PT1_,"axG",@progbits,_ZL38rocblas_dot_kernel_gfx942_float_doubleIiLi1024EfPKddEviT2_lT_lS2_lS3_lPT3_PT1_,comdat
.Lfunc_end237:
	.size	_ZL38rocblas_dot_kernel_gfx942_float_doubleIiLi1024EfPKddEviT2_lT_lS2_lS3_lPT3_PT1_, .Lfunc_end237-_ZL38rocblas_dot_kernel_gfx942_float_doubleIiLi1024EfPKddEviT2_lT_lS2_lS3_lPT3_PT1_
                                        ; -- End function
	.set _ZL38rocblas_dot_kernel_gfx942_float_doubleIiLi1024EfPKddEviT2_lT_lS2_lS3_lPT3_PT1_.num_vgpr, 0
	.set _ZL38rocblas_dot_kernel_gfx942_float_doubleIiLi1024EfPKddEviT2_lT_lS2_lS3_lPT3_PT1_.num_agpr, 0
	.set _ZL38rocblas_dot_kernel_gfx942_float_doubleIiLi1024EfPKddEviT2_lT_lS2_lS3_lPT3_PT1_.numbered_sgpr, 0
	.set _ZL38rocblas_dot_kernel_gfx942_float_doubleIiLi1024EfPKddEviT2_lT_lS2_lS3_lPT3_PT1_.num_named_barrier, 0
	.set _ZL38rocblas_dot_kernel_gfx942_float_doubleIiLi1024EfPKddEviT2_lT_lS2_lS3_lPT3_PT1_.private_seg_size, 0
	.set _ZL38rocblas_dot_kernel_gfx942_float_doubleIiLi1024EfPKddEviT2_lT_lS2_lS3_lPT3_PT1_.uses_vcc, 0
	.set _ZL38rocblas_dot_kernel_gfx942_float_doubleIiLi1024EfPKddEviT2_lT_lS2_lS3_lPT3_PT1_.uses_flat_scratch, 0
	.set _ZL38rocblas_dot_kernel_gfx942_float_doubleIiLi1024EfPKddEviT2_lT_lS2_lS3_lPT3_PT1_.has_dyn_sized_stack, 0
	.set _ZL38rocblas_dot_kernel_gfx942_float_doubleIiLi1024EfPKddEviT2_lT_lS2_lS3_lPT3_PT1_.has_recursion, 0
	.set _ZL38rocblas_dot_kernel_gfx942_float_doubleIiLi1024EfPKddEviT2_lT_lS2_lS3_lPT3_PT1_.has_indirect_call, 0
	.section	.AMDGPU.csdata,"",@progbits
; Kernel info:
; codeLenInByte = 4
; TotalNumSgprs: 0
; NumVgprs: 0
; ScratchSize: 0
; MemoryBound: 0
; FloatMode: 240
; IeeeMode: 1
; LDSByteSize: 0 bytes/workgroup (compile time only)
; SGPRBlocks: 0
; VGPRBlocks: 0
; NumSGPRsForWavesPerEU: 1
; NumVGPRsForWavesPerEU: 1
; NamedBarCnt: 0
; Occupancy: 16
; WaveLimiterHint : 0
; COMPUTE_PGM_RSRC2:SCRATCH_EN: 0
; COMPUTE_PGM_RSRC2:USER_SGPR: 2
; COMPUTE_PGM_RSRC2:TRAP_HANDLER: 0
; COMPUTE_PGM_RSRC2:TGID_X_EN: 1
; COMPUTE_PGM_RSRC2:TGID_Y_EN: 0
; COMPUTE_PGM_RSRC2:TGID_Z_EN: 0
; COMPUTE_PGM_RSRC2:TIDIG_COMP_CNT: 0
	.section	.text._ZL30rocblas_reduction_kernel_part2ILi1024ELi4E25rocblas_finalize_identitydfEviPT2_PT3_,"axG",@progbits,_ZL30rocblas_reduction_kernel_part2ILi1024ELi4E25rocblas_finalize_identitydfEviPT2_PT3_,comdat
	.globl	_ZL30rocblas_reduction_kernel_part2ILi1024ELi4E25rocblas_finalize_identitydfEviPT2_PT3_ ; -- Begin function _ZL30rocblas_reduction_kernel_part2ILi1024ELi4E25rocblas_finalize_identitydfEviPT2_PT3_
	.p2align	8
	.type	_ZL30rocblas_reduction_kernel_part2ILi1024ELi4E25rocblas_finalize_identitydfEviPT2_PT3_,@function
_ZL30rocblas_reduction_kernel_part2ILi1024ELi4E25rocblas_finalize_identitydfEviPT2_PT3_: ; @_ZL30rocblas_reduction_kernel_part2ILi1024ELi4E25rocblas_finalize_identitydfEviPT2_PT3_
; %bb.0:
	s_clause 0x1
	s_load_b32 s6, s[0:1], 0x0
	s_load_b64 s[8:9], s[0:1], 0x8
	s_bfe_u32 s2, ttmp6, 0x4000c
	s_and_b32 s3, ttmp6, 15
	s_add_co_i32 s2, s2, 1
	s_getreg_b32 s4, hwreg(HW_REG_IB_STS2, 6, 4)
	s_mul_i32 s2, ttmp9, s2
	v_mov_b64_e32 v[2:3], 0
	s_add_co_i32 s3, s3, s2
	v_lshlrev_b32_e32 v1, 2, v0
	s_wait_kmcnt 0x0
	s_ashr_i32 s7, s6, 31
	s_cmp_eq_u32 s4, 0
	s_mov_b32 s4, exec_lo
	s_cselect_b32 s2, ttmp9, s3
	s_lshr_b32 s3, s7, 30
	s_delay_alu instid0(SALU_CYCLE_1) | instskip(NEXT) | instid1(SALU_CYCLE_1)
	s_add_co_i32 s3, s6, s3
	s_and_b32 s12, s3, -4
	s_mov_b32 s3, 0
	s_delay_alu instid0(SALU_CYCLE_1)
	s_mul_u64 s[10:11], s[6:7], s[2:3]
	v_cmpx_gt_i32_e64 s12, v1
	s_cbranch_execz .LBB238_4
; %bb.1:
	v_dual_mov_b32 v3, 0 :: v_dual_lshlrev_b32 v2, 5, v0
	s_lshl_b64 s[14:15], s[10:11], 3
	s_mov_b32 s5, s3
	s_add_nc_u64 s[14:15], s[8:9], s[14:15]
	s_delay_alu instid0(VALU_DEP_1) | instid1(SALU_CYCLE_1)
	v_add_nc_u64_e32 v[2:3], s[14:15], v[2:3]
	s_delay_alu instid0(VALU_DEP_1)
	v_add_nc_u64_e32 v[4:5], 16, v[2:3]
	v_mov_b64_e32 v[2:3], 0
.LBB238_2:                              ; =>This Inner Loop Header: Depth=1
	s_clause 0x1
	global_load_b128 v[6:9], v[4:5], off offset:-16
	global_load_b128 v[10:13], v[4:5], off
	v_add_nc_u32_e32 v1, 0x1000, v1
	s_wait_xcnt 0x0
	v_add_nc_u64_e32 v[4:5], 0x8000, v[4:5]
	s_delay_alu instid0(VALU_DEP_2) | instskip(SKIP_3) | instid1(VALU_DEP_1)
	v_cmp_le_i32_e32 vcc_lo, s12, v1
	s_or_b32 s5, vcc_lo, s5
	s_wait_loadcnt 0x1
	v_add_f64_e32 v[2:3], v[2:3], v[6:7]
	v_add_f64_e32 v[2:3], v[2:3], v[8:9]
	s_wait_loadcnt 0x0
	s_delay_alu instid0(VALU_DEP_1) | instskip(NEXT) | instid1(VALU_DEP_1)
	v_add_f64_e32 v[2:3], v[2:3], v[10:11]
	v_add_f64_e32 v[2:3], v[2:3], v[12:13]
	s_and_not1_b32 exec_lo, exec_lo, s5
	s_cbranch_execnz .LBB238_2
; %bb.3:
	s_or_b32 exec_lo, exec_lo, s5
.LBB238_4:
	s_delay_alu instid0(SALU_CYCLE_1) | instskip(SKIP_3) | instid1(SALU_CYCLE_1)
	s_or_b32 exec_lo, exec_lo, s4
	s_load_b64 s[4:5], s[0:1], 0x10
	s_wait_xcnt 0x0
	s_sub_co_i32 s0, s6, s12
	v_cmp_gt_u32_e32 vcc_lo, s0, v0
	s_and_saveexec_b32 s0, vcc_lo
	s_cbranch_execz .LBB238_6
; %bb.5:
	v_xad_u32 v1, v0, -1, s6
	s_lshl_b64 s[6:7], s[10:11], 3
	s_delay_alu instid0(SALU_CYCLE_1)
	s_add_nc_u64 s[6:7], s[8:9], s[6:7]
	global_load_b64 v[4:5], v1, s[6:7] scale_offset
	s_wait_loadcnt 0x0
	v_add_f64_e32 v[2:3], v[2:3], v[4:5]
.LBB238_6:
	s_or_b32 exec_lo, exec_lo, s0
	v_and_b32_e32 v11, 31, v0
	v_cmp_gt_u32_e32 vcc_lo, 32, v0
	s_delay_alu instid0(VALU_DEP_2)
	v_lshlrev_b32_e32 v1, 3, v11
	s_and_saveexec_b32 s0, vcc_lo
; %bb.7:
	v_mov_b64_e32 v[4:5], 0
	ds_store_b64 v1, v[4:5]
; %bb.8:
	s_or_b32 exec_lo, exec_lo, s0
	v_mbcnt_lo_u32_b32 v10, -1, 0
	s_mov_b32 s1, exec_lo
	s_wait_dscnt 0x0
	s_barrier_signal -1
	s_barrier_wait -1
	v_lshl_or_b32 v6, v10, 2, 64
	v_cmp_gt_u32_e64 s0, 24, v10
	ds_bpermute_b32 v4, v6, v2
	ds_bpermute_b32 v5, v6, v3
	s_wait_dscnt 0x0
	v_add_f64_e32 v[2:3], v[2:3], v[4:5]
	v_cndmask_b32_e64 v4, 0, 8, s0
	v_cmp_gt_u32_e64 s0, 28, v10
	s_delay_alu instid0(VALU_DEP_2)
	v_add_lshl_u32 v7, v4, v10, 2
	ds_bpermute_b32 v4, v7, v2
	ds_bpermute_b32 v5, v7, v3
	s_wait_dscnt 0x0
	v_add_f64_e32 v[2:3], v[2:3], v[4:5]
	v_cndmask_b32_e64 v4, 0, 4, s0
	v_cmp_gt_u32_e64 s0, 30, v10
	s_delay_alu instid0(VALU_DEP_2)
	v_add_lshl_u32 v8, v4, v10, 2
	ds_bpermute_b32 v4, v8, v2
	ds_bpermute_b32 v5, v8, v3
	s_wait_dscnt 0x0
	v_add_f64_e32 v[2:3], v[2:3], v[4:5]
	v_cndmask_b32_e64 v4, 0, 2, s0
	v_cmp_ne_u32_e64 s0, 31, v10
	s_delay_alu instid0(VALU_DEP_2)
	v_add_lshl_u32 v9, v4, v10, 2
	ds_bpermute_b32 v4, v9, v2
	ds_bpermute_b32 v5, v9, v3
	s_wait_dscnt 0x0
	v_add_f64_e32 v[2:3], v[2:3], v[4:5]
	v_add_co_ci_u32_e64 v4, null, 0, v10, s0
	s_delay_alu instid0(VALU_DEP_1)
	v_lshlrev_b32_e32 v10, 2, v4
	ds_bpermute_b32 v4, v10, v2
	ds_bpermute_b32 v5, v10, v3
	v_cmpx_eq_u32_e32 0, v11
	s_cbranch_execz .LBB238_10
; %bb.9:
	s_wait_dscnt 0x0
	v_add_f64_e32 v[2:3], v[2:3], v[4:5]
	v_lshrrev_b32_e32 v4, 2, v0
	s_delay_alu instid0(VALU_DEP_1)
	v_and_b32_e32 v4, 0xf8, v4
	ds_store_b64 v4, v[2:3]
.LBB238_10:
	s_or_b32 exec_lo, exec_lo, s1
	v_mov_b64_e32 v[2:3], 0
	s_wait_dscnt 0x0
	s_barrier_signal -1
	s_barrier_wait -1
	s_and_saveexec_b32 s0, vcc_lo
; %bb.11:
	ds_load_b64 v[2:3], v1
; %bb.12:
	s_or_b32 exec_lo, exec_lo, s0
	s_and_saveexec_b32 s0, vcc_lo
	s_cbranch_execz .LBB238_14
; %bb.13:
	s_wait_dscnt 0x0
	ds_bpermute_b32 v4, v6, v2
	ds_bpermute_b32 v5, v6, v3
	s_wait_dscnt 0x0
	v_add_f64_e32 v[2:3], v[2:3], v[4:5]
	ds_bpermute_b32 v4, v7, v2
	ds_bpermute_b32 v5, v7, v3
	s_wait_dscnt 0x0
	v_add_f64_e32 v[2:3], v[2:3], v[4:5]
	;; [unrolled: 4-line block ×5, first 2 shown]
.LBB238_14:
	s_or_b32 exec_lo, exec_lo, s0
	s_delay_alu instid0(SALU_CYCLE_1)
	s_mov_b32 s0, exec_lo
	v_cmpx_eq_u32_e32 0, v0
	s_cbranch_execz .LBB238_16
; %bb.15:
	s_wait_dscnt 0x0
	s_delay_alu instid0(VALU_DEP_2)
	v_cvt_f32_f64_e32 v0, v[2:3]
	v_mov_b32_e32 v1, 0
	s_lshl_b64 s[0:1], s[2:3], 2
	s_wait_kmcnt 0x0
	s_add_nc_u64 s[0:1], s[4:5], s[0:1]
	global_store_b32 v1, v0, s[0:1]
.LBB238_16:
	s_endpgm
	.section	.rodata,"a",@progbits
	.p2align	6, 0x0
	.amdhsa_kernel _ZL30rocblas_reduction_kernel_part2ILi1024ELi4E25rocblas_finalize_identitydfEviPT2_PT3_
		.amdhsa_group_segment_fixed_size 256
		.amdhsa_private_segment_fixed_size 0
		.amdhsa_kernarg_size 24
		.amdhsa_user_sgpr_count 2
		.amdhsa_user_sgpr_dispatch_ptr 0
		.amdhsa_user_sgpr_queue_ptr 0
		.amdhsa_user_sgpr_kernarg_segment_ptr 1
		.amdhsa_user_sgpr_dispatch_id 0
		.amdhsa_user_sgpr_kernarg_preload_length 0
		.amdhsa_user_sgpr_kernarg_preload_offset 0
		.amdhsa_user_sgpr_private_segment_size 0
		.amdhsa_wavefront_size32 1
		.amdhsa_uses_dynamic_stack 0
		.amdhsa_enable_private_segment 0
		.amdhsa_system_sgpr_workgroup_id_x 1
		.amdhsa_system_sgpr_workgroup_id_y 0
		.amdhsa_system_sgpr_workgroup_id_z 0
		.amdhsa_system_sgpr_workgroup_info 0
		.amdhsa_system_vgpr_workitem_id 0
		.amdhsa_next_free_vgpr 14
		.amdhsa_next_free_sgpr 16
		.amdhsa_named_barrier_count 0
		.amdhsa_reserve_vcc 1
		.amdhsa_float_round_mode_32 0
		.amdhsa_float_round_mode_16_64 0
		.amdhsa_float_denorm_mode_32 3
		.amdhsa_float_denorm_mode_16_64 3
		.amdhsa_fp16_overflow 0
		.amdhsa_memory_ordered 1
		.amdhsa_forward_progress 1
		.amdhsa_inst_pref_size 7
		.amdhsa_round_robin_scheduling 0
		.amdhsa_exception_fp_ieee_invalid_op 0
		.amdhsa_exception_fp_denorm_src 0
		.amdhsa_exception_fp_ieee_div_zero 0
		.amdhsa_exception_fp_ieee_overflow 0
		.amdhsa_exception_fp_ieee_underflow 0
		.amdhsa_exception_fp_ieee_inexact 0
		.amdhsa_exception_int_div_zero 0
	.end_amdhsa_kernel
	.section	.text._ZL30rocblas_reduction_kernel_part2ILi1024ELi4E25rocblas_finalize_identitydfEviPT2_PT3_,"axG",@progbits,_ZL30rocblas_reduction_kernel_part2ILi1024ELi4E25rocblas_finalize_identitydfEviPT2_PT3_,comdat
.Lfunc_end238:
	.size	_ZL30rocblas_reduction_kernel_part2ILi1024ELi4E25rocblas_finalize_identitydfEviPT2_PT3_, .Lfunc_end238-_ZL30rocblas_reduction_kernel_part2ILi1024ELi4E25rocblas_finalize_identitydfEviPT2_PT3_
                                        ; -- End function
	.set _ZL30rocblas_reduction_kernel_part2ILi1024ELi4E25rocblas_finalize_identitydfEviPT2_PT3_.num_vgpr, 14
	.set _ZL30rocblas_reduction_kernel_part2ILi1024ELi4E25rocblas_finalize_identitydfEviPT2_PT3_.num_agpr, 0
	.set _ZL30rocblas_reduction_kernel_part2ILi1024ELi4E25rocblas_finalize_identitydfEviPT2_PT3_.numbered_sgpr, 16
	.set _ZL30rocblas_reduction_kernel_part2ILi1024ELi4E25rocblas_finalize_identitydfEviPT2_PT3_.num_named_barrier, 0
	.set _ZL30rocblas_reduction_kernel_part2ILi1024ELi4E25rocblas_finalize_identitydfEviPT2_PT3_.private_seg_size, 0
	.set _ZL30rocblas_reduction_kernel_part2ILi1024ELi4E25rocblas_finalize_identitydfEviPT2_PT3_.uses_vcc, 1
	.set _ZL30rocblas_reduction_kernel_part2ILi1024ELi4E25rocblas_finalize_identitydfEviPT2_PT3_.uses_flat_scratch, 0
	.set _ZL30rocblas_reduction_kernel_part2ILi1024ELi4E25rocblas_finalize_identitydfEviPT2_PT3_.has_dyn_sized_stack, 0
	.set _ZL30rocblas_reduction_kernel_part2ILi1024ELi4E25rocblas_finalize_identitydfEviPT2_PT3_.has_recursion, 0
	.set _ZL30rocblas_reduction_kernel_part2ILi1024ELi4E25rocblas_finalize_identitydfEviPT2_PT3_.has_indirect_call, 0
	.section	.AMDGPU.csdata,"",@progbits
; Kernel info:
; codeLenInByte = 896
; TotalNumSgprs: 18
; NumVgprs: 14
; ScratchSize: 0
; MemoryBound: 0
; FloatMode: 240
; IeeeMode: 1
; LDSByteSize: 256 bytes/workgroup (compile time only)
; SGPRBlocks: 0
; VGPRBlocks: 0
; NumSGPRsForWavesPerEU: 18
; NumVGPRsForWavesPerEU: 14
; NamedBarCnt: 0
; Occupancy: 16
; WaveLimiterHint : 0
; COMPUTE_PGM_RSRC2:SCRATCH_EN: 0
; COMPUTE_PGM_RSRC2:USER_SGPR: 2
; COMPUTE_PGM_RSRC2:TRAP_HANDLER: 0
; COMPUTE_PGM_RSRC2:TGID_X_EN: 1
; COMPUTE_PGM_RSRC2:TGID_Y_EN: 0
; COMPUTE_PGM_RSRC2:TGID_Z_EN: 0
; COMPUTE_PGM_RSRC2:TIDIG_COMP_CNT: 0
	.section	.text._ZL23rocblas_dot_kernel_inc1ILb0ELi512ELi4ELb1EfPKddEviT4_llS2_lliPT5_PT3_,"axG",@progbits,_ZL23rocblas_dot_kernel_inc1ILb0ELi512ELi4ELb1EfPKddEviT4_llS2_lliPT5_PT3_,comdat
	.globl	_ZL23rocblas_dot_kernel_inc1ILb0ELi512ELi4ELb1EfPKddEviT4_llS2_lliPT5_PT3_ ; -- Begin function _ZL23rocblas_dot_kernel_inc1ILb0ELi512ELi4ELb1EfPKddEviT4_llS2_lliPT5_PT3_
	.p2align	8
	.type	_ZL23rocblas_dot_kernel_inc1ILb0ELi512ELi4ELb1EfPKddEviT4_llS2_lliPT5_PT3_,@function
_ZL23rocblas_dot_kernel_inc1ILb0ELi512ELi4ELb1EfPKddEviT4_llS2_lliPT5_PT3_: ; @_ZL23rocblas_dot_kernel_inc1ILb0ELi512ELi4ELb1EfPKddEviT4_llS2_lliPT5_PT3_
; %bb.0:
	s_load_b32 s28, s[0:1], 0x38
	s_bfe_u32 s2, ttmp6, 0x40014
	s_lshr_b32 s3, ttmp7, 16
	s_add_co_i32 s2, s2, 1
	s_bfe_u32 s5, ttmp6, 0x40008
	s_mul_i32 s4, s3, s2
	s_getreg_b32 s2, hwreg(HW_REG_IB_STS2, 6, 4)
	s_add_co_i32 s5, s5, s4
	s_cmp_eq_u32 s2, 0
	s_mov_b32 s17, 0
	s_cselect_b32 s16, s3, s5
	s_wait_kmcnt 0x0
	s_cmp_ge_u32 s16, s28
	s_cbranch_scc1 .LBB239_20
; %bb.1:
	v_mbcnt_lo_u32_b32 v3, -1, 0
	s_clause 0x6
	s_load_b32 s18, s[0:1], 0x50
	s_load_b64 s[22:23], s[0:1], 0x8
	s_load_b32 s29, s[0:1], 0x0
	s_load_b64 s[24:25], s[0:1], 0x20
	s_load_b128 s[8:11], s[0:1], 0x10
	s_load_b128 s[4:7], s[0:1], 0x40
	;; [unrolled: 1-line block ×3, first 2 shown]
	s_wait_xcnt 0x0
	s_bfe_u32 s0, ttmp6, 0x4000c
	s_and_b32 s1, ttmp6, 15
	s_add_co_i32 s3, s0, 1
	v_cmp_gt_u32_e32 vcc_lo, 24, v3
	s_mul_i32 s3, ttmp9, s3
	v_and_b32_e32 v1, 31, v0
	s_add_co_i32 s1, s1, s3
	s_cmp_eq_u32 s2, 0
	v_cndmask_b32_e64 v4, 0, 8, vcc_lo
	v_cmp_gt_u32_e32 vcc_lo, 28, v3
	s_cselect_b32 s26, ttmp9, s1
	v_cmp_gt_u32_e64 s0, 32, v0
	v_lshl_or_b32 v2, s26, 9, v0
	v_add_lshl_u32 v10, v4, v3, 2
	v_cndmask_b32_e64 v5, 0, 4, vcc_lo
	v_cmp_gt_u32_e32 vcc_lo, 30, v3
	v_lshrrev_b32_e32 v4, 2, v0
	s_wait_kmcnt 0x0
	s_cmp_lg_u32 s18, 1
	v_cmp_eq_u32_e64 s1, 0, v1
	v_cmp_gt_u32_e64 s2, 16, v0
	v_cndmask_b32_e64 v6, 0, 2, vcc_lo
	v_cmp_ne_u32_e32 vcc_lo, 31, v3
	v_cmp_eq_u32_e64 s3, 0, v0
	s_cselect_b32 s30, -1, 0
	s_lshl_b32 s20, s18, 9
	s_mov_b32 s27, s17
	v_add_co_ci_u32_e64 v7, null, 0, v3, vcc_lo
	v_lshlrev_b32_e32 v8, 3, v1
	v_mov_b64_e32 v[0:1], 0
	s_lshl_b64 s[12:13], s[12:13], 3
	v_lshl_or_b32 v9, v3, 2, 64
	v_add_lshl_u32 v11, v5, v3, 2
	v_add_lshl_u32 v12, v6, v3, 2
	v_lshlrev_b32_e32 v13, 2, v7
	v_and_b32_e32 v14, 0x78, v4
	v_mov_b32_e32 v15, 0
	s_lshl_b64 s[26:27], s[26:27], 3
	s_add_nc_u64 s[12:13], s[24:25], s[12:13]
	s_ashr_i32 s21, s20, 31
	s_lshl_b64 s[24:25], s[8:9], 3
	s_mov_b32 s19, s17
	s_add_nc_u64 s[4:5], s[4:5], s[26:27]
	s_lshl_b64 s[14:15], s[14:15], 3
	s_lshl_b64 s[8:9], s[20:21], 3
	s_add_nc_u64 s[22:23], s[22:23], s[24:25]
	s_lshl_b64 s[10:11], s[10:11], 3
	s_branch .LBB239_3
.LBB239_2:                              ;   in Loop: Header=BB239_3 Depth=1
	s_wait_xcnt 0x0
	s_or_b32 exec_lo, exec_lo, s21
	s_add_co_i32 s16, s16, 0x10000
	s_delay_alu instid0(SALU_CYCLE_1)
	s_cmp_lt_u32 s16, s28
	s_cbranch_scc0 .LBB239_20
.LBB239_3:                              ; =>This Loop Header: Depth=1
                                        ;     Child Loop BB239_5 Depth 2
	s_wait_dscnt 0x0
	v_mov_b64_e32 v[4:5], 0
	s_mov_b32 s21, exec_lo
	v_cmpx_gt_i32_e64 s29, v2
	s_cbranch_execz .LBB239_7
; %bb.4:                                ;   in Loop: Header=BB239_3 Depth=1
	v_ashrrev_i32_e32 v3, 31, v2
	v_mov_b64_e32 v[4:5], 0
	s_mul_u64 s[24:25], s[14:15], s[16:17]
	s_mul_u64 s[26:27], s[10:11], s[16:17]
	s_add_nc_u64 s[24:25], s[12:13], s[24:25]
	v_lshlrev_b64_e32 v[6:7], 3, v[2:3]
	s_add_nc_u64 s[26:27], s[22:23], s[26:27]
	s_mov_b32 s31, 0
	s_mov_b32 s33, 0
.LBB239_5:                              ;   Parent Loop BB239_3 Depth=1
                                        ; =>  This Inner Loop Header: Depth=2
	s_delay_alu instid0(VALU_DEP_1)
	v_add_nc_u64_e32 v[16:17], s[24:25], v[6:7]
	v_add_nc_u64_e32 v[18:19], s[26:27], v[6:7]
	v_add_nc_u32_e32 v2, s20, v2
	s_add_co_i32 s34, s33, 1
	s_cmp_gt_u32 s33, 2
	v_add_nc_u64_e32 v[6:7], s[8:9], v[6:7]
	s_cselect_b32 s33, -1, 0
	global_load_b64 v[20:21], v[16:17], off
	global_load_b64 v[22:23], v[18:19], off
	v_cmp_le_i32_e32 vcc_lo, s29, v2
	s_or_b32 s33, s33, vcc_lo
	s_delay_alu instid0(SALU_CYCLE_1) | instskip(NEXT) | instid1(SALU_CYCLE_1)
	s_and_b32 s33, exec_lo, s33
	s_or_b32 s31, s33, s31
	s_mov_b32 s33, s34
	s_wait_loadcnt 0x0
	v_fmac_f64_e32 v[4:5], v[20:21], v[22:23]
	s_wait_xcnt 0x0
	s_and_not1_b32 exec_lo, exec_lo, s31
	s_cbranch_execnz .LBB239_5
; %bb.6:                                ;   in Loop: Header=BB239_3 Depth=1
	s_or_b32 exec_lo, exec_lo, s31
.LBB239_7:                              ;   in Loop: Header=BB239_3 Depth=1
	s_delay_alu instid0(SALU_CYCLE_1)
	s_or_b32 exec_lo, exec_lo, s21
	s_and_saveexec_b32 s21, s0
; %bb.8:                                ;   in Loop: Header=BB239_3 Depth=1
	ds_store_b64 v8, v[0:1]
; %bb.9:                                ;   in Loop: Header=BB239_3 Depth=1
	s_or_b32 exec_lo, exec_lo, s21
	ds_bpermute_b32 v6, v9, v4
	ds_bpermute_b32 v7, v9, v5
	s_wait_dscnt 0x0
	s_barrier_signal -1
	s_barrier_wait -1
	v_add_f64_e32 v[4:5], v[4:5], v[6:7]
	ds_bpermute_b32 v6, v10, v4
	ds_bpermute_b32 v7, v10, v5
	s_wait_dscnt 0x0
	v_add_f64_e32 v[4:5], v[4:5], v[6:7]
	ds_bpermute_b32 v6, v11, v4
	ds_bpermute_b32 v7, v11, v5
	s_wait_dscnt 0x0
	;; [unrolled: 4-line block ×3, first 2 shown]
	v_add_f64_e32 v[4:5], v[4:5], v[6:7]
	ds_bpermute_b32 v6, v13, v4
	ds_bpermute_b32 v7, v13, v5
	s_and_saveexec_b32 s21, s1
	s_cbranch_execz .LBB239_11
; %bb.10:                               ;   in Loop: Header=BB239_3 Depth=1
	s_wait_dscnt 0x0
	v_add_f64_e32 v[4:5], v[4:5], v[6:7]
	ds_store_b64 v14, v[4:5]
.LBB239_11:                             ;   in Loop: Header=BB239_3 Depth=1
	s_or_b32 exec_lo, exec_lo, s21
	v_mov_b64_e32 v[4:5], 0
	s_wait_dscnt 0x0
	s_barrier_signal -1
	s_barrier_wait -1
	s_and_saveexec_b32 s21, s2
	s_cbranch_execnz .LBB239_14
; %bb.12:                               ;   in Loop: Header=BB239_3 Depth=1
	s_or_b32 exec_lo, exec_lo, s21
	s_and_saveexec_b32 s21, s0
	s_cbranch_execnz .LBB239_15
.LBB239_13:                             ;   in Loop: Header=BB239_3 Depth=1
	s_or_b32 exec_lo, exec_lo, s21
	s_and_saveexec_b32 s21, s3
	s_cbranch_execz .LBB239_2
	s_branch .LBB239_16
.LBB239_14:                             ;   in Loop: Header=BB239_3 Depth=1
	ds_load_b64 v[4:5], v8
	s_or_b32 exec_lo, exec_lo, s21
	s_and_saveexec_b32 s21, s0
	s_cbranch_execz .LBB239_13
.LBB239_15:                             ;   in Loop: Header=BB239_3 Depth=1
	s_wait_dscnt 0x0
	ds_bpermute_b32 v6, v10, v4
	ds_bpermute_b32 v7, v10, v5
	s_wait_dscnt 0x0
	v_add_f64_e32 v[4:5], v[4:5], v[6:7]
	ds_bpermute_b32 v6, v11, v4
	ds_bpermute_b32 v7, v11, v5
	s_wait_dscnt 0x0
	v_add_f64_e32 v[4:5], v[4:5], v[6:7]
	;; [unrolled: 4-line block ×4, first 2 shown]
	s_or_b32 exec_lo, exec_lo, s21
	s_and_saveexec_b32 s21, s3
	s_cbranch_execz .LBB239_2
.LBB239_16:                             ;   in Loop: Header=BB239_3 Depth=1
	s_and_b32 vcc_lo, exec_lo, s30
	s_mov_b32 s24, -1
	s_cbranch_vccz .LBB239_18
; %bb.17:                               ;   in Loop: Header=BB239_3 Depth=1
	s_mul_u64 s[24:25], s[18:19], s[16:17]
	s_delay_alu instid0(SALU_CYCLE_1) | instskip(NEXT) | instid1(SALU_CYCLE_1)
	s_lshl_b64 s[24:25], s[24:25], 3
	s_add_nc_u64 s[26:27], s[4:5], s[24:25]
	s_mov_b32 s24, 0
	s_wait_dscnt 0x0
	global_store_b64 v15, v[4:5], s[26:27]
.LBB239_18:                             ;   in Loop: Header=BB239_3 Depth=1
	s_and_not1_b32 vcc_lo, exec_lo, s24
	s_cbranch_vccnz .LBB239_2
; %bb.19:                               ;   in Loop: Header=BB239_3 Depth=1
	s_wait_dscnt 0x0
	s_delay_alu instid0(VALU_DEP_1) | instskip(SKIP_1) | instid1(SALU_CYCLE_1)
	v_cvt_f32_f64_e32 v3, v[4:5]
	s_lshl_b64 s[24:25], s[16:17], 2
	s_add_nc_u64 s[24:25], s[6:7], s[24:25]
	global_store_b32 v15, v3, s[24:25]
	s_branch .LBB239_2
.LBB239_20:
	s_endpgm
	.section	.rodata,"a",@progbits
	.p2align	6, 0x0
	.amdhsa_kernel _ZL23rocblas_dot_kernel_inc1ILb0ELi512ELi4ELb1EfPKddEviT4_llS2_lliPT5_PT3_
		.amdhsa_group_segment_fixed_size 256
		.amdhsa_private_segment_fixed_size 0
		.amdhsa_kernarg_size 336
		.amdhsa_user_sgpr_count 2
		.amdhsa_user_sgpr_dispatch_ptr 0
		.amdhsa_user_sgpr_queue_ptr 0
		.amdhsa_user_sgpr_kernarg_segment_ptr 1
		.amdhsa_user_sgpr_dispatch_id 0
		.amdhsa_user_sgpr_kernarg_preload_length 0
		.amdhsa_user_sgpr_kernarg_preload_offset 0
		.amdhsa_user_sgpr_private_segment_size 0
		.amdhsa_wavefront_size32 1
		.amdhsa_uses_dynamic_stack 0
		.amdhsa_enable_private_segment 0
		.amdhsa_system_sgpr_workgroup_id_x 1
		.amdhsa_system_sgpr_workgroup_id_y 0
		.amdhsa_system_sgpr_workgroup_id_z 1
		.amdhsa_system_sgpr_workgroup_info 0
		.amdhsa_system_vgpr_workitem_id 0
		.amdhsa_next_free_vgpr 24
		.amdhsa_next_free_sgpr 35
		.amdhsa_named_barrier_count 0
		.amdhsa_reserve_vcc 1
		.amdhsa_float_round_mode_32 0
		.amdhsa_float_round_mode_16_64 0
		.amdhsa_float_denorm_mode_32 3
		.amdhsa_float_denorm_mode_16_64 3
		.amdhsa_fp16_overflow 0
		.amdhsa_memory_ordered 1
		.amdhsa_forward_progress 1
		.amdhsa_inst_pref_size 9
		.amdhsa_round_robin_scheduling 0
		.amdhsa_exception_fp_ieee_invalid_op 0
		.amdhsa_exception_fp_denorm_src 0
		.amdhsa_exception_fp_ieee_div_zero 0
		.amdhsa_exception_fp_ieee_overflow 0
		.amdhsa_exception_fp_ieee_underflow 0
		.amdhsa_exception_fp_ieee_inexact 0
		.amdhsa_exception_int_div_zero 0
	.end_amdhsa_kernel
	.section	.text._ZL23rocblas_dot_kernel_inc1ILb0ELi512ELi4ELb1EfPKddEviT4_llS2_lliPT5_PT3_,"axG",@progbits,_ZL23rocblas_dot_kernel_inc1ILb0ELi512ELi4ELb1EfPKddEviT4_llS2_lliPT5_PT3_,comdat
.Lfunc_end239:
	.size	_ZL23rocblas_dot_kernel_inc1ILb0ELi512ELi4ELb1EfPKddEviT4_llS2_lliPT5_PT3_, .Lfunc_end239-_ZL23rocblas_dot_kernel_inc1ILb0ELi512ELi4ELb1EfPKddEviT4_llS2_lliPT5_PT3_
                                        ; -- End function
	.set _ZL23rocblas_dot_kernel_inc1ILb0ELi512ELi4ELb1EfPKddEviT4_llS2_lliPT5_PT3_.num_vgpr, 24
	.set _ZL23rocblas_dot_kernel_inc1ILb0ELi512ELi4ELb1EfPKddEviT4_llS2_lliPT5_PT3_.num_agpr, 0
	.set _ZL23rocblas_dot_kernel_inc1ILb0ELi512ELi4ELb1EfPKddEviT4_llS2_lliPT5_PT3_.numbered_sgpr, 35
	.set _ZL23rocblas_dot_kernel_inc1ILb0ELi512ELi4ELb1EfPKddEviT4_llS2_lliPT5_PT3_.num_named_barrier, 0
	.set _ZL23rocblas_dot_kernel_inc1ILb0ELi512ELi4ELb1EfPKddEviT4_llS2_lliPT5_PT3_.private_seg_size, 0
	.set _ZL23rocblas_dot_kernel_inc1ILb0ELi512ELi4ELb1EfPKddEviT4_llS2_lliPT5_PT3_.uses_vcc, 1
	.set _ZL23rocblas_dot_kernel_inc1ILb0ELi512ELi4ELb1EfPKddEviT4_llS2_lliPT5_PT3_.uses_flat_scratch, 0
	.set _ZL23rocblas_dot_kernel_inc1ILb0ELi512ELi4ELb1EfPKddEviT4_llS2_lliPT5_PT3_.has_dyn_sized_stack, 0
	.set _ZL23rocblas_dot_kernel_inc1ILb0ELi512ELi4ELb1EfPKddEviT4_llS2_lliPT5_PT3_.has_recursion, 0
	.set _ZL23rocblas_dot_kernel_inc1ILb0ELi512ELi4ELb1EfPKddEviT4_llS2_lliPT5_PT3_.has_indirect_call, 0
	.section	.AMDGPU.csdata,"",@progbits
; Kernel info:
; codeLenInByte = 1036
; TotalNumSgprs: 37
; NumVgprs: 24
; ScratchSize: 0
; MemoryBound: 0
; FloatMode: 240
; IeeeMode: 1
; LDSByteSize: 256 bytes/workgroup (compile time only)
; SGPRBlocks: 0
; VGPRBlocks: 1
; NumSGPRsForWavesPerEU: 37
; NumVGPRsForWavesPerEU: 24
; NamedBarCnt: 0
; Occupancy: 16
; WaveLimiterHint : 0
; COMPUTE_PGM_RSRC2:SCRATCH_EN: 0
; COMPUTE_PGM_RSRC2:USER_SGPR: 2
; COMPUTE_PGM_RSRC2:TRAP_HANDLER: 0
; COMPUTE_PGM_RSRC2:TGID_X_EN: 1
; COMPUTE_PGM_RSRC2:TGID_Y_EN: 0
; COMPUTE_PGM_RSRC2:TGID_Z_EN: 1
; COMPUTE_PGM_RSRC2:TIDIG_COMP_CNT: 0
	.section	.text._ZL18rocblas_dot_kernelIiLb0ELi512ELi4ELb1EfPKddEviT5_lT_lS2_lS3_liPT6_PT4_,"axG",@progbits,_ZL18rocblas_dot_kernelIiLb0ELi512ELi4ELb1EfPKddEviT5_lT_lS2_lS3_liPT6_PT4_,comdat
	.globl	_ZL18rocblas_dot_kernelIiLb0ELi512ELi4ELb1EfPKddEviT5_lT_lS2_lS3_liPT6_PT4_ ; -- Begin function _ZL18rocblas_dot_kernelIiLb0ELi512ELi4ELb1EfPKddEviT5_lT_lS2_lS3_liPT6_PT4_
	.p2align	8
	.type	_ZL18rocblas_dot_kernelIiLb0ELi512ELi4ELb1EfPKddEviT5_lT_lS2_lS3_liPT6_PT4_,@function
_ZL18rocblas_dot_kernelIiLb0ELi512ELi4ELb1EfPKddEviT5_lT_lS2_lS3_liPT6_PT4_: ; @_ZL18rocblas_dot_kernelIiLb0ELi512ELi4ELb1EfPKddEviT5_lT_lS2_lS3_liPT6_PT4_
; %bb.0:
	s_load_b32 s30, s[0:1], 0x48
	s_bfe_u32 s2, ttmp6, 0x40014
	s_lshr_b32 s3, ttmp7, 16
	s_add_co_i32 s2, s2, 1
	s_bfe_u32 s5, ttmp6, 0x40008
	s_mul_i32 s4, s3, s2
	s_getreg_b32 s2, hwreg(HW_REG_IB_STS2, 6, 4)
	s_add_co_i32 s5, s5, s4
	s_cmp_eq_u32 s2, 0
	s_mov_b32 s21, 0
	s_cselect_b32 s20, s3, s5
	s_wait_kmcnt 0x0
	s_cmp_ge_u32 s20, s30
	s_cbranch_scc1 .LBB240_20
; %bb.1:
	v_mbcnt_lo_u32_b32 v2, -1, 0
	s_clause 0x7
	s_load_b32 s24, s[0:1], 0x18
	s_load_b96 s[16:18], s[0:1], 0x30
	s_load_b32 s22, s[0:1], 0x60
	s_load_b128 s[8:11], s[0:1], 0x20
	s_load_b128 s[12:15], s[0:1], 0x8
	s_load_b32 s31, s[0:1], 0x0
	s_load_b128 s[4:7], s[0:1], 0x50
	s_load_b64 s[26:27], s[0:1], 0x40
	s_wait_xcnt 0x0
	s_bfe_u32 s0, ttmp6, 0x4000c
	s_and_b32 s1, ttmp6, 15
	s_add_co_i32 s3, s0, 1
	v_cmp_gt_u32_e32 vcc_lo, 24, v2
	s_mul_i32 s3, ttmp9, s3
	v_and_b32_e32 v1, 31, v0
	s_add_co_i32 s1, s1, s3
	s_mov_b32 s35, s21
	v_cndmask_b32_e64 v3, 0, 8, vcc_lo
	v_cmp_gt_u32_e32 vcc_lo, 28, v2
	v_cmp_gt_u32_e64 s0, 32, v0
	v_cmp_eq_u32_e64 s3, 0, v0
	s_wait_kmcnt 0x0
	s_ashr_i32 s25, s24, 31
	s_ashr_i32 s29, s18, 31
	v_cndmask_b32_e64 v4, 0, 4, vcc_lo
	v_cmp_gt_u32_e32 vcc_lo, 30, v2
	s_cmp_eq_u32 s2, 0
	s_mov_b32 s28, s18
	s_cselect_b32 s34, ttmp9, s1
	s_cmp_lg_u32 s22, 1
	v_cndmask_b32_e64 v5, 0, 2, vcc_lo
	v_cmp_ne_u32_e32 vcc_lo, 31, v2
	s_cselect_b32 s33, -1, 0
	s_lshl_b32 s18, s22, 9
	v_add_lshl_u32 v11, v3, v2, 2
	v_lshrrev_b32_e32 v3, 2, v0
	v_add_co_ci_u32_e64 v6, null, 0, v2, vcc_lo
	s_lshl_b64 s[14:15], s[14:15], 3
	s_ashr_i32 s19, s18, 31
	v_lshl_or_b32 v8, s34, 9, v0
	v_dual_lshlrev_b32 v9, 3, v1 :: v_dual_lshlrev_b32 v14, 2, v6
	v_cmp_eq_u32_e64 s1, 0, v1
	v_cmp_gt_u32_e64 s2, 16, v0
	v_mov_b64_e32 v[0:1], 0
	s_lshl_b64 s[34:35], s[34:35], 3
	s_add_nc_u64 s[12:13], s[12:13], s[14:15]
	s_lshl_b64 s[14:15], s[24:25], 3
	s_mul_u64 s[24:25], s[24:25], s[18:19]
	v_lshl_or_b32 v10, v2, 2, 64
	v_add_lshl_u32 v12, v4, v2, 2
	v_add_lshl_u32 v13, v5, v2, 2
	v_and_b32_e32 v15, 0x78, v3
	v_mov_b32_e32 v16, 0
	s_add_nc_u64 s[4:5], s[4:5], s[34:35]
	s_lshl_b64 s[34:35], s[16:17], 3
	s_lshl_b64 s[16:17], s[24:25], 3
	s_lshl_b64 s[24:25], s[28:29], 3
	s_mul_u64 s[28:29], s[28:29], s[18:19]
	s_mov_b32 s23, s21
	s_lshl_b64 s[8:9], s[8:9], 3
	s_add_nc_u64 s[10:11], s[10:11], s[34:35]
	s_lshl_b64 s[26:27], s[26:27], 3
	s_lshl_b64 s[28:29], s[28:29], 3
	s_branch .LBB240_3
.LBB240_2:                              ;   in Loop: Header=BB240_3 Depth=1
	s_wait_xcnt 0x0
	s_or_b32 exec_lo, exec_lo, s19
	s_add_co_i32 s20, s20, 0x10000
	s_delay_alu instid0(SALU_CYCLE_1)
	s_cmp_lt_u32 s20, s30
	s_cbranch_scc0 .LBB240_20
.LBB240_3:                              ; =>This Loop Header: Depth=1
                                        ;     Child Loop BB240_5 Depth 2
	s_wait_dscnt 0x0
	v_mov_b64_e32 v[2:3], 0
	s_mov_b32 s19, exec_lo
	v_cmpx_gt_i32_e64 s31, v8
	s_cbranch_execz .LBB240_7
; %bb.4:                                ;   in Loop: Header=BB240_3 Depth=1
	s_mul_u64 s[34:35], s[8:9], s[20:21]
	s_mul_u64 s[36:37], s[26:27], s[20:21]
	s_add_nc_u64 s[34:35], s[12:13], s[34:35]
	s_add_nc_u64 s[36:37], s[10:11], s[36:37]
	v_mad_nc_u64_u32 v[4:5], s14, v8, s[34:35]
	v_mad_nc_u64_u32 v[6:7], s24, v8, s[36:37]
	s_mov_b32 s34, 0
	s_mov_b32 s35, 0
	s_delay_alu instid0(VALU_DEP_2) | instskip(NEXT) | instid1(VALU_DEP_2)
	v_mad_u32 v2, s15, v8, v5
	v_mad_u32 v3, s25, v8, v7
	v_ashrrev_i32_e32 v7, 31, v8
	s_delay_alu instid0(VALU_DEP_1) | instskip(NEXT) | instid1(VALU_DEP_3)
	v_mad_u32 v5, s14, v7, v2
	v_mad_u32 v7, s24, v7, v3
	v_mov_b64_e32 v[2:3], 0
.LBB240_5:                              ;   Parent Loop BB240_3 Depth=1
                                        ; =>  This Inner Loop Header: Depth=2
	global_load_b64 v[18:19], v[6:7], off
	global_load_b64 v[20:21], v[4:5], off
	v_add_nc_u32_e32 v8, s18, v8
	s_add_co_i32 s36, s35, 1
	s_cmp_gt_u32 s35, 2
	s_wait_xcnt 0x0
	v_add_nc_u64_e32 v[4:5], s[16:17], v[4:5]
	s_cselect_b32 s35, -1, 0
	v_cmp_le_i32_e32 vcc_lo, s31, v8
	v_add_nc_u64_e32 v[6:7], s[28:29], v[6:7]
	s_or_b32 s35, s35, vcc_lo
	s_delay_alu instid0(SALU_CYCLE_1) | instskip(NEXT) | instid1(SALU_CYCLE_1)
	s_and_b32 s35, exec_lo, s35
	s_or_b32 s34, s35, s34
	s_mov_b32 s35, s36
	s_wait_loadcnt 0x0
	v_fmac_f64_e32 v[2:3], v[18:19], v[20:21]
	s_and_not1_b32 exec_lo, exec_lo, s34
	s_cbranch_execnz .LBB240_5
; %bb.6:                                ;   in Loop: Header=BB240_3 Depth=1
	s_or_b32 exec_lo, exec_lo, s34
.LBB240_7:                              ;   in Loop: Header=BB240_3 Depth=1
	s_delay_alu instid0(SALU_CYCLE_1)
	s_or_b32 exec_lo, exec_lo, s19
	s_and_saveexec_b32 s19, s0
; %bb.8:                                ;   in Loop: Header=BB240_3 Depth=1
	ds_store_b64 v9, v[0:1]
; %bb.9:                                ;   in Loop: Header=BB240_3 Depth=1
	s_or_b32 exec_lo, exec_lo, s19
	ds_bpermute_b32 v4, v10, v2
	ds_bpermute_b32 v5, v10, v3
	s_wait_dscnt 0x0
	s_barrier_signal -1
	s_barrier_wait -1
	v_add_f64_e32 v[2:3], v[2:3], v[4:5]
	ds_bpermute_b32 v4, v11, v2
	ds_bpermute_b32 v5, v11, v3
	s_wait_dscnt 0x0
	v_add_f64_e32 v[2:3], v[2:3], v[4:5]
	ds_bpermute_b32 v4, v12, v2
	ds_bpermute_b32 v5, v12, v3
	s_wait_dscnt 0x0
	;; [unrolled: 4-line block ×3, first 2 shown]
	v_add_f64_e32 v[2:3], v[2:3], v[4:5]
	ds_bpermute_b32 v4, v14, v2
	ds_bpermute_b32 v5, v14, v3
	s_and_saveexec_b32 s19, s1
	s_cbranch_execz .LBB240_11
; %bb.10:                               ;   in Loop: Header=BB240_3 Depth=1
	s_wait_dscnt 0x0
	v_add_f64_e32 v[2:3], v[2:3], v[4:5]
	ds_store_b64 v15, v[2:3]
.LBB240_11:                             ;   in Loop: Header=BB240_3 Depth=1
	s_or_b32 exec_lo, exec_lo, s19
	v_mov_b64_e32 v[2:3], 0
	s_wait_dscnt 0x0
	s_barrier_signal -1
	s_barrier_wait -1
	s_and_saveexec_b32 s19, s2
	s_cbranch_execnz .LBB240_14
; %bb.12:                               ;   in Loop: Header=BB240_3 Depth=1
	s_or_b32 exec_lo, exec_lo, s19
	s_and_saveexec_b32 s19, s0
	s_cbranch_execnz .LBB240_15
.LBB240_13:                             ;   in Loop: Header=BB240_3 Depth=1
	s_or_b32 exec_lo, exec_lo, s19
	s_and_saveexec_b32 s19, s3
	s_cbranch_execz .LBB240_2
	s_branch .LBB240_16
.LBB240_14:                             ;   in Loop: Header=BB240_3 Depth=1
	ds_load_b64 v[2:3], v9
	s_or_b32 exec_lo, exec_lo, s19
	s_and_saveexec_b32 s19, s0
	s_cbranch_execz .LBB240_13
.LBB240_15:                             ;   in Loop: Header=BB240_3 Depth=1
	s_wait_dscnt 0x0
	ds_bpermute_b32 v4, v11, v2
	ds_bpermute_b32 v5, v11, v3
	s_wait_dscnt 0x0
	v_add_f64_e32 v[2:3], v[2:3], v[4:5]
	ds_bpermute_b32 v4, v12, v2
	ds_bpermute_b32 v5, v12, v3
	s_wait_dscnt 0x0
	v_add_f64_e32 v[2:3], v[2:3], v[4:5]
	;; [unrolled: 4-line block ×4, first 2 shown]
	s_or_b32 exec_lo, exec_lo, s19
	s_and_saveexec_b32 s19, s3
	s_cbranch_execz .LBB240_2
.LBB240_16:                             ;   in Loop: Header=BB240_3 Depth=1
	s_and_b32 vcc_lo, exec_lo, s33
	s_mov_b32 s34, -1
	s_cbranch_vccz .LBB240_18
; %bb.17:                               ;   in Loop: Header=BB240_3 Depth=1
	s_mul_u64 s[34:35], s[22:23], s[20:21]
	s_delay_alu instid0(SALU_CYCLE_1) | instskip(NEXT) | instid1(SALU_CYCLE_1)
	s_lshl_b64 s[34:35], s[34:35], 3
	s_add_nc_u64 s[36:37], s[4:5], s[34:35]
	s_mov_b32 s34, 0
	s_wait_dscnt 0x0
	global_store_b64 v16, v[2:3], s[36:37]
.LBB240_18:                             ;   in Loop: Header=BB240_3 Depth=1
	s_and_not1_b32 vcc_lo, exec_lo, s34
	s_cbranch_vccnz .LBB240_2
; %bb.19:                               ;   in Loop: Header=BB240_3 Depth=1
	s_wait_dscnt 0x0
	s_wait_xcnt 0x0
	s_delay_alu instid0(VALU_DEP_1) | instskip(SKIP_1) | instid1(SALU_CYCLE_1)
	v_cvt_f32_f64_e32 v2, v[2:3]
	s_lshl_b64 s[34:35], s[20:21], 2
	s_add_nc_u64 s[34:35], s[6:7], s[34:35]
	global_store_b32 v16, v2, s[34:35]
	s_branch .LBB240_2
.LBB240_20:
	s_endpgm
	.section	.rodata,"a",@progbits
	.p2align	6, 0x0
	.amdhsa_kernel _ZL18rocblas_dot_kernelIiLb0ELi512ELi4ELb1EfPKddEviT5_lT_lS2_lS3_liPT6_PT4_
		.amdhsa_group_segment_fixed_size 256
		.amdhsa_private_segment_fixed_size 0
		.amdhsa_kernarg_size 352
		.amdhsa_user_sgpr_count 2
		.amdhsa_user_sgpr_dispatch_ptr 0
		.amdhsa_user_sgpr_queue_ptr 0
		.amdhsa_user_sgpr_kernarg_segment_ptr 1
		.amdhsa_user_sgpr_dispatch_id 0
		.amdhsa_user_sgpr_kernarg_preload_length 0
		.amdhsa_user_sgpr_kernarg_preload_offset 0
		.amdhsa_user_sgpr_private_segment_size 0
		.amdhsa_wavefront_size32 1
		.amdhsa_uses_dynamic_stack 0
		.amdhsa_enable_private_segment 0
		.amdhsa_system_sgpr_workgroup_id_x 1
		.amdhsa_system_sgpr_workgroup_id_y 0
		.amdhsa_system_sgpr_workgroup_id_z 1
		.amdhsa_system_sgpr_workgroup_info 0
		.amdhsa_system_vgpr_workitem_id 0
		.amdhsa_next_free_vgpr 22
		.amdhsa_next_free_sgpr 38
		.amdhsa_named_barrier_count 0
		.amdhsa_reserve_vcc 1
		.amdhsa_float_round_mode_32 0
		.amdhsa_float_round_mode_16_64 0
		.amdhsa_float_denorm_mode_32 3
		.amdhsa_float_denorm_mode_16_64 3
		.amdhsa_fp16_overflow 0
		.amdhsa_memory_ordered 1
		.amdhsa_forward_progress 1
		.amdhsa_inst_pref_size 9
		.amdhsa_round_robin_scheduling 0
		.amdhsa_exception_fp_ieee_invalid_op 0
		.amdhsa_exception_fp_denorm_src 0
		.amdhsa_exception_fp_ieee_div_zero 0
		.amdhsa_exception_fp_ieee_overflow 0
		.amdhsa_exception_fp_ieee_underflow 0
		.amdhsa_exception_fp_ieee_inexact 0
		.amdhsa_exception_int_div_zero 0
	.end_amdhsa_kernel
	.section	.text._ZL18rocblas_dot_kernelIiLb0ELi512ELi4ELb1EfPKddEviT5_lT_lS2_lS3_liPT6_PT4_,"axG",@progbits,_ZL18rocblas_dot_kernelIiLb0ELi512ELi4ELb1EfPKddEviT5_lT_lS2_lS3_liPT6_PT4_,comdat
.Lfunc_end240:
	.size	_ZL18rocblas_dot_kernelIiLb0ELi512ELi4ELb1EfPKddEviT5_lT_lS2_lS3_liPT6_PT4_, .Lfunc_end240-_ZL18rocblas_dot_kernelIiLb0ELi512ELi4ELb1EfPKddEviT5_lT_lS2_lS3_liPT6_PT4_
                                        ; -- End function
	.set _ZL18rocblas_dot_kernelIiLb0ELi512ELi4ELb1EfPKddEviT5_lT_lS2_lS3_liPT6_PT4_.num_vgpr, 22
	.set _ZL18rocblas_dot_kernelIiLb0ELi512ELi4ELb1EfPKddEviT5_lT_lS2_lS3_liPT6_PT4_.num_agpr, 0
	.set _ZL18rocblas_dot_kernelIiLb0ELi512ELi4ELb1EfPKddEviT5_lT_lS2_lS3_liPT6_PT4_.numbered_sgpr, 38
	.set _ZL18rocblas_dot_kernelIiLb0ELi512ELi4ELb1EfPKddEviT5_lT_lS2_lS3_liPT6_PT4_.num_named_barrier, 0
	.set _ZL18rocblas_dot_kernelIiLb0ELi512ELi4ELb1EfPKddEviT5_lT_lS2_lS3_liPT6_PT4_.private_seg_size, 0
	.set _ZL18rocblas_dot_kernelIiLb0ELi512ELi4ELb1EfPKddEviT5_lT_lS2_lS3_liPT6_PT4_.uses_vcc, 1
	.set _ZL18rocblas_dot_kernelIiLb0ELi512ELi4ELb1EfPKddEviT5_lT_lS2_lS3_liPT6_PT4_.uses_flat_scratch, 0
	.set _ZL18rocblas_dot_kernelIiLb0ELi512ELi4ELb1EfPKddEviT5_lT_lS2_lS3_liPT6_PT4_.has_dyn_sized_stack, 0
	.set _ZL18rocblas_dot_kernelIiLb0ELi512ELi4ELb1EfPKddEviT5_lT_lS2_lS3_liPT6_PT4_.has_recursion, 0
	.set _ZL18rocblas_dot_kernelIiLb0ELi512ELi4ELb1EfPKddEviT5_lT_lS2_lS3_liPT6_PT4_.has_indirect_call, 0
	.section	.AMDGPU.csdata,"",@progbits
; Kernel info:
; codeLenInByte = 1128
; TotalNumSgprs: 40
; NumVgprs: 22
; ScratchSize: 0
; MemoryBound: 0
; FloatMode: 240
; IeeeMode: 1
; LDSByteSize: 256 bytes/workgroup (compile time only)
; SGPRBlocks: 0
; VGPRBlocks: 1
; NumSGPRsForWavesPerEU: 40
; NumVGPRsForWavesPerEU: 22
; NamedBarCnt: 0
; Occupancy: 16
; WaveLimiterHint : 0
; COMPUTE_PGM_RSRC2:SCRATCH_EN: 0
; COMPUTE_PGM_RSRC2:USER_SGPR: 2
; COMPUTE_PGM_RSRC2:TRAP_HANDLER: 0
; COMPUTE_PGM_RSRC2:TGID_X_EN: 1
; COMPUTE_PGM_RSRC2:TGID_Y_EN: 0
; COMPUTE_PGM_RSRC2:TGID_Z_EN: 1
; COMPUTE_PGM_RSRC2:TIDIG_COMP_CNT: 0
	.section	.text._ZL24rocblas_dot_kernel_magsqIiLb0ELi512ELi4ELb1EfPKddEviT5_lT_liPT6_PT4_,"axG",@progbits,_ZL24rocblas_dot_kernel_magsqIiLb0ELi512ELi4ELb1EfPKddEviT5_lT_liPT6_PT4_,comdat
	.globl	_ZL24rocblas_dot_kernel_magsqIiLb0ELi512ELi4ELb1EfPKddEviT5_lT_liPT6_PT4_ ; -- Begin function _ZL24rocblas_dot_kernel_magsqIiLb0ELi512ELi4ELb1EfPKddEviT5_lT_liPT6_PT4_
	.p2align	8
	.type	_ZL24rocblas_dot_kernel_magsqIiLb0ELi512ELi4ELb1EfPKddEviT5_lT_liPT6_PT4_,@function
_ZL24rocblas_dot_kernel_magsqIiLb0ELi512ELi4ELb1EfPKddEviT5_lT_liPT6_PT4_: ; @_ZL24rocblas_dot_kernel_magsqIiLb0ELi512ELi4ELb1EfPKddEviT5_lT_liPT6_PT4_
; %bb.0:
	s_load_b32 s22, s[0:1], 0x28
	s_bfe_u32 s2, ttmp6, 0x40014
	s_lshr_b32 s3, ttmp7, 16
	s_add_co_i32 s2, s2, 1
	s_bfe_u32 s5, ttmp6, 0x40008
	s_mul_i32 s4, s3, s2
	s_getreg_b32 s2, hwreg(HW_REG_IB_STS2, 6, 4)
	s_add_co_i32 s5, s5, s4
	s_cmp_eq_u32 s2, 0
	s_mov_b32 s13, 0
	s_cselect_b32 s12, s3, s5
	s_wait_kmcnt 0x0
	s_cmp_ge_u32 s12, s22
	s_cbranch_scc1 .LBB241_20
; %bb.1:
	v_mbcnt_lo_u32_b32 v2, -1, 0
	s_clause 0x5
	s_load_b32 s18, s[0:1], 0x18
	s_load_b128 s[4:7], s[0:1], 0x30
	s_load_b32 s14, s[0:1], 0x40
	s_load_b128 s[8:11], s[0:1], 0x8
	s_load_b64 s[20:21], s[0:1], 0x20
	s_load_b32 s23, s[0:1], 0x0
	s_wait_xcnt 0x0
	s_bfe_u32 s0, ttmp6, 0x4000c
	s_and_b32 s1, ttmp6, 15
	s_add_co_i32 s3, s0, 1
	v_cmp_gt_u32_e32 vcc_lo, 24, v2
	s_mul_i32 s3, ttmp9, s3
	v_and_b32_e32 v1, 31, v0
	s_add_co_i32 s1, s1, s3
	s_mov_b32 s27, s13
	v_cndmask_b32_e64 v3, 0, 8, vcc_lo
	v_cmp_gt_u32_e32 vcc_lo, 28, v2
	v_cmp_gt_u32_e64 s0, 32, v0
	v_cmp_eq_u32_e64 s3, 0, v0
	v_lshl_or_b32 v7, v2, 2, 64
	v_add_lshl_u32 v9, v3, v2, 2
	v_cndmask_b32_e64 v4, 0, 4, vcc_lo
	v_cmp_gt_u32_e32 vcc_lo, 30, v2
	s_wait_kmcnt 0x0
	s_ashr_i32 s19, s18, 31
	s_cmp_eq_u32 s2, 0
	v_lshrrev_b32_e32 v3, 2, v0
	s_cselect_b32 s26, ttmp9, s1
	v_cndmask_b32_e64 v5, 0, 2, vcc_lo
	v_cmp_ne_u32_e32 vcc_lo, 31, v2
	s_cmp_lg_u32 s14, 1
	v_lshl_or_b32 v8, s26, 9, v0
	s_cselect_b32 s24, -1, 0
	s_lshl_b32 s16, s14, 9
	v_add_co_ci_u32_e64 v12, null, 0, v2, vcc_lo
	v_lshlrev_b32_e32 v6, 3, v1
	v_cmp_eq_u32_e64 s1, 0, v1
	v_cmp_gt_u32_e64 s2, 16, v0
	v_mov_b64_e32 v[0:1], 0
	s_lshl_b64 s[26:27], s[26:27], 3
	s_ashr_i32 s17, s16, 31
	v_add_lshl_u32 v10, v4, v2, 2
	v_add_lshl_u32 v11, v5, v2, 2
	v_lshlrev_b32_e32 v12, 2, v12
	v_and_b32_e32 v13, 0x78, v3
	v_mov_b32_e32 v14, 0
	s_lshl_b64 s[10:11], s[10:11], 3
	s_add_nc_u64 s[4:5], s[4:5], s[26:27]
	s_mul_u64 s[26:27], s[18:19], s[16:17]
	s_mov_b32 s15, s13
	s_add_nc_u64 s[8:9], s[8:9], s[10:11]
	s_lshl_b64 s[10:11], s[18:19], 3
	s_lshl_b64 s[18:19], s[20:21], 3
	;; [unrolled: 1-line block ×3, first 2 shown]
	s_branch .LBB241_3
.LBB241_2:                              ;   in Loop: Header=BB241_3 Depth=1
	s_wait_xcnt 0x0
	s_or_b32 exec_lo, exec_lo, s17
	s_add_co_i32 s12, s12, 0x10000
	s_delay_alu instid0(SALU_CYCLE_1)
	s_cmp_lt_u32 s12, s22
	s_cbranch_scc0 .LBB241_20
.LBB241_3:                              ; =>This Loop Header: Depth=1
                                        ;     Child Loop BB241_5 Depth 2
	s_wait_dscnt 0x0
	v_mov_b64_e32 v[2:3], 0
	s_mov_b32 s17, exec_lo
	v_cmpx_gt_i32_e64 s23, v8
	s_cbranch_execz .LBB241_7
; %bb.4:                                ;   in Loop: Header=BB241_3 Depth=1
	s_mul_u64 s[26:27], s[18:19], s[12:13]
	v_ashrrev_i32_e32 v3, 31, v8
	s_add_nc_u64 s[26:27], s[8:9], s[26:27]
	s_mov_b32 s25, 0
	v_mad_nc_u64_u32 v[4:5], s10, v8, s[26:27]
	s_mov_b32 s26, 0
	s_delay_alu instid0(VALU_DEP_1) | instskip(NEXT) | instid1(VALU_DEP_1)
	v_mad_u32 v2, s11, v8, v5
	v_mad_u32 v5, s10, v3, v2
	v_mov_b64_e32 v[2:3], 0
.LBB241_5:                              ;   Parent Loop BB241_3 Depth=1
                                        ; =>  This Inner Loop Header: Depth=2
	global_load_b64 v[16:17], v[4:5], off
	v_add_nc_u32_e32 v8, s16, v8
	s_add_co_i32 s27, s26, 1
	s_cmp_gt_u32 s26, 2
	s_wait_xcnt 0x0
	v_add_nc_u64_e32 v[4:5], s[20:21], v[4:5]
	s_cselect_b32 s26, -1, 0
	v_cmp_le_i32_e32 vcc_lo, s23, v8
	s_or_b32 s26, s26, vcc_lo
	s_delay_alu instid0(SALU_CYCLE_1) | instskip(NEXT) | instid1(SALU_CYCLE_1)
	s_and_b32 s26, exec_lo, s26
	s_or_b32 s25, s26, s25
	s_mov_b32 s26, s27
	s_wait_loadcnt 0x0
	v_fmac_f64_e32 v[2:3], v[16:17], v[16:17]
	s_and_not1_b32 exec_lo, exec_lo, s25
	s_cbranch_execnz .LBB241_5
; %bb.6:                                ;   in Loop: Header=BB241_3 Depth=1
	s_or_b32 exec_lo, exec_lo, s25
.LBB241_7:                              ;   in Loop: Header=BB241_3 Depth=1
	s_delay_alu instid0(SALU_CYCLE_1)
	s_or_b32 exec_lo, exec_lo, s17
	s_and_saveexec_b32 s17, s0
; %bb.8:                                ;   in Loop: Header=BB241_3 Depth=1
	ds_store_b64 v6, v[0:1]
; %bb.9:                                ;   in Loop: Header=BB241_3 Depth=1
	s_or_b32 exec_lo, exec_lo, s17
	ds_bpermute_b32 v4, v7, v2
	ds_bpermute_b32 v5, v7, v3
	s_wait_dscnt 0x0
	s_barrier_signal -1
	s_barrier_wait -1
	v_add_f64_e32 v[2:3], v[2:3], v[4:5]
	ds_bpermute_b32 v4, v9, v2
	ds_bpermute_b32 v5, v9, v3
	s_wait_dscnt 0x0
	v_add_f64_e32 v[2:3], v[2:3], v[4:5]
	ds_bpermute_b32 v4, v10, v2
	ds_bpermute_b32 v5, v10, v3
	s_wait_dscnt 0x0
	;; [unrolled: 4-line block ×3, first 2 shown]
	v_add_f64_e32 v[2:3], v[2:3], v[4:5]
	ds_bpermute_b32 v4, v12, v2
	ds_bpermute_b32 v5, v12, v3
	s_and_saveexec_b32 s17, s1
	s_cbranch_execz .LBB241_11
; %bb.10:                               ;   in Loop: Header=BB241_3 Depth=1
	s_wait_dscnt 0x0
	v_add_f64_e32 v[2:3], v[2:3], v[4:5]
	ds_store_b64 v13, v[2:3]
.LBB241_11:                             ;   in Loop: Header=BB241_3 Depth=1
	s_or_b32 exec_lo, exec_lo, s17
	v_mov_b64_e32 v[2:3], 0
	s_wait_dscnt 0x0
	s_barrier_signal -1
	s_barrier_wait -1
	s_and_saveexec_b32 s17, s2
	s_cbranch_execnz .LBB241_14
; %bb.12:                               ;   in Loop: Header=BB241_3 Depth=1
	s_or_b32 exec_lo, exec_lo, s17
	s_and_saveexec_b32 s17, s0
	s_cbranch_execnz .LBB241_15
.LBB241_13:                             ;   in Loop: Header=BB241_3 Depth=1
	s_or_b32 exec_lo, exec_lo, s17
	s_and_saveexec_b32 s17, s3
	s_cbranch_execz .LBB241_2
	s_branch .LBB241_16
.LBB241_14:                             ;   in Loop: Header=BB241_3 Depth=1
	ds_load_b64 v[2:3], v6
	s_or_b32 exec_lo, exec_lo, s17
	s_and_saveexec_b32 s17, s0
	s_cbranch_execz .LBB241_13
.LBB241_15:                             ;   in Loop: Header=BB241_3 Depth=1
	s_wait_dscnt 0x0
	ds_bpermute_b32 v4, v9, v2
	ds_bpermute_b32 v5, v9, v3
	s_wait_dscnt 0x0
	v_add_f64_e32 v[2:3], v[2:3], v[4:5]
	ds_bpermute_b32 v4, v10, v2
	ds_bpermute_b32 v5, v10, v3
	s_wait_dscnt 0x0
	v_add_f64_e32 v[2:3], v[2:3], v[4:5]
	;; [unrolled: 4-line block ×4, first 2 shown]
	s_or_b32 exec_lo, exec_lo, s17
	s_and_saveexec_b32 s17, s3
	s_cbranch_execz .LBB241_2
.LBB241_16:                             ;   in Loop: Header=BB241_3 Depth=1
	s_and_b32 vcc_lo, exec_lo, s24
	s_mov_b32 s25, -1
	s_cbranch_vccz .LBB241_18
; %bb.17:                               ;   in Loop: Header=BB241_3 Depth=1
	s_mul_u64 s[26:27], s[14:15], s[12:13]
	s_mov_b32 s25, 0
	s_lshl_b64 s[26:27], s[26:27], 3
	s_delay_alu instid0(SALU_CYCLE_1)
	s_add_nc_u64 s[26:27], s[4:5], s[26:27]
	s_wait_dscnt 0x0
	global_store_b64 v14, v[2:3], s[26:27]
.LBB241_18:                             ;   in Loop: Header=BB241_3 Depth=1
	s_and_not1_b32 vcc_lo, exec_lo, s25
	s_cbranch_vccnz .LBB241_2
; %bb.19:                               ;   in Loop: Header=BB241_3 Depth=1
	s_wait_dscnt 0x0
	s_wait_xcnt 0x0
	s_delay_alu instid0(VALU_DEP_1) | instskip(SKIP_1) | instid1(SALU_CYCLE_1)
	v_cvt_f32_f64_e32 v2, v[2:3]
	s_lshl_b64 s[26:27], s[12:13], 2
	s_add_nc_u64 s[26:27], s[6:7], s[26:27]
	global_store_b32 v14, v2, s[26:27]
	s_branch .LBB241_2
.LBB241_20:
	s_endpgm
	.section	.rodata,"a",@progbits
	.p2align	6, 0x0
	.amdhsa_kernel _ZL24rocblas_dot_kernel_magsqIiLb0ELi512ELi4ELb1EfPKddEviT5_lT_liPT6_PT4_
		.amdhsa_group_segment_fixed_size 256
		.amdhsa_private_segment_fixed_size 0
		.amdhsa_kernarg_size 320
		.amdhsa_user_sgpr_count 2
		.amdhsa_user_sgpr_dispatch_ptr 0
		.amdhsa_user_sgpr_queue_ptr 0
		.amdhsa_user_sgpr_kernarg_segment_ptr 1
		.amdhsa_user_sgpr_dispatch_id 0
		.amdhsa_user_sgpr_kernarg_preload_length 0
		.amdhsa_user_sgpr_kernarg_preload_offset 0
		.amdhsa_user_sgpr_private_segment_size 0
		.amdhsa_wavefront_size32 1
		.amdhsa_uses_dynamic_stack 0
		.amdhsa_enable_private_segment 0
		.amdhsa_system_sgpr_workgroup_id_x 1
		.amdhsa_system_sgpr_workgroup_id_y 0
		.amdhsa_system_sgpr_workgroup_id_z 1
		.amdhsa_system_sgpr_workgroup_info 0
		.amdhsa_system_vgpr_workitem_id 0
		.amdhsa_next_free_vgpr 18
		.amdhsa_next_free_sgpr 28
		.amdhsa_named_barrier_count 0
		.amdhsa_reserve_vcc 1
		.amdhsa_float_round_mode_32 0
		.amdhsa_float_round_mode_16_64 0
		.amdhsa_float_denorm_mode_32 3
		.amdhsa_float_denorm_mode_16_64 3
		.amdhsa_fp16_overflow 0
		.amdhsa_memory_ordered 1
		.amdhsa_forward_progress 1
		.amdhsa_inst_pref_size 8
		.amdhsa_round_robin_scheduling 0
		.amdhsa_exception_fp_ieee_invalid_op 0
		.amdhsa_exception_fp_denorm_src 0
		.amdhsa_exception_fp_ieee_div_zero 0
		.amdhsa_exception_fp_ieee_overflow 0
		.amdhsa_exception_fp_ieee_underflow 0
		.amdhsa_exception_fp_ieee_inexact 0
		.amdhsa_exception_int_div_zero 0
	.end_amdhsa_kernel
	.section	.text._ZL24rocblas_dot_kernel_magsqIiLb0ELi512ELi4ELb1EfPKddEviT5_lT_liPT6_PT4_,"axG",@progbits,_ZL24rocblas_dot_kernel_magsqIiLb0ELi512ELi4ELb1EfPKddEviT5_lT_liPT6_PT4_,comdat
.Lfunc_end241:
	.size	_ZL24rocblas_dot_kernel_magsqIiLb0ELi512ELi4ELb1EfPKddEviT5_lT_liPT6_PT4_, .Lfunc_end241-_ZL24rocblas_dot_kernel_magsqIiLb0ELi512ELi4ELb1EfPKddEviT5_lT_liPT6_PT4_
                                        ; -- End function
	.set _ZL24rocblas_dot_kernel_magsqIiLb0ELi512ELi4ELb1EfPKddEviT5_lT_liPT6_PT4_.num_vgpr, 18
	.set _ZL24rocblas_dot_kernel_magsqIiLb0ELi512ELi4ELb1EfPKddEviT5_lT_liPT6_PT4_.num_agpr, 0
	.set _ZL24rocblas_dot_kernel_magsqIiLb0ELi512ELi4ELb1EfPKddEviT5_lT_liPT6_PT4_.numbered_sgpr, 28
	.set _ZL24rocblas_dot_kernel_magsqIiLb0ELi512ELi4ELb1EfPKddEviT5_lT_liPT6_PT4_.num_named_barrier, 0
	.set _ZL24rocblas_dot_kernel_magsqIiLb0ELi512ELi4ELb1EfPKddEviT5_lT_liPT6_PT4_.private_seg_size, 0
	.set _ZL24rocblas_dot_kernel_magsqIiLb0ELi512ELi4ELb1EfPKddEviT5_lT_liPT6_PT4_.uses_vcc, 1
	.set _ZL24rocblas_dot_kernel_magsqIiLb0ELi512ELi4ELb1EfPKddEviT5_lT_liPT6_PT4_.uses_flat_scratch, 0
	.set _ZL24rocblas_dot_kernel_magsqIiLb0ELi512ELi4ELb1EfPKddEviT5_lT_liPT6_PT4_.has_dyn_sized_stack, 0
	.set _ZL24rocblas_dot_kernel_magsqIiLb0ELi512ELi4ELb1EfPKddEviT5_lT_liPT6_PT4_.has_recursion, 0
	.set _ZL24rocblas_dot_kernel_magsqIiLb0ELi512ELi4ELb1EfPKddEviT5_lT_liPT6_PT4_.has_indirect_call, 0
	.section	.AMDGPU.csdata,"",@progbits
; Kernel info:
; codeLenInByte = 1024
; TotalNumSgprs: 30
; NumVgprs: 18
; ScratchSize: 0
; MemoryBound: 0
; FloatMode: 240
; IeeeMode: 1
; LDSByteSize: 256 bytes/workgroup (compile time only)
; SGPRBlocks: 0
; VGPRBlocks: 1
; NumSGPRsForWavesPerEU: 30
; NumVGPRsForWavesPerEU: 18
; NamedBarCnt: 0
; Occupancy: 16
; WaveLimiterHint : 0
; COMPUTE_PGM_RSRC2:SCRATCH_EN: 0
; COMPUTE_PGM_RSRC2:USER_SGPR: 2
; COMPUTE_PGM_RSRC2:TRAP_HANDLER: 0
; COMPUTE_PGM_RSRC2:TGID_X_EN: 1
; COMPUTE_PGM_RSRC2:TGID_Y_EN: 0
; COMPUTE_PGM_RSRC2:TGID_Z_EN: 1
; COMPUTE_PGM_RSRC2:TIDIG_COMP_CNT: 0
	.section	.text._ZL30rocblas_reduction_kernel_part2ILi512ELi4E25rocblas_finalize_identitydfEviPT2_PT3_,"axG",@progbits,_ZL30rocblas_reduction_kernel_part2ILi512ELi4E25rocblas_finalize_identitydfEviPT2_PT3_,comdat
	.globl	_ZL30rocblas_reduction_kernel_part2ILi512ELi4E25rocblas_finalize_identitydfEviPT2_PT3_ ; -- Begin function _ZL30rocblas_reduction_kernel_part2ILi512ELi4E25rocblas_finalize_identitydfEviPT2_PT3_
	.p2align	8
	.type	_ZL30rocblas_reduction_kernel_part2ILi512ELi4E25rocblas_finalize_identitydfEviPT2_PT3_,@function
_ZL30rocblas_reduction_kernel_part2ILi512ELi4E25rocblas_finalize_identitydfEviPT2_PT3_: ; @_ZL30rocblas_reduction_kernel_part2ILi512ELi4E25rocblas_finalize_identitydfEviPT2_PT3_
; %bb.0:
	s_clause 0x1
	s_load_b32 s6, s[0:1], 0x0
	s_load_b64 s[8:9], s[0:1], 0x8
	s_bfe_u32 s2, ttmp6, 0x4000c
	s_and_b32 s3, ttmp6, 15
	s_add_co_i32 s2, s2, 1
	s_getreg_b32 s4, hwreg(HW_REG_IB_STS2, 6, 4)
	s_mul_i32 s2, ttmp9, s2
	v_mov_b64_e32 v[2:3], 0
	s_add_co_i32 s3, s3, s2
	v_lshlrev_b32_e32 v1, 2, v0
	s_wait_kmcnt 0x0
	s_ashr_i32 s7, s6, 31
	s_cmp_eq_u32 s4, 0
	s_mov_b32 s4, exec_lo
	s_cselect_b32 s2, ttmp9, s3
	s_lshr_b32 s3, s7, 30
	s_delay_alu instid0(SALU_CYCLE_1) | instskip(NEXT) | instid1(SALU_CYCLE_1)
	s_add_co_i32 s3, s6, s3
	s_and_b32 s12, s3, -4
	s_mov_b32 s3, 0
	s_delay_alu instid0(SALU_CYCLE_1)
	s_mul_u64 s[10:11], s[6:7], s[2:3]
	v_cmpx_gt_i32_e64 s12, v1
	s_cbranch_execz .LBB242_4
; %bb.1:
	v_dual_mov_b32 v3, 0 :: v_dual_lshlrev_b32 v2, 5, v0
	s_lshl_b64 s[14:15], s[10:11], 3
	s_mov_b32 s5, s3
	s_add_nc_u64 s[14:15], s[8:9], s[14:15]
	s_delay_alu instid0(VALU_DEP_1) | instid1(SALU_CYCLE_1)
	v_add_nc_u64_e32 v[2:3], s[14:15], v[2:3]
	s_delay_alu instid0(VALU_DEP_1)
	v_add_nc_u64_e32 v[4:5], 16, v[2:3]
	v_mov_b64_e32 v[2:3], 0
.LBB242_2:                              ; =>This Inner Loop Header: Depth=1
	s_clause 0x1
	global_load_b128 v[6:9], v[4:5], off offset:-16
	global_load_b128 v[10:13], v[4:5], off
	v_add_nc_u32_e32 v1, 0x800, v1
	s_wait_xcnt 0x0
	v_add_nc_u64_e32 v[4:5], 0x4000, v[4:5]
	s_delay_alu instid0(VALU_DEP_2) | instskip(SKIP_3) | instid1(VALU_DEP_1)
	v_cmp_le_i32_e32 vcc_lo, s12, v1
	s_or_b32 s5, vcc_lo, s5
	s_wait_loadcnt 0x1
	v_add_f64_e32 v[2:3], v[2:3], v[6:7]
	v_add_f64_e32 v[2:3], v[2:3], v[8:9]
	s_wait_loadcnt 0x0
	s_delay_alu instid0(VALU_DEP_1) | instskip(NEXT) | instid1(VALU_DEP_1)
	v_add_f64_e32 v[2:3], v[2:3], v[10:11]
	v_add_f64_e32 v[2:3], v[2:3], v[12:13]
	s_and_not1_b32 exec_lo, exec_lo, s5
	s_cbranch_execnz .LBB242_2
; %bb.3:
	s_or_b32 exec_lo, exec_lo, s5
.LBB242_4:
	s_delay_alu instid0(SALU_CYCLE_1) | instskip(SKIP_3) | instid1(SALU_CYCLE_1)
	s_or_b32 exec_lo, exec_lo, s4
	s_load_b64 s[4:5], s[0:1], 0x10
	s_wait_xcnt 0x0
	s_sub_co_i32 s0, s6, s12
	v_cmp_gt_u32_e32 vcc_lo, s0, v0
	s_and_saveexec_b32 s0, vcc_lo
	s_cbranch_execz .LBB242_6
; %bb.5:
	v_xad_u32 v1, v0, -1, s6
	s_lshl_b64 s[6:7], s[10:11], 3
	s_delay_alu instid0(SALU_CYCLE_1)
	s_add_nc_u64 s[6:7], s[8:9], s[6:7]
	global_load_b64 v[4:5], v1, s[6:7] scale_offset
	s_wait_loadcnt 0x0
	v_add_f64_e32 v[2:3], v[2:3], v[4:5]
.LBB242_6:
	s_or_b32 exec_lo, exec_lo, s0
	v_and_b32_e32 v10, 31, v0
	v_cmp_gt_u32_e32 vcc_lo, 32, v0
	s_delay_alu instid0(VALU_DEP_2)
	v_lshlrev_b32_e32 v1, 3, v10
	s_and_saveexec_b32 s0, vcc_lo
; %bb.7:
	v_mov_b64_e32 v[4:5], 0
	ds_store_b64 v1, v[4:5]
; %bb.8:
	s_or_b32 exec_lo, exec_lo, s0
	v_mbcnt_lo_u32_b32 v9, -1, 0
	s_mov_b32 s1, exec_lo
	s_wait_dscnt 0x0
	s_barrier_signal -1
	s_barrier_wait -1
	v_lshl_or_b32 v5, v9, 2, 64
	v_cmp_gt_u32_e64 s0, 24, v9
	ds_bpermute_b32 v4, v5, v2
	ds_bpermute_b32 v5, v5, v3
	s_wait_dscnt 0x0
	v_add_f64_e32 v[2:3], v[2:3], v[4:5]
	v_cndmask_b32_e64 v4, 0, 8, s0
	v_cmp_gt_u32_e64 s0, 28, v9
	s_delay_alu instid0(VALU_DEP_2)
	v_add_lshl_u32 v6, v4, v9, 2
	ds_bpermute_b32 v4, v6, v2
	ds_bpermute_b32 v5, v6, v3
	s_wait_dscnt 0x0
	v_add_f64_e32 v[2:3], v[2:3], v[4:5]
	v_cndmask_b32_e64 v4, 0, 4, s0
	v_cmp_gt_u32_e64 s0, 30, v9
	s_delay_alu instid0(VALU_DEP_2)
	v_add_lshl_u32 v7, v4, v9, 2
	ds_bpermute_b32 v4, v7, v2
	ds_bpermute_b32 v5, v7, v3
	s_wait_dscnt 0x0
	v_add_f64_e32 v[2:3], v[2:3], v[4:5]
	v_cndmask_b32_e64 v4, 0, 2, s0
	v_cmp_ne_u32_e64 s0, 31, v9
	s_delay_alu instid0(VALU_DEP_2)
	v_add_lshl_u32 v8, v4, v9, 2
	ds_bpermute_b32 v4, v8, v2
	ds_bpermute_b32 v5, v8, v3
	s_wait_dscnt 0x0
	v_add_f64_e32 v[2:3], v[2:3], v[4:5]
	v_add_co_ci_u32_e64 v4, null, 0, v9, s0
	s_delay_alu instid0(VALU_DEP_1)
	v_lshlrev_b32_e32 v9, 2, v4
	ds_bpermute_b32 v4, v9, v2
	ds_bpermute_b32 v5, v9, v3
	v_cmpx_eq_u32_e32 0, v10
	s_cbranch_execz .LBB242_10
; %bb.9:
	s_wait_dscnt 0x0
	v_add_f64_e32 v[2:3], v[2:3], v[4:5]
	v_lshrrev_b32_e32 v4, 2, v0
	s_delay_alu instid0(VALU_DEP_1)
	v_and_b32_e32 v4, 0x78, v4
	ds_store_b64 v4, v[2:3]
.LBB242_10:
	s_or_b32 exec_lo, exec_lo, s1
	v_mov_b64_e32 v[2:3], 0
	s_mov_b32 s1, exec_lo
	s_wait_dscnt 0x0
	s_barrier_signal -1
	s_barrier_wait -1
	v_cmpx_gt_u32_e32 16, v0
; %bb.11:
	ds_load_b64 v[2:3], v1
; %bb.12:
	s_or_b32 exec_lo, exec_lo, s1
	s_and_saveexec_b32 s0, vcc_lo
	s_cbranch_execz .LBB242_14
; %bb.13:
	s_wait_dscnt 0x0
	ds_bpermute_b32 v4, v6, v2
	ds_bpermute_b32 v5, v6, v3
	s_wait_dscnt 0x0
	v_add_f64_e32 v[2:3], v[2:3], v[4:5]
	ds_bpermute_b32 v4, v7, v2
	ds_bpermute_b32 v5, v7, v3
	s_wait_dscnt 0x0
	v_add_f64_e32 v[2:3], v[2:3], v[4:5]
	ds_bpermute_b32 v4, v8, v2
	ds_bpermute_b32 v5, v8, v3
	s_wait_dscnt 0x0
	v_add_f64_e32 v[2:3], v[2:3], v[4:5]
	ds_bpermute_b32 v4, v9, v2
	ds_bpermute_b32 v5, v9, v3
	s_wait_dscnt 0x0
	v_add_f64_e32 v[2:3], v[2:3], v[4:5]
.LBB242_14:
	s_or_b32 exec_lo, exec_lo, s0
	s_delay_alu instid0(SALU_CYCLE_1)
	s_mov_b32 s0, exec_lo
	v_cmpx_eq_u32_e32 0, v0
	s_cbranch_execz .LBB242_16
; %bb.15:
	s_wait_dscnt 0x0
	s_delay_alu instid0(VALU_DEP_2)
	v_cvt_f32_f64_e32 v0, v[2:3]
	v_mov_b32_e32 v1, 0
	s_lshl_b64 s[0:1], s[2:3], 2
	s_wait_kmcnt 0x0
	s_add_nc_u64 s[0:1], s[4:5], s[0:1]
	global_store_b32 v1, v0, s[0:1]
.LBB242_16:
	s_endpgm
	.section	.rodata,"a",@progbits
	.p2align	6, 0x0
	.amdhsa_kernel _ZL30rocblas_reduction_kernel_part2ILi512ELi4E25rocblas_finalize_identitydfEviPT2_PT3_
		.amdhsa_group_segment_fixed_size 256
		.amdhsa_private_segment_fixed_size 0
		.amdhsa_kernarg_size 24
		.amdhsa_user_sgpr_count 2
		.amdhsa_user_sgpr_dispatch_ptr 0
		.amdhsa_user_sgpr_queue_ptr 0
		.amdhsa_user_sgpr_kernarg_segment_ptr 1
		.amdhsa_user_sgpr_dispatch_id 0
		.amdhsa_user_sgpr_kernarg_preload_length 0
		.amdhsa_user_sgpr_kernarg_preload_offset 0
		.amdhsa_user_sgpr_private_segment_size 0
		.amdhsa_wavefront_size32 1
		.amdhsa_uses_dynamic_stack 0
		.amdhsa_enable_private_segment 0
		.amdhsa_system_sgpr_workgroup_id_x 1
		.amdhsa_system_sgpr_workgroup_id_y 0
		.amdhsa_system_sgpr_workgroup_id_z 0
		.amdhsa_system_sgpr_workgroup_info 0
		.amdhsa_system_vgpr_workitem_id 0
		.amdhsa_next_free_vgpr 14
		.amdhsa_next_free_sgpr 16
		.amdhsa_named_barrier_count 0
		.amdhsa_reserve_vcc 1
		.amdhsa_float_round_mode_32 0
		.amdhsa_float_round_mode_16_64 0
		.amdhsa_float_denorm_mode_32 3
		.amdhsa_float_denorm_mode_16_64 3
		.amdhsa_fp16_overflow 0
		.amdhsa_memory_ordered 1
		.amdhsa_forward_progress 1
		.amdhsa_inst_pref_size 7
		.amdhsa_round_robin_scheduling 0
		.amdhsa_exception_fp_ieee_invalid_op 0
		.amdhsa_exception_fp_denorm_src 0
		.amdhsa_exception_fp_ieee_div_zero 0
		.amdhsa_exception_fp_ieee_overflow 0
		.amdhsa_exception_fp_ieee_underflow 0
		.amdhsa_exception_fp_ieee_inexact 0
		.amdhsa_exception_int_div_zero 0
	.end_amdhsa_kernel
	.section	.text._ZL30rocblas_reduction_kernel_part2ILi512ELi4E25rocblas_finalize_identitydfEviPT2_PT3_,"axG",@progbits,_ZL30rocblas_reduction_kernel_part2ILi512ELi4E25rocblas_finalize_identitydfEviPT2_PT3_,comdat
.Lfunc_end242:
	.size	_ZL30rocblas_reduction_kernel_part2ILi512ELi4E25rocblas_finalize_identitydfEviPT2_PT3_, .Lfunc_end242-_ZL30rocblas_reduction_kernel_part2ILi512ELi4E25rocblas_finalize_identitydfEviPT2_PT3_
                                        ; -- End function
	.set _ZL30rocblas_reduction_kernel_part2ILi512ELi4E25rocblas_finalize_identitydfEviPT2_PT3_.num_vgpr, 14
	.set _ZL30rocblas_reduction_kernel_part2ILi512ELi4E25rocblas_finalize_identitydfEviPT2_PT3_.num_agpr, 0
	.set _ZL30rocblas_reduction_kernel_part2ILi512ELi4E25rocblas_finalize_identitydfEviPT2_PT3_.numbered_sgpr, 16
	.set _ZL30rocblas_reduction_kernel_part2ILi512ELi4E25rocblas_finalize_identitydfEviPT2_PT3_.num_named_barrier, 0
	.set _ZL30rocblas_reduction_kernel_part2ILi512ELi4E25rocblas_finalize_identitydfEviPT2_PT3_.private_seg_size, 0
	.set _ZL30rocblas_reduction_kernel_part2ILi512ELi4E25rocblas_finalize_identitydfEviPT2_PT3_.uses_vcc, 1
	.set _ZL30rocblas_reduction_kernel_part2ILi512ELi4E25rocblas_finalize_identitydfEviPT2_PT3_.uses_flat_scratch, 0
	.set _ZL30rocblas_reduction_kernel_part2ILi512ELi4E25rocblas_finalize_identitydfEviPT2_PT3_.has_dyn_sized_stack, 0
	.set _ZL30rocblas_reduction_kernel_part2ILi512ELi4E25rocblas_finalize_identitydfEviPT2_PT3_.has_recursion, 0
	.set _ZL30rocblas_reduction_kernel_part2ILi512ELi4E25rocblas_finalize_identitydfEviPT2_PT3_.has_indirect_call, 0
	.section	.AMDGPU.csdata,"",@progbits
; Kernel info:
; codeLenInByte = 876
; TotalNumSgprs: 18
; NumVgprs: 14
; ScratchSize: 0
; MemoryBound: 0
; FloatMode: 240
; IeeeMode: 1
; LDSByteSize: 256 bytes/workgroup (compile time only)
; SGPRBlocks: 0
; VGPRBlocks: 0
; NumSGPRsForWavesPerEU: 18
; NumVGPRsForWavesPerEU: 14
; NamedBarCnt: 0
; Occupancy: 16
; WaveLimiterHint : 0
; COMPUTE_PGM_RSRC2:SCRATCH_EN: 0
; COMPUTE_PGM_RSRC2:USER_SGPR: 2
; COMPUTE_PGM_RSRC2:TRAP_HANDLER: 0
; COMPUTE_PGM_RSRC2:TGID_X_EN: 1
; COMPUTE_PGM_RSRC2:TGID_Y_EN: 0
; COMPUTE_PGM_RSRC2:TGID_Z_EN: 0
; COMPUTE_PGM_RSRC2:TIDIG_COMP_CNT: 0
	.section	.text._ZL28rocblas_dot_batched_4_kernelIiLi32ELi4ELb1EdfPKPKdEviT5_lT_lS4_lS5_liPT4_,"axG",@progbits,_ZL28rocblas_dot_batched_4_kernelIiLi32ELi4ELb1EdfPKPKdEviT5_lT_lS4_lS5_liPT4_,comdat
	.globl	_ZL28rocblas_dot_batched_4_kernelIiLi32ELi4ELb1EdfPKPKdEviT5_lT_lS4_lS5_liPT4_ ; -- Begin function _ZL28rocblas_dot_batched_4_kernelIiLi32ELi4ELb1EdfPKPKdEviT5_lT_lS4_lS5_liPT4_
	.p2align	8
	.type	_ZL28rocblas_dot_batched_4_kernelIiLi32ELi4ELb1EdfPKPKdEviT5_lT_lS4_lS5_liPT4_,@function
_ZL28rocblas_dot_batched_4_kernelIiLi32ELi4ELb1EdfPKPKdEviT5_lT_lS4_lS5_liPT4_: ; @_ZL28rocblas_dot_batched_4_kernelIiLi32ELi4ELb1EdfPKPKdEviT5_lT_lS4_lS5_liPT4_
; %bb.0:
	s_load_b32 s2, s[0:1], 0x48
	s_bfe_u32 s3, ttmp6, 0x4000c
	s_and_b32 s4, ttmp6, 15
	s_add_co_i32 s3, s3, 1
	v_bfe_u32 v1, v0, 10, 10
	s_mul_i32 s3, ttmp9, s3
	s_delay_alu instid0(SALU_CYCLE_1) | instskip(SKIP_1) | instid1(SALU_CYCLE_1)
	s_add_co_i32 s4, s4, s3
	s_getreg_b32 s3, hwreg(HW_REG_IB_STS2, 6, 4)
	s_cmp_eq_u32 s3, 0
	s_cselect_b32 s3, ttmp9, s4
	s_delay_alu instid0(SALU_CYCLE_1) | instskip(SKIP_1) | instid1(VALU_DEP_1)
	v_lshl_add_u32 v2, s3, 2, v1
	s_wait_kmcnt 0x0
	v_cmp_gt_u32_e32 vcc_lo, s2, v2
	s_and_saveexec_b32 s2, vcc_lo
	s_cbranch_execz .LBB243_7
; %bb.1:
	s_load_b32 s6, s[0:1], 0x0
	v_mov_b64_e32 v[4:5], 0
	v_and_b32_e32 v0, 0x3ff, v0
	v_mov_b32_e32 v3, 0
	s_mov_b32 s7, exec_lo
	s_wait_kmcnt 0x0
	s_delay_alu instid0(VALU_DEP_2)
	v_cmpx_gt_i32_e64 s6, v0
	s_cbranch_execz .LBB243_5
; %bb.2:
	s_clause 0x1
	s_load_b128 s[8:11], s[0:1], 0x8
	s_load_b128 s[12:15], s[0:1], 0x28
	v_lshlrev_b64_e32 v[4:5], 3, v[2:3]
	s_clause 0x1
	s_load_b32 s2, s[0:1], 0x18
	s_load_b32 s4, s[0:1], 0x38
	v_mov_b32_e32 v1, v3
	s_wait_kmcnt 0x0
	s_delay_alu instid0(VALU_DEP_2)
	v_add_nc_u64_e32 v[6:7], s[8:9], v[4:5]
	v_add_nc_u64_e32 v[4:5], s[12:13], v[4:5]
	s_ashr_i32 s3, s2, 31
	s_ashr_i32 s5, s4, 31
	s_lshl_b64 s[8:9], s[10:11], 3
	s_lshl_b64 s[10:11], s[14:15], 3
	global_load_b64 v[8:9], v[6:7], off
	global_load_b64 v[10:11], v[4:5], off
	s_wait_xcnt 0x0
	v_mul_u64_e32 v[4:5], s[2:3], v[0:1]
	v_mul_u64_e32 v[6:7], s[4:5], v[0:1]
	v_mov_b32_e32 v1, v0
	s_lshl_b64 s[2:3], s[2:3], 8
	s_lshl_b64 s[4:5], s[4:5], 8
	s_delay_alu instid0(VALU_DEP_3) | instskip(NEXT) | instid1(VALU_DEP_3)
	v_lshl_add_u64 v[4:5], v[4:5], 3, s[8:9]
	v_lshl_add_u64 v[12:13], v[6:7], 3, s[10:11]
	s_mov_b32 s8, 0
	s_wait_loadcnt 0x1
	s_delay_alu instid0(VALU_DEP_2)
	v_add_nc_u64_e32 v[6:7], v[8:9], v[4:5]
	s_wait_loadcnt 0x0
	v_add_nc_u64_e32 v[8:9], v[10:11], v[12:13]
	v_mov_b64_e32 v[4:5], 0
.LBB243_3:                              ; =>This Inner Loop Header: Depth=1
	flat_load_b64 v[10:11], v[6:7]
	flat_load_b64 v[12:13], v[8:9]
	v_add_nc_u32_e32 v1, 32, v1
	s_wait_xcnt 0x1
	v_add_nc_u64_e32 v[6:7], s[2:3], v[6:7]
	s_wait_xcnt 0x0
	v_add_nc_u64_e32 v[8:9], s[4:5], v[8:9]
	v_cmp_le_i32_e32 vcc_lo, s6, v1
	s_or_b32 s8, vcc_lo, s8
	s_wait_loadcnt_dscnt 0x0
	v_fmac_f64_e32 v[4:5], v[10:11], v[12:13]
	s_and_not1_b32 exec_lo, exec_lo, s8
	s_cbranch_execnz .LBB243_3
; %bb.4:
	s_or_b32 exec_lo, exec_lo, s8
.LBB243_5:
	s_delay_alu instid0(SALU_CYCLE_1) | instskip(SKIP_4) | instid1(VALU_DEP_1)
	s_or_b32 exec_lo, exec_lo, s7
	v_mbcnt_lo_u32_b32 v1, -1, 0
	s_load_b64 s[0:1], s[0:1], 0x50
	s_barrier_signal -1
	s_barrier_wait -1
	v_lshl_or_b32 v7, v1, 2, 64
	v_cmp_gt_u32_e32 vcc_lo, 24, v1
	ds_bpermute_b32 v6, v7, v4
	ds_bpermute_b32 v7, v7, v5
	s_wait_dscnt 0x0
	v_add_f64_e32 v[4:5], v[4:5], v[6:7]
	v_cndmask_b32_e64 v6, 0, 8, vcc_lo
	v_cmp_gt_u32_e32 vcc_lo, 28, v1
	s_delay_alu instid0(VALU_DEP_2)
	v_add_lshl_u32 v7, v6, v1, 2
	ds_bpermute_b32 v6, v7, v4
	ds_bpermute_b32 v7, v7, v5
	s_wait_dscnt 0x0
	v_add_f64_e32 v[4:5], v[4:5], v[6:7]
	v_cndmask_b32_e64 v6, 0, 4, vcc_lo
	v_cmp_gt_u32_e32 vcc_lo, 30, v1
	s_delay_alu instid0(VALU_DEP_2)
	v_add_lshl_u32 v7, v6, v1, 2
	ds_bpermute_b32 v6, v7, v4
	ds_bpermute_b32 v7, v7, v5
	s_wait_dscnt 0x0
	v_add_f64_e32 v[4:5], v[4:5], v[6:7]
	v_cndmask_b32_e64 v6, 0, 2, vcc_lo
	v_cmp_ne_u32_e32 vcc_lo, 31, v1
	s_delay_alu instid0(VALU_DEP_2) | instskip(SKIP_2) | instid1(VALU_DEP_2)
	v_add_lshl_u32 v7, v6, v1, 2
	v_add_co_ci_u32_e64 v1, null, 0, v1, vcc_lo
	v_cmp_eq_u32_e32 vcc_lo, 0, v0
	v_lshlrev_b32_e32 v1, 2, v1
	ds_bpermute_b32 v6, v7, v4
	ds_bpermute_b32 v7, v7, v5
	s_wait_dscnt 0x0
	v_add_f64_e32 v[4:5], v[4:5], v[6:7]
	ds_bpermute_b32 v6, v1, v4
	ds_bpermute_b32 v7, v1, v5
	s_and_b32 exec_lo, exec_lo, vcc_lo
	s_cbranch_execz .LBB243_7
; %bb.6:
	s_wait_dscnt 0x0
	v_add_f64_e32 v[0:1], v[4:5], v[6:7]
	s_delay_alu instid0(VALU_DEP_1)
	v_cvt_f32_f64_e32 v4, v[0:1]
	s_wait_kmcnt 0x0
	v_lshl_add_u64 v[0:1], v[2:3], 2, s[0:1]
	global_store_b32 v[0:1], v4, off
.LBB243_7:
	s_endpgm
	.section	.rodata,"a",@progbits
	.p2align	6, 0x0
	.amdhsa_kernel _ZL28rocblas_dot_batched_4_kernelIiLi32ELi4ELb1EdfPKPKdEviT5_lT_lS4_lS5_liPT4_
		.amdhsa_group_segment_fixed_size 0
		.amdhsa_private_segment_fixed_size 0
		.amdhsa_kernarg_size 88
		.amdhsa_user_sgpr_count 2
		.amdhsa_user_sgpr_dispatch_ptr 0
		.amdhsa_user_sgpr_queue_ptr 0
		.amdhsa_user_sgpr_kernarg_segment_ptr 1
		.amdhsa_user_sgpr_dispatch_id 0
		.amdhsa_user_sgpr_kernarg_preload_length 0
		.amdhsa_user_sgpr_kernarg_preload_offset 0
		.amdhsa_user_sgpr_private_segment_size 0
		.amdhsa_wavefront_size32 1
		.amdhsa_uses_dynamic_stack 0
		.amdhsa_enable_private_segment 0
		.amdhsa_system_sgpr_workgroup_id_x 1
		.amdhsa_system_sgpr_workgroup_id_y 0
		.amdhsa_system_sgpr_workgroup_id_z 0
		.amdhsa_system_sgpr_workgroup_info 0
		.amdhsa_system_vgpr_workitem_id 1
		.amdhsa_next_free_vgpr 14
		.amdhsa_next_free_sgpr 16
		.amdhsa_named_barrier_count 0
		.amdhsa_reserve_vcc 1
		.amdhsa_float_round_mode_32 0
		.amdhsa_float_round_mode_16_64 0
		.amdhsa_float_denorm_mode_32 3
		.amdhsa_float_denorm_mode_16_64 3
		.amdhsa_fp16_overflow 0
		.amdhsa_memory_ordered 1
		.amdhsa_forward_progress 1
		.amdhsa_inst_pref_size 6
		.amdhsa_round_robin_scheduling 0
		.amdhsa_exception_fp_ieee_invalid_op 0
		.amdhsa_exception_fp_denorm_src 0
		.amdhsa_exception_fp_ieee_div_zero 0
		.amdhsa_exception_fp_ieee_overflow 0
		.amdhsa_exception_fp_ieee_underflow 0
		.amdhsa_exception_fp_ieee_inexact 0
		.amdhsa_exception_int_div_zero 0
	.end_amdhsa_kernel
	.section	.text._ZL28rocblas_dot_batched_4_kernelIiLi32ELi4ELb1EdfPKPKdEviT5_lT_lS4_lS5_liPT4_,"axG",@progbits,_ZL28rocblas_dot_batched_4_kernelIiLi32ELi4ELb1EdfPKPKdEviT5_lT_lS4_lS5_liPT4_,comdat
.Lfunc_end243:
	.size	_ZL28rocblas_dot_batched_4_kernelIiLi32ELi4ELb1EdfPKPKdEviT5_lT_lS4_lS5_liPT4_, .Lfunc_end243-_ZL28rocblas_dot_batched_4_kernelIiLi32ELi4ELb1EdfPKPKdEviT5_lT_lS4_lS5_liPT4_
                                        ; -- End function
	.set _ZL28rocblas_dot_batched_4_kernelIiLi32ELi4ELb1EdfPKPKdEviT5_lT_lS4_lS5_liPT4_.num_vgpr, 14
	.set _ZL28rocblas_dot_batched_4_kernelIiLi32ELi4ELb1EdfPKPKdEviT5_lT_lS4_lS5_liPT4_.num_agpr, 0
	.set _ZL28rocblas_dot_batched_4_kernelIiLi32ELi4ELb1EdfPKPKdEviT5_lT_lS4_lS5_liPT4_.numbered_sgpr, 16
	.set _ZL28rocblas_dot_batched_4_kernelIiLi32ELi4ELb1EdfPKPKdEviT5_lT_lS4_lS5_liPT4_.num_named_barrier, 0
	.set _ZL28rocblas_dot_batched_4_kernelIiLi32ELi4ELb1EdfPKPKdEviT5_lT_lS4_lS5_liPT4_.private_seg_size, 0
	.set _ZL28rocblas_dot_batched_4_kernelIiLi32ELi4ELb1EdfPKPKdEviT5_lT_lS4_lS5_liPT4_.uses_vcc, 1
	.set _ZL28rocblas_dot_batched_4_kernelIiLi32ELi4ELb1EdfPKPKdEviT5_lT_lS4_lS5_liPT4_.uses_flat_scratch, 0
	.set _ZL28rocblas_dot_batched_4_kernelIiLi32ELi4ELb1EdfPKPKdEviT5_lT_lS4_lS5_liPT4_.has_dyn_sized_stack, 0
	.set _ZL28rocblas_dot_batched_4_kernelIiLi32ELi4ELb1EdfPKPKdEviT5_lT_lS4_lS5_liPT4_.has_recursion, 0
	.set _ZL28rocblas_dot_batched_4_kernelIiLi32ELi4ELb1EdfPKPKdEviT5_lT_lS4_lS5_liPT4_.has_indirect_call, 0
	.section	.AMDGPU.csdata,"",@progbits
; Kernel info:
; codeLenInByte = 676
; TotalNumSgprs: 18
; NumVgprs: 14
; ScratchSize: 0
; MemoryBound: 0
; FloatMode: 240
; IeeeMode: 1
; LDSByteSize: 0 bytes/workgroup (compile time only)
; SGPRBlocks: 0
; VGPRBlocks: 0
; NumSGPRsForWavesPerEU: 18
; NumVGPRsForWavesPerEU: 14
; NamedBarCnt: 0
; Occupancy: 16
; WaveLimiterHint : 0
; COMPUTE_PGM_RSRC2:SCRATCH_EN: 0
; COMPUTE_PGM_RSRC2:USER_SGPR: 2
; COMPUTE_PGM_RSRC2:TRAP_HANDLER: 0
; COMPUTE_PGM_RSRC2:TGID_X_EN: 1
; COMPUTE_PGM_RSRC2:TGID_Y_EN: 0
; COMPUTE_PGM_RSRC2:TGID_Z_EN: 0
; COMPUTE_PGM_RSRC2:TIDIG_COMP_CNT: 1
	.section	.text._ZL28rocblas_dot_batched_4_kernelIiLi64ELi4ELb1EdfPKPKdEviT5_lT_lS4_lS5_liPT4_,"axG",@progbits,_ZL28rocblas_dot_batched_4_kernelIiLi64ELi4ELb1EdfPKPKdEviT5_lT_lS4_lS5_liPT4_,comdat
	.globl	_ZL28rocblas_dot_batched_4_kernelIiLi64ELi4ELb1EdfPKPKdEviT5_lT_lS4_lS5_liPT4_ ; -- Begin function _ZL28rocblas_dot_batched_4_kernelIiLi64ELi4ELb1EdfPKPKdEviT5_lT_lS4_lS5_liPT4_
	.p2align	8
	.type	_ZL28rocblas_dot_batched_4_kernelIiLi64ELi4ELb1EdfPKPKdEviT5_lT_lS4_lS5_liPT4_,@function
_ZL28rocblas_dot_batched_4_kernelIiLi64ELi4ELb1EdfPKPKdEviT5_lT_lS4_lS5_liPT4_: ; @_ZL28rocblas_dot_batched_4_kernelIiLi64ELi4ELb1EdfPKPKdEviT5_lT_lS4_lS5_liPT4_
; %bb.0:
	s_load_b32 s2, s[0:1], 0x48
	s_bfe_u32 s3, ttmp6, 0x4000c
	s_and_b32 s4, ttmp6, 15
	s_add_co_i32 s3, s3, 1
	v_bfe_u32 v1, v0, 10, 10
	s_mul_i32 s3, ttmp9, s3
	s_delay_alu instid0(SALU_CYCLE_1) | instskip(SKIP_1) | instid1(SALU_CYCLE_1)
	s_add_co_i32 s4, s4, s3
	s_getreg_b32 s3, hwreg(HW_REG_IB_STS2, 6, 4)
	s_cmp_eq_u32 s3, 0
	s_cselect_b32 s3, ttmp9, s4
	s_delay_alu instid0(SALU_CYCLE_1) | instskip(SKIP_1) | instid1(VALU_DEP_1)
	v_lshl_add_u32 v2, s3, 2, v1
	s_wait_kmcnt 0x0
	v_cmp_gt_u32_e32 vcc_lo, s2, v2
	s_and_saveexec_b32 s2, vcc_lo
	s_cbranch_execz .LBB244_7
; %bb.1:
	s_load_b32 s6, s[0:1], 0x0
	v_mov_b64_e32 v[4:5], 0
	v_and_b32_e32 v0, 0x3ff, v0
	v_mov_b32_e32 v3, 0
	s_mov_b32 s7, exec_lo
	s_wait_kmcnt 0x0
	s_delay_alu instid0(VALU_DEP_2)
	v_cmpx_gt_i32_e64 s6, v0
	s_cbranch_execz .LBB244_5
; %bb.2:
	s_clause 0x1
	s_load_b128 s[8:11], s[0:1], 0x8
	s_load_b128 s[12:15], s[0:1], 0x28
	v_lshlrev_b64_e32 v[4:5], 3, v[2:3]
	s_clause 0x1
	s_load_b32 s2, s[0:1], 0x18
	s_load_b32 s4, s[0:1], 0x38
	v_mov_b32_e32 v1, v3
	s_wait_kmcnt 0x0
	s_delay_alu instid0(VALU_DEP_2)
	v_add_nc_u64_e32 v[6:7], s[8:9], v[4:5]
	v_add_nc_u64_e32 v[4:5], s[12:13], v[4:5]
	s_ashr_i32 s3, s2, 31
	s_ashr_i32 s5, s4, 31
	s_lshl_b64 s[8:9], s[10:11], 3
	s_lshl_b64 s[10:11], s[14:15], 3
	global_load_b64 v[8:9], v[6:7], off
	global_load_b64 v[10:11], v[4:5], off
	s_wait_xcnt 0x0
	v_mul_u64_e32 v[4:5], s[2:3], v[0:1]
	v_mul_u64_e32 v[6:7], s[4:5], v[0:1]
	v_mov_b32_e32 v1, v0
	s_lshl_b64 s[2:3], s[2:3], 9
	s_lshl_b64 s[4:5], s[4:5], 9
	s_delay_alu instid0(VALU_DEP_3) | instskip(NEXT) | instid1(VALU_DEP_3)
	v_lshl_add_u64 v[4:5], v[4:5], 3, s[8:9]
	v_lshl_add_u64 v[12:13], v[6:7], 3, s[10:11]
	s_mov_b32 s8, 0
	s_wait_loadcnt 0x1
	s_delay_alu instid0(VALU_DEP_2)
	v_add_nc_u64_e32 v[6:7], v[8:9], v[4:5]
	s_wait_loadcnt 0x0
	v_add_nc_u64_e32 v[8:9], v[10:11], v[12:13]
	v_mov_b64_e32 v[4:5], 0
.LBB244_3:                              ; =>This Inner Loop Header: Depth=1
	flat_load_b64 v[10:11], v[6:7]
	flat_load_b64 v[12:13], v[8:9]
	v_add_nc_u32_e32 v1, 64, v1
	s_wait_xcnt 0x1
	v_add_nc_u64_e32 v[6:7], s[2:3], v[6:7]
	s_wait_xcnt 0x0
	v_add_nc_u64_e32 v[8:9], s[4:5], v[8:9]
	v_cmp_le_i32_e32 vcc_lo, s6, v1
	s_or_b32 s8, vcc_lo, s8
	s_wait_loadcnt_dscnt 0x0
	v_fmac_f64_e32 v[4:5], v[10:11], v[12:13]
	s_and_not1_b32 exec_lo, exec_lo, s8
	s_cbranch_execnz .LBB244_3
; %bb.4:
	s_or_b32 exec_lo, exec_lo, s8
.LBB244_5:
	s_delay_alu instid0(SALU_CYCLE_1) | instskip(SKIP_4) | instid1(VALU_DEP_1)
	s_or_b32 exec_lo, exec_lo, s7
	v_mbcnt_lo_u32_b32 v1, -1, 0
	s_load_b64 s[0:1], s[0:1], 0x50
	s_barrier_signal -1
	s_barrier_wait -1
	v_lshlrev_b32_e32 v8, 2, v1
	v_cmp_gt_u32_e32 vcc_lo, 24, v1
	ds_bpermute_b32 v6, v8, v4
	ds_bpermute_b32 v7, v8, v5
	s_wait_dscnt 0x0
	v_dual_add_f64 v[4:5], v[4:5], v[6:7] :: v_dual_bitop2_b32 v7, 64, v8 bitop3:0x54
	ds_bpermute_b32 v6, v7, v4
	ds_bpermute_b32 v7, v7, v5
	s_wait_dscnt 0x0
	v_add_f64_e32 v[4:5], v[4:5], v[6:7]
	v_cndmask_b32_e64 v6, 0, 8, vcc_lo
	v_cmp_gt_u32_e32 vcc_lo, 28, v1
	s_delay_alu instid0(VALU_DEP_2)
	v_add_lshl_u32 v7, v6, v1, 2
	ds_bpermute_b32 v6, v7, v4
	ds_bpermute_b32 v7, v7, v5
	s_wait_dscnt 0x0
	v_add_f64_e32 v[4:5], v[4:5], v[6:7]
	v_cndmask_b32_e64 v6, 0, 4, vcc_lo
	v_cmp_gt_u32_e32 vcc_lo, 30, v1
	s_delay_alu instid0(VALU_DEP_2)
	v_add_lshl_u32 v7, v6, v1, 2
	ds_bpermute_b32 v6, v7, v4
	ds_bpermute_b32 v7, v7, v5
	s_wait_dscnt 0x0
	v_add_f64_e32 v[4:5], v[4:5], v[6:7]
	v_cndmask_b32_e64 v6, 0, 2, vcc_lo
	v_cmp_ne_u32_e32 vcc_lo, 31, v1
	s_delay_alu instid0(VALU_DEP_2) | instskip(SKIP_2) | instid1(VALU_DEP_2)
	v_add_lshl_u32 v7, v6, v1, 2
	v_add_co_ci_u32_e64 v1, null, 0, v1, vcc_lo
	v_cmp_eq_u32_e32 vcc_lo, 0, v0
	v_lshlrev_b32_e32 v1, 2, v1
	ds_bpermute_b32 v6, v7, v4
	ds_bpermute_b32 v7, v7, v5
	s_wait_dscnt 0x0
	v_add_f64_e32 v[4:5], v[4:5], v[6:7]
	ds_bpermute_b32 v6, v1, v4
	ds_bpermute_b32 v7, v1, v5
	s_and_b32 exec_lo, exec_lo, vcc_lo
	s_cbranch_execz .LBB244_7
; %bb.6:
	s_wait_dscnt 0x0
	v_add_f64_e32 v[0:1], v[4:5], v[6:7]
	s_delay_alu instid0(VALU_DEP_1)
	v_cvt_f32_f64_e32 v4, v[0:1]
	s_wait_kmcnt 0x0
	v_lshl_add_u64 v[0:1], v[2:3], 2, s[0:1]
	global_store_b32 v[0:1], v4, off
.LBB244_7:
	s_endpgm
	.section	.rodata,"a",@progbits
	.p2align	6, 0x0
	.amdhsa_kernel _ZL28rocblas_dot_batched_4_kernelIiLi64ELi4ELb1EdfPKPKdEviT5_lT_lS4_lS5_liPT4_
		.amdhsa_group_segment_fixed_size 0
		.amdhsa_private_segment_fixed_size 0
		.amdhsa_kernarg_size 88
		.amdhsa_user_sgpr_count 2
		.amdhsa_user_sgpr_dispatch_ptr 0
		.amdhsa_user_sgpr_queue_ptr 0
		.amdhsa_user_sgpr_kernarg_segment_ptr 1
		.amdhsa_user_sgpr_dispatch_id 0
		.amdhsa_user_sgpr_kernarg_preload_length 0
		.amdhsa_user_sgpr_kernarg_preload_offset 0
		.amdhsa_user_sgpr_private_segment_size 0
		.amdhsa_wavefront_size32 1
		.amdhsa_uses_dynamic_stack 0
		.amdhsa_enable_private_segment 0
		.amdhsa_system_sgpr_workgroup_id_x 1
		.amdhsa_system_sgpr_workgroup_id_y 0
		.amdhsa_system_sgpr_workgroup_id_z 0
		.amdhsa_system_sgpr_workgroup_info 0
		.amdhsa_system_vgpr_workitem_id 1
		.amdhsa_next_free_vgpr 14
		.amdhsa_next_free_sgpr 16
		.amdhsa_named_barrier_count 0
		.amdhsa_reserve_vcc 1
		.amdhsa_float_round_mode_32 0
		.amdhsa_float_round_mode_16_64 0
		.amdhsa_float_denorm_mode_32 3
		.amdhsa_float_denorm_mode_16_64 3
		.amdhsa_fp16_overflow 0
		.amdhsa_memory_ordered 1
		.amdhsa_forward_progress 1
		.amdhsa_inst_pref_size 6
		.amdhsa_round_robin_scheduling 0
		.amdhsa_exception_fp_ieee_invalid_op 0
		.amdhsa_exception_fp_denorm_src 0
		.amdhsa_exception_fp_ieee_div_zero 0
		.amdhsa_exception_fp_ieee_overflow 0
		.amdhsa_exception_fp_ieee_underflow 0
		.amdhsa_exception_fp_ieee_inexact 0
		.amdhsa_exception_int_div_zero 0
	.end_amdhsa_kernel
	.section	.text._ZL28rocblas_dot_batched_4_kernelIiLi64ELi4ELb1EdfPKPKdEviT5_lT_lS4_lS5_liPT4_,"axG",@progbits,_ZL28rocblas_dot_batched_4_kernelIiLi64ELi4ELb1EdfPKPKdEviT5_lT_lS4_lS5_liPT4_,comdat
.Lfunc_end244:
	.size	_ZL28rocblas_dot_batched_4_kernelIiLi64ELi4ELb1EdfPKPKdEviT5_lT_lS4_lS5_liPT4_, .Lfunc_end244-_ZL28rocblas_dot_batched_4_kernelIiLi64ELi4ELb1EdfPKPKdEviT5_lT_lS4_lS5_liPT4_
                                        ; -- End function
	.set _ZL28rocblas_dot_batched_4_kernelIiLi64ELi4ELb1EdfPKPKdEviT5_lT_lS4_lS5_liPT4_.num_vgpr, 14
	.set _ZL28rocblas_dot_batched_4_kernelIiLi64ELi4ELb1EdfPKPKdEviT5_lT_lS4_lS5_liPT4_.num_agpr, 0
	.set _ZL28rocblas_dot_batched_4_kernelIiLi64ELi4ELb1EdfPKPKdEviT5_lT_lS4_lS5_liPT4_.numbered_sgpr, 16
	.set _ZL28rocblas_dot_batched_4_kernelIiLi64ELi4ELb1EdfPKPKdEviT5_lT_lS4_lS5_liPT4_.num_named_barrier, 0
	.set _ZL28rocblas_dot_batched_4_kernelIiLi64ELi4ELb1EdfPKPKdEviT5_lT_lS4_lS5_liPT4_.private_seg_size, 0
	.set _ZL28rocblas_dot_batched_4_kernelIiLi64ELi4ELb1EdfPKPKdEviT5_lT_lS4_lS5_liPT4_.uses_vcc, 1
	.set _ZL28rocblas_dot_batched_4_kernelIiLi64ELi4ELb1EdfPKPKdEviT5_lT_lS4_lS5_liPT4_.uses_flat_scratch, 0
	.set _ZL28rocblas_dot_batched_4_kernelIiLi64ELi4ELb1EdfPKPKdEviT5_lT_lS4_lS5_liPT4_.has_dyn_sized_stack, 0
	.set _ZL28rocblas_dot_batched_4_kernelIiLi64ELi4ELb1EdfPKPKdEviT5_lT_lS4_lS5_liPT4_.has_recursion, 0
	.set _ZL28rocblas_dot_batched_4_kernelIiLi64ELi4ELb1EdfPKPKdEviT5_lT_lS4_lS5_liPT4_.has_indirect_call, 0
	.section	.AMDGPU.csdata,"",@progbits
; Kernel info:
; codeLenInByte = 704
; TotalNumSgprs: 18
; NumVgprs: 14
; ScratchSize: 0
; MemoryBound: 0
; FloatMode: 240
; IeeeMode: 1
; LDSByteSize: 0 bytes/workgroup (compile time only)
; SGPRBlocks: 0
; VGPRBlocks: 0
; NumSGPRsForWavesPerEU: 18
; NumVGPRsForWavesPerEU: 14
; NamedBarCnt: 0
; Occupancy: 16
; WaveLimiterHint : 0
; COMPUTE_PGM_RSRC2:SCRATCH_EN: 0
; COMPUTE_PGM_RSRC2:USER_SGPR: 2
; COMPUTE_PGM_RSRC2:TRAP_HANDLER: 0
; COMPUTE_PGM_RSRC2:TGID_X_EN: 1
; COMPUTE_PGM_RSRC2:TGID_Y_EN: 0
; COMPUTE_PGM_RSRC2:TGID_Z_EN: 0
; COMPUTE_PGM_RSRC2:TIDIG_COMP_CNT: 1
	.section	.text._ZL26rocblas_dot_kernel_inc1by2ILb1ELi1024ELi32ELb1EfPKPKddEviT4_llS4_lliPT5_PT3_,"axG",@progbits,_ZL26rocblas_dot_kernel_inc1by2ILb1ELi1024ELi32ELb1EfPKPKddEviT4_llS4_lliPT5_PT3_,comdat
	.globl	_ZL26rocblas_dot_kernel_inc1by2ILb1ELi1024ELi32ELb1EfPKPKddEviT4_llS4_lliPT5_PT3_ ; -- Begin function _ZL26rocblas_dot_kernel_inc1by2ILb1ELi1024ELi32ELb1EfPKPKddEviT4_llS4_lliPT5_PT3_
	.p2align	8
	.type	_ZL26rocblas_dot_kernel_inc1by2ILb1ELi1024ELi32ELb1EfPKPKddEviT4_llS4_lliPT5_PT3_,@function
_ZL26rocblas_dot_kernel_inc1by2ILb1ELi1024ELi32ELb1EfPKPKddEviT4_llS4_lliPT5_PT3_: ; @_ZL26rocblas_dot_kernel_inc1by2ILb1ELi1024ELi32ELb1EfPKPKddEviT4_llS4_lliPT5_PT3_
; %bb.0:
	s_load_b32 s3, s[0:1], 0x38
	s_bfe_u32 s2, ttmp6, 0x40014
	s_lshr_b32 s4, ttmp7, 16
	s_add_co_i32 s2, s2, 1
	s_bfe_u32 s5, ttmp6, 0x40008
	s_mul_i32 s2, s4, s2
	s_getreg_b32 s6, hwreg(HW_REG_IB_STS2, 6, 4)
	s_add_co_i32 s5, s5, s2
	s_cmp_eq_u32 s6, 0
	s_mov_b32 s13, 0
	s_cselect_b32 s12, s4, s5
	s_wait_kmcnt 0x0
	s_cmp_ge_u32 s12, s3
	s_cbranch_scc1 .LBB245_19
; %bb.1:
	v_mbcnt_lo_u32_b32 v2, -1, 0
	s_clause 0x3
	s_load_b32 s20, s[0:1], 0x0
	s_load_b128 s[4:7], s[0:1], 0x8
	s_load_b64 s[14:15], s[0:1], 0x48
	s_load_b128 s[8:11], s[0:1], 0x20
	v_dual_lshrrev_b32 v3, 2, v0 :: v_dual_bitop2_b32 v1, 31, v0 bitop3:0x40
	s_wait_xcnt 0x0
	v_cmp_gt_u32_e64 s0, 24, v2
	v_lshl_or_b32 v11, v2, 2, 64
	v_cmp_eq_u32_e64 s1, 0, v0
	v_mov_b32_e32 v17, 0
	v_and_b32_e32 v16, 0xf8, v3
	v_cndmask_b32_e64 v4, 0, 8, s0
	v_cmp_gt_u32_e64 s0, 28, v2
	v_cmp_gt_u32_e32 vcc_lo, 32, v0
	s_delay_alu instid0(VALU_DEP_3) | instskip(NEXT) | instid1(VALU_DEP_3)
	v_add_lshl_u32 v12, v4, v2, 2
	v_cndmask_b32_e64 v5, 0, 4, s0
	v_cmp_gt_u32_e64 s0, 30, v2
	s_wait_kmcnt 0x0
	s_ashr_i32 s21, s20, 31
	s_add_co_i32 s26, s20, -1
	v_cndmask_b32_e64 v6, 0, 2, s0
	v_cmp_ne_u32_e64 s0, 31, v2
	v_add_lshl_u32 v13, v5, v2, 2
	s_bitcmp1_b32 s20, 0
	v_add_lshl_u32 v14, v6, v2, 2
	v_add_co_ci_u32_e64 v7, null, 0, v2, s0
	v_mov_b64_e32 v[2:3], 0
	v_lshlrev_b32_e32 v10, 3, v1
	v_cmp_eq_u32_e64 s0, 0, v1
	s_delay_alu instid0(VALU_DEP_4)
	v_lshlrev_b32_e32 v15, 2, v7
	s_cselect_b32 s27, -1, 0
	s_lshl_b64 s[6:7], s[6:7], 3
	s_lshl_b64 s[10:11], s[10:11], 3
	s_add_nc_u64 s[16:17], s[6:7], 8
	s_add_nc_u64 s[18:19], s[10:11], 8
	s_lshl_b64 s[20:21], s[20:21], 3
	s_branch .LBB245_3
.LBB245_2:                              ;   in Loop: Header=BB245_3 Depth=1
	s_wait_xcnt 0x0
	s_or_b32 exec_lo, exec_lo, s2
	s_add_co_i32 s12, s12, 0x10000
	s_delay_alu instid0(SALU_CYCLE_1)
	s_cmp_lt_u32 s12, s3
	s_cbranch_scc0 .LBB245_19
.LBB245_3:                              ; =>This Loop Header: Depth=1
                                        ;     Child Loop BB245_5 Depth 2
	s_wait_kmcnt 0x0
	s_load_b64 s[22:23], s[4:5], s12 offset:0x0 scale_offset
	s_load_b64 s[24:25], s[8:9], s12 offset:0x0 scale_offset
	s_wait_dscnt 0x0
	v_mov_b64_e32 v[4:5], 0
	v_lshlrev_b32_e32 v0, 1, v0
	s_mov_b32 s28, exec_lo
	s_delay_alu instid0(VALU_DEP_1)
	v_cmpx_gt_i32_e64 s26, v0
	s_cbranch_execz .LBB245_7
; %bb.4:                                ;   in Loop: Header=BB245_3 Depth=1
	v_ashrrev_i32_e32 v1, 31, v0
	s_wait_kmcnt 0x0
	s_add_nc_u64 s[30:31], s[22:23], s[16:17]
	s_add_nc_u64 s[34:35], s[24:25], s[18:19]
	s_mov_b32 s29, 0
	v_lshlrev_b64_e32 v[4:5], 3, v[0:1]
	s_delay_alu instid0(VALU_DEP_1)
	v_add_nc_u64_e32 v[6:7], s[30:31], v[4:5]
	v_add_nc_u64_e32 v[8:9], s[34:35], v[4:5]
	v_mov_b64_e32 v[4:5], 0
	s_mov_b32 s30, 0
.LBB245_5:                              ;   Parent Loop BB245_3 Depth=1
                                        ; =>  This Inner Loop Header: Depth=2
	flat_load_b128 v[18:21], v[8:9] offset:-8
	flat_load_b128 v[22:25], v[6:7] offset:-8
	v_add_nc_u32_e32 v0, 0x800, v0
	s_add_co_i32 s31, s30, 1
	s_cmp_gt_u32 s30, 30
	s_wait_xcnt 0x0
	v_add_nc_u64_e32 v[6:7], 0x4000, v[6:7]
	s_cselect_b32 s30, -1, 0
	v_cmp_le_i32_e64 s2, s26, v0
	v_add_nc_u64_e32 v[8:9], 0x4000, v[8:9]
	s_or_b32 s2, s30, s2
	s_mov_b32 s30, s31
	s_and_b32 s2, exec_lo, s2
	s_delay_alu instid0(SALU_CYCLE_1) | instskip(SKIP_2) | instid1(VALU_DEP_1)
	s_or_b32 s29, s2, s29
	s_wait_loadcnt_dscnt 0x0
	v_fmac_f64_e32 v[4:5], v[18:19], v[22:23]
	v_fmac_f64_e32 v[4:5], v[20:21], v[24:25]
	s_and_not1_b32 exec_lo, exec_lo, s29
	s_cbranch_execnz .LBB245_5
; %bb.6:                                ;   in Loop: Header=BB245_3 Depth=1
	s_or_b32 exec_lo, exec_lo, s29
.LBB245_7:                              ;   in Loop: Header=BB245_3 Depth=1
	s_delay_alu instid0(SALU_CYCLE_1) | instskip(SKIP_2) | instid1(SALU_CYCLE_1)
	s_or_b32 exec_lo, exec_lo, s28
	v_cmp_eq_u32_e64 s2, s26, v0
	s_and_b32 s28, s27, s2
	s_and_saveexec_b32 s2, s28
	s_cbranch_execz .LBB245_9
; %bb.8:                                ;   in Loop: Header=BB245_3 Depth=1
	s_wait_kmcnt 0x0
	s_add_nc_u64 s[24:25], s[24:25], s[10:11]
	s_add_nc_u64 s[22:23], s[22:23], s[6:7]
	;; [unrolled: 1-line block ×4, first 2 shown]
	s_clause 0x1
	flat_load_b64 v[6:7], v17, s[24:25] offset:-8
	flat_load_b64 v[8:9], v17, s[22:23] offset:-8
	s_wait_loadcnt_dscnt 0x0
	v_fmac_f64_e32 v[4:5], v[6:7], v[8:9]
.LBB245_9:                              ;   in Loop: Header=BB245_3 Depth=1
	s_wait_xcnt 0x0
	s_or_b32 exec_lo, exec_lo, s2
	s_and_saveexec_b32 s2, vcc_lo
; %bb.10:                               ;   in Loop: Header=BB245_3 Depth=1
	ds_store_b64 v10, v[2:3]
; %bb.11:                               ;   in Loop: Header=BB245_3 Depth=1
	s_or_b32 exec_lo, exec_lo, s2
	ds_bpermute_b32 v6, v11, v4
	ds_bpermute_b32 v7, v11, v5
	s_wait_dscnt 0x0
	s_barrier_signal -1
	s_barrier_wait -1
	v_add_f64_e32 v[4:5], v[4:5], v[6:7]
	ds_bpermute_b32 v6, v12, v4
	ds_bpermute_b32 v7, v12, v5
	s_wait_dscnt 0x0
	v_add_f64_e32 v[4:5], v[4:5], v[6:7]
	ds_bpermute_b32 v6, v13, v4
	ds_bpermute_b32 v7, v13, v5
	s_wait_dscnt 0x0
	;; [unrolled: 4-line block ×3, first 2 shown]
	v_add_f64_e32 v[4:5], v[4:5], v[6:7]
	ds_bpermute_b32 v6, v15, v4
	ds_bpermute_b32 v7, v15, v5
	s_and_saveexec_b32 s2, s0
	s_cbranch_execz .LBB245_13
; %bb.12:                               ;   in Loop: Header=BB245_3 Depth=1
	s_wait_dscnt 0x0
	v_add_f64_e32 v[4:5], v[4:5], v[6:7]
	ds_store_b64 v16, v[4:5]
.LBB245_13:                             ;   in Loop: Header=BB245_3 Depth=1
	s_or_b32 exec_lo, exec_lo, s2
	v_mov_b64_e32 v[4:5], 0
	s_wait_dscnt 0x0
	s_barrier_signal -1
	s_barrier_wait -1
	s_and_saveexec_b32 s2, vcc_lo
	s_cbranch_execnz .LBB245_16
; %bb.14:                               ;   in Loop: Header=BB245_3 Depth=1
	s_or_b32 exec_lo, exec_lo, s2
	s_and_saveexec_b32 s2, vcc_lo
	s_cbranch_execnz .LBB245_17
.LBB245_15:                             ;   in Loop: Header=BB245_3 Depth=1
	s_or_b32 exec_lo, exec_lo, s2
	s_and_saveexec_b32 s2, s1
	s_cbranch_execz .LBB245_2
	s_branch .LBB245_18
.LBB245_16:                             ;   in Loop: Header=BB245_3 Depth=1
	ds_load_b64 v[4:5], v10
	s_or_b32 exec_lo, exec_lo, s2
	s_and_saveexec_b32 s2, vcc_lo
	s_cbranch_execz .LBB245_15
.LBB245_17:                             ;   in Loop: Header=BB245_3 Depth=1
	s_wait_dscnt 0x0
	ds_bpermute_b32 v6, v11, v4
	ds_bpermute_b32 v7, v11, v5
	s_wait_dscnt 0x0
	v_add_f64_e32 v[4:5], v[4:5], v[6:7]
	ds_bpermute_b32 v6, v12, v4
	ds_bpermute_b32 v7, v12, v5
	s_wait_dscnt 0x0
	v_add_f64_e32 v[4:5], v[4:5], v[6:7]
	;; [unrolled: 4-line block ×5, first 2 shown]
	s_or_b32 exec_lo, exec_lo, s2
	s_and_saveexec_b32 s2, s1
	s_cbranch_execz .LBB245_2
.LBB245_18:                             ;   in Loop: Header=BB245_3 Depth=1
	s_wait_dscnt 0x0
	s_delay_alu instid0(VALU_DEP_1) | instskip(SKIP_2) | instid1(SALU_CYCLE_1)
	v_cvt_f32_f64_e32 v1, v[4:5]
	s_wait_kmcnt 0x0
	s_lshl_b64 s[22:23], s[12:13], 2
	s_add_nc_u64 s[22:23], s[14:15], s[22:23]
	global_store_b32 v17, v1, s[22:23]
	s_branch .LBB245_2
.LBB245_19:
	s_endpgm
	.section	.rodata,"a",@progbits
	.p2align	6, 0x0
	.amdhsa_kernel _ZL26rocblas_dot_kernel_inc1by2ILb1ELi1024ELi32ELb1EfPKPKddEviT4_llS4_lliPT5_PT3_
		.amdhsa_group_segment_fixed_size 256
		.amdhsa_private_segment_fixed_size 0
		.amdhsa_kernarg_size 80
		.amdhsa_user_sgpr_count 2
		.amdhsa_user_sgpr_dispatch_ptr 0
		.amdhsa_user_sgpr_queue_ptr 0
		.amdhsa_user_sgpr_kernarg_segment_ptr 1
		.amdhsa_user_sgpr_dispatch_id 0
		.amdhsa_user_sgpr_kernarg_preload_length 0
		.amdhsa_user_sgpr_kernarg_preload_offset 0
		.amdhsa_user_sgpr_private_segment_size 0
		.amdhsa_wavefront_size32 1
		.amdhsa_uses_dynamic_stack 0
		.amdhsa_enable_private_segment 0
		.amdhsa_system_sgpr_workgroup_id_x 1
		.amdhsa_system_sgpr_workgroup_id_y 0
		.amdhsa_system_sgpr_workgroup_id_z 1
		.amdhsa_system_sgpr_workgroup_info 0
		.amdhsa_system_vgpr_workitem_id 0
		.amdhsa_next_free_vgpr 26
		.amdhsa_next_free_sgpr 36
		.amdhsa_named_barrier_count 0
		.amdhsa_reserve_vcc 1
		.amdhsa_float_round_mode_32 0
		.amdhsa_float_round_mode_16_64 0
		.amdhsa_float_denorm_mode_32 3
		.amdhsa_float_denorm_mode_16_64 3
		.amdhsa_fp16_overflow 0
		.amdhsa_memory_ordered 1
		.amdhsa_forward_progress 1
		.amdhsa_inst_pref_size 9
		.amdhsa_round_robin_scheduling 0
		.amdhsa_exception_fp_ieee_invalid_op 0
		.amdhsa_exception_fp_denorm_src 0
		.amdhsa_exception_fp_ieee_div_zero 0
		.amdhsa_exception_fp_ieee_overflow 0
		.amdhsa_exception_fp_ieee_underflow 0
		.amdhsa_exception_fp_ieee_inexact 0
		.amdhsa_exception_int_div_zero 0
	.end_amdhsa_kernel
	.section	.text._ZL26rocblas_dot_kernel_inc1by2ILb1ELi1024ELi32ELb1EfPKPKddEviT4_llS4_lliPT5_PT3_,"axG",@progbits,_ZL26rocblas_dot_kernel_inc1by2ILb1ELi1024ELi32ELb1EfPKPKddEviT4_llS4_lliPT5_PT3_,comdat
.Lfunc_end245:
	.size	_ZL26rocblas_dot_kernel_inc1by2ILb1ELi1024ELi32ELb1EfPKPKddEviT4_llS4_lliPT5_PT3_, .Lfunc_end245-_ZL26rocblas_dot_kernel_inc1by2ILb1ELi1024ELi32ELb1EfPKPKddEviT4_llS4_lliPT5_PT3_
                                        ; -- End function
	.set _ZL26rocblas_dot_kernel_inc1by2ILb1ELi1024ELi32ELb1EfPKPKddEviT4_llS4_lliPT5_PT3_.num_vgpr, 26
	.set _ZL26rocblas_dot_kernel_inc1by2ILb1ELi1024ELi32ELb1EfPKPKddEviT4_llS4_lliPT5_PT3_.num_agpr, 0
	.set _ZL26rocblas_dot_kernel_inc1by2ILb1ELi1024ELi32ELb1EfPKPKddEviT4_llS4_lliPT5_PT3_.numbered_sgpr, 36
	.set _ZL26rocblas_dot_kernel_inc1by2ILb1ELi1024ELi32ELb1EfPKPKddEviT4_llS4_lliPT5_PT3_.num_named_barrier, 0
	.set _ZL26rocblas_dot_kernel_inc1by2ILb1ELi1024ELi32ELb1EfPKPKddEviT4_llS4_lliPT5_PT3_.private_seg_size, 0
	.set _ZL26rocblas_dot_kernel_inc1by2ILb1ELi1024ELi32ELb1EfPKPKddEviT4_llS4_lliPT5_PT3_.uses_vcc, 1
	.set _ZL26rocblas_dot_kernel_inc1by2ILb1ELi1024ELi32ELb1EfPKPKddEviT4_llS4_lliPT5_PT3_.uses_flat_scratch, 1
	.set _ZL26rocblas_dot_kernel_inc1by2ILb1ELi1024ELi32ELb1EfPKPKddEviT4_llS4_lliPT5_PT3_.has_dyn_sized_stack, 0
	.set _ZL26rocblas_dot_kernel_inc1by2ILb1ELi1024ELi32ELb1EfPKPKddEviT4_llS4_lliPT5_PT3_.has_recursion, 0
	.set _ZL26rocblas_dot_kernel_inc1by2ILb1ELi1024ELi32ELb1EfPKPKddEviT4_llS4_lliPT5_PT3_.has_indirect_call, 0
	.section	.AMDGPU.csdata,"",@progbits
; Kernel info:
; codeLenInByte = 1068
; TotalNumSgprs: 38
; NumVgprs: 26
; ScratchSize: 0
; MemoryBound: 0
; FloatMode: 240
; IeeeMode: 1
; LDSByteSize: 256 bytes/workgroup (compile time only)
; SGPRBlocks: 0
; VGPRBlocks: 1
; NumSGPRsForWavesPerEU: 38
; NumVGPRsForWavesPerEU: 26
; NamedBarCnt: 0
; Occupancy: 16
; WaveLimiterHint : 1
; COMPUTE_PGM_RSRC2:SCRATCH_EN: 0
; COMPUTE_PGM_RSRC2:USER_SGPR: 2
; COMPUTE_PGM_RSRC2:TRAP_HANDLER: 0
; COMPUTE_PGM_RSRC2:TGID_X_EN: 1
; COMPUTE_PGM_RSRC2:TGID_Y_EN: 0
; COMPUTE_PGM_RSRC2:TGID_Z_EN: 1
; COMPUTE_PGM_RSRC2:TIDIG_COMP_CNT: 0
	.section	.text._ZL18rocblas_dot_kernelIiLb1ELi1024ELi32ELb1EfPKPKddEviT5_lT_lS4_lS5_liPT6_PT4_,"axG",@progbits,_ZL18rocblas_dot_kernelIiLb1ELi1024ELi32ELb1EfPKPKddEviT5_lT_lS4_lS5_liPT6_PT4_,comdat
	.globl	_ZL18rocblas_dot_kernelIiLb1ELi1024ELi32ELb1EfPKPKddEviT5_lT_lS4_lS5_liPT6_PT4_ ; -- Begin function _ZL18rocblas_dot_kernelIiLb1ELi1024ELi32ELb1EfPKPKddEviT5_lT_lS4_lS5_liPT6_PT4_
	.p2align	8
	.type	_ZL18rocblas_dot_kernelIiLb1ELi1024ELi32ELb1EfPKPKddEviT5_lT_lS4_lS5_liPT6_PT4_,@function
_ZL18rocblas_dot_kernelIiLb1ELi1024ELi32ELb1EfPKPKddEviT5_lT_lS4_lS5_liPT6_PT4_: ; @_ZL18rocblas_dot_kernelIiLb1ELi1024ELi32ELb1EfPKPKddEviT5_lT_lS4_lS5_liPT6_PT4_
; %bb.0:
	s_load_b32 s3, s[0:1], 0x48
	s_bfe_u32 s2, ttmp6, 0x40014
	s_lshr_b32 s4, ttmp7, 16
	s_add_co_i32 s2, s2, 1
	s_bfe_u32 s5, ttmp6, 0x40008
	s_mul_i32 s2, s4, s2
	s_getreg_b32 s6, hwreg(HW_REG_IB_STS2, 6, 4)
	s_add_co_i32 s5, s5, s2
	s_cmp_eq_u32 s6, 0
	s_mov_b32 s17, 0
	s_cselect_b32 s16, s4, s5
	s_wait_kmcnt 0x0
	s_cmp_ge_u32 s16, s3
	s_cbranch_scc1 .LBB246_17
; %bb.1:
	v_mbcnt_lo_u32_b32 v3, -1, 0
	s_clause 0x5
	s_load_b32 s18, s[0:1], 0x18
	s_load_b32 s22, s[0:1], 0x38
	s_load_b96 s[12:14], s[0:1], 0x58
	s_load_b128 s[4:7], s[0:1], 0x28
	s_load_b128 s[8:11], s[0:1], 0x8
	s_load_b32 s26, s[0:1], 0x0
	v_and_b32_e32 v2, 31, v0
	s_wait_xcnt 0x0
	v_cmp_eq_u32_e64 s1, 0, v0
	v_cmp_gt_u32_e64 s0, 24, v3
	v_lshl_or_b32 v10, v3, 2, 64
	v_mov_b32_e32 v16, 0
	v_cmp_gt_u32_e32 vcc_lo, 32, v0
	s_delay_alu instid0(VALU_DEP_4) | instskip(SKIP_1) | instid1(VALU_DEP_2)
	v_cndmask_b32_e64 v4, 0, 8, s0
	v_cmp_gt_u32_e64 s0, 28, v3
	v_add_lshl_u32 v11, v4, v3, 2
	s_delay_alu instid0(VALU_DEP_2)
	v_cndmask_b32_e64 v5, 0, 4, s0
	v_cmp_gt_u32_e64 s0, 30, v3
	v_lshrrev_b32_e32 v4, 2, v0
	s_wait_kmcnt 0x0
	s_ashr_i32 s19, s18, 31
	s_lshl_b32 s14, s14, 10
	v_add_lshl_u32 v12, v5, v3, 2
	v_cndmask_b32_e64 v6, 0, 2, s0
	v_cmp_ne_u32_e64 s0, 31, v3
	s_ashr_i32 s23, s22, 31
	s_ashr_i32 s15, s14, 31
	v_and_b32_e32 v15, 0xf8, v4
	v_add_lshl_u32 v13, v6, v3, 2
	v_add_co_ci_u32_e64 v7, null, 0, v3, s0
	v_lshlrev_b32_e32 v1, 3, v2
	v_cmp_eq_u32_e64 s0, 0, v2
	v_mov_b64_e32 v[2:3], 0
	s_delay_alu instid0(VALU_DEP_4)
	v_lshlrev_b32_e32 v14, 2, v7
	s_mul_u64 s[20:21], s[18:19], s[14:15]
	s_mul_u64 s[24:25], s[22:23], s[14:15]
	s_lshl_b64 s[10:11], s[10:11], 3
	s_lshl_b64 s[18:19], s[18:19], 3
	;; [unrolled: 1-line block ×6, first 2 shown]
	s_branch .LBB246_3
.LBB246_2:                              ;   in Loop: Header=BB246_3 Depth=1
	s_wait_xcnt 0x0
	s_or_b32 exec_lo, exec_lo, s2
	s_add_co_i32 s16, s16, 0x10000
	s_delay_alu instid0(SALU_CYCLE_1)
	s_cmp_lt_u32 s16, s3
	s_cbranch_scc0 .LBB246_17
.LBB246_3:                              ; =>This Loop Header: Depth=1
                                        ;     Child Loop BB246_5 Depth 2
	s_wait_dscnt 0x0
	v_mov_b64_e32 v[4:5], 0
	s_mov_b32 s15, exec_lo
	v_cmpx_gt_i32_e64 s26, v0
	s_cbranch_execz .LBB246_7
; %bb.4:                                ;   in Loop: Header=BB246_3 Depth=1
	s_lshl_b64 s[28:29], s[16:17], 3
	s_mov_b32 s27, 0
	s_add_nc_u64 s[30:31], s[8:9], s[28:29]
	s_add_nc_u64 s[28:29], s[4:5], s[28:29]
	s_load_b64 s[34:35], s[30:31], 0x0
	s_load_b64 s[36:37], s[28:29], 0x0
	s_wait_kmcnt 0x0
	s_wait_xcnt 0x0
	s_add_nc_u64 s[28:29], s[34:35], s[10:11]
	s_add_nc_u64 s[30:31], s[36:37], s[6:7]
	v_mad_nc_u64_u32 v[6:7], s18, v0, s[28:29]
	v_mad_nc_u64_u32 v[8:9], s22, v0, s[30:31]
	s_mov_b32 s28, 0
	s_delay_alu instid0(VALU_DEP_2) | instskip(NEXT) | instid1(VALU_DEP_2)
	v_mad_u32 v4, s19, v0, v7
	v_mad_u32 v5, s23, v0, v9
	v_ashrrev_i32_e32 v9, 31, v0
	s_delay_alu instid0(VALU_DEP_1) | instskip(NEXT) | instid1(VALU_DEP_3)
	v_mad_u32 v7, s18, v9, v4
	v_mad_u32 v9, s22, v9, v5
	v_mov_b64_e32 v[4:5], 0
.LBB246_5:                              ;   Parent Loop BB246_3 Depth=1
                                        ; =>  This Inner Loop Header: Depth=2
	flat_load_b64 v[18:19], v[8:9]
	flat_load_b64 v[20:21], v[6:7]
	v_add_nc_u32_e32 v0, s14, v0
	s_add_co_i32 s29, s28, 1
	s_cmp_gt_u32 s28, 30
	s_wait_xcnt 0x0
	v_add_nc_u64_e32 v[6:7], s[20:21], v[6:7]
	s_cselect_b32 s28, -1, 0
	v_cmp_le_i32_e64 s2, s26, v0
	v_add_nc_u64_e32 v[8:9], s[24:25], v[8:9]
	s_or_b32 s2, s28, s2
	s_mov_b32 s28, s29
	s_and_b32 s2, exec_lo, s2
	s_delay_alu instid0(SALU_CYCLE_1)
	s_or_b32 s27, s2, s27
	s_wait_loadcnt_dscnt 0x0
	v_fmac_f64_e32 v[4:5], v[18:19], v[20:21]
	s_and_not1_b32 exec_lo, exec_lo, s27
	s_cbranch_execnz .LBB246_5
; %bb.6:                                ;   in Loop: Header=BB246_3 Depth=1
	s_or_b32 exec_lo, exec_lo, s27
.LBB246_7:                              ;   in Loop: Header=BB246_3 Depth=1
	s_delay_alu instid0(SALU_CYCLE_1)
	s_or_b32 exec_lo, exec_lo, s15
	s_and_saveexec_b32 s2, vcc_lo
; %bb.8:                                ;   in Loop: Header=BB246_3 Depth=1
	ds_store_b64 v1, v[2:3]
; %bb.9:                                ;   in Loop: Header=BB246_3 Depth=1
	s_or_b32 exec_lo, exec_lo, s2
	ds_bpermute_b32 v6, v10, v4
	ds_bpermute_b32 v7, v10, v5
	s_wait_dscnt 0x0
	s_barrier_signal -1
	s_barrier_wait -1
	v_add_f64_e32 v[4:5], v[4:5], v[6:7]
	ds_bpermute_b32 v6, v11, v4
	ds_bpermute_b32 v7, v11, v5
	s_wait_dscnt 0x0
	v_add_f64_e32 v[4:5], v[4:5], v[6:7]
	ds_bpermute_b32 v6, v12, v4
	ds_bpermute_b32 v7, v12, v5
	s_wait_dscnt 0x0
	;; [unrolled: 4-line block ×3, first 2 shown]
	v_add_f64_e32 v[4:5], v[4:5], v[6:7]
	ds_bpermute_b32 v6, v14, v4
	ds_bpermute_b32 v7, v14, v5
	s_and_saveexec_b32 s2, s0
	s_cbranch_execz .LBB246_11
; %bb.10:                               ;   in Loop: Header=BB246_3 Depth=1
	s_wait_dscnt 0x0
	v_add_f64_e32 v[4:5], v[4:5], v[6:7]
	ds_store_b64 v15, v[4:5]
.LBB246_11:                             ;   in Loop: Header=BB246_3 Depth=1
	s_or_b32 exec_lo, exec_lo, s2
	v_mov_b64_e32 v[4:5], 0
	s_wait_dscnt 0x0
	s_barrier_signal -1
	s_barrier_wait -1
	s_and_saveexec_b32 s2, vcc_lo
	s_cbranch_execnz .LBB246_14
; %bb.12:                               ;   in Loop: Header=BB246_3 Depth=1
	s_or_b32 exec_lo, exec_lo, s2
	s_and_saveexec_b32 s2, vcc_lo
	s_cbranch_execnz .LBB246_15
.LBB246_13:                             ;   in Loop: Header=BB246_3 Depth=1
	s_or_b32 exec_lo, exec_lo, s2
	s_and_saveexec_b32 s2, s1
	s_cbranch_execz .LBB246_2
	s_branch .LBB246_16
.LBB246_14:                             ;   in Loop: Header=BB246_3 Depth=1
	ds_load_b64 v[4:5], v1
	s_or_b32 exec_lo, exec_lo, s2
	s_and_saveexec_b32 s2, vcc_lo
	s_cbranch_execz .LBB246_13
.LBB246_15:                             ;   in Loop: Header=BB246_3 Depth=1
	s_wait_dscnt 0x0
	ds_bpermute_b32 v6, v10, v4
	ds_bpermute_b32 v7, v10, v5
	s_wait_dscnt 0x0
	v_add_f64_e32 v[4:5], v[4:5], v[6:7]
	ds_bpermute_b32 v6, v11, v4
	ds_bpermute_b32 v7, v11, v5
	s_wait_dscnt 0x0
	v_add_f64_e32 v[4:5], v[4:5], v[6:7]
	;; [unrolled: 4-line block ×5, first 2 shown]
	s_or_b32 exec_lo, exec_lo, s2
	s_and_saveexec_b32 s2, s1
	s_cbranch_execz .LBB246_2
.LBB246_16:                             ;   in Loop: Header=BB246_3 Depth=1
	s_wait_dscnt 0x0
	s_delay_alu instid0(VALU_DEP_1) | instskip(SKIP_1) | instid1(SALU_CYCLE_1)
	v_cvt_f32_f64_e32 v4, v[4:5]
	s_lshl_b64 s[28:29], s[16:17], 2
	s_add_nc_u64 s[28:29], s[12:13], s[28:29]
	global_store_b32 v16, v4, s[28:29]
	s_branch .LBB246_2
.LBB246_17:
	s_endpgm
	.section	.rodata,"a",@progbits
	.p2align	6, 0x0
	.amdhsa_kernel _ZL18rocblas_dot_kernelIiLb1ELi1024ELi32ELb1EfPKPKddEviT5_lT_lS4_lS5_liPT6_PT4_
		.amdhsa_group_segment_fixed_size 256
		.amdhsa_private_segment_fixed_size 0
		.amdhsa_kernarg_size 352
		.amdhsa_user_sgpr_count 2
		.amdhsa_user_sgpr_dispatch_ptr 0
		.amdhsa_user_sgpr_queue_ptr 0
		.amdhsa_user_sgpr_kernarg_segment_ptr 1
		.amdhsa_user_sgpr_dispatch_id 0
		.amdhsa_user_sgpr_kernarg_preload_length 0
		.amdhsa_user_sgpr_kernarg_preload_offset 0
		.amdhsa_user_sgpr_private_segment_size 0
		.amdhsa_wavefront_size32 1
		.amdhsa_uses_dynamic_stack 0
		.amdhsa_enable_private_segment 0
		.amdhsa_system_sgpr_workgroup_id_x 1
		.amdhsa_system_sgpr_workgroup_id_y 0
		.amdhsa_system_sgpr_workgroup_id_z 1
		.amdhsa_system_sgpr_workgroup_info 0
		.amdhsa_system_vgpr_workitem_id 0
		.amdhsa_next_free_vgpr 22
		.amdhsa_next_free_sgpr 38
		.amdhsa_named_barrier_count 0
		.amdhsa_reserve_vcc 1
		.amdhsa_float_round_mode_32 0
		.amdhsa_float_round_mode_16_64 0
		.amdhsa_float_denorm_mode_32 3
		.amdhsa_float_denorm_mode_16_64 3
		.amdhsa_fp16_overflow 0
		.amdhsa_memory_ordered 1
		.amdhsa_forward_progress 1
		.amdhsa_inst_pref_size 9
		.amdhsa_round_robin_scheduling 0
		.amdhsa_exception_fp_ieee_invalid_op 0
		.amdhsa_exception_fp_denorm_src 0
		.amdhsa_exception_fp_ieee_div_zero 0
		.amdhsa_exception_fp_ieee_overflow 0
		.amdhsa_exception_fp_ieee_underflow 0
		.amdhsa_exception_fp_ieee_inexact 0
		.amdhsa_exception_int_div_zero 0
	.end_amdhsa_kernel
	.section	.text._ZL18rocblas_dot_kernelIiLb1ELi1024ELi32ELb1EfPKPKddEviT5_lT_lS4_lS5_liPT6_PT4_,"axG",@progbits,_ZL18rocblas_dot_kernelIiLb1ELi1024ELi32ELb1EfPKPKddEviT5_lT_lS4_lS5_liPT6_PT4_,comdat
.Lfunc_end246:
	.size	_ZL18rocblas_dot_kernelIiLb1ELi1024ELi32ELb1EfPKPKddEviT5_lT_lS4_lS5_liPT6_PT4_, .Lfunc_end246-_ZL18rocblas_dot_kernelIiLb1ELi1024ELi32ELb1EfPKPKddEviT5_lT_lS4_lS5_liPT6_PT4_
                                        ; -- End function
	.set _ZL18rocblas_dot_kernelIiLb1ELi1024ELi32ELb1EfPKPKddEviT5_lT_lS4_lS5_liPT6_PT4_.num_vgpr, 22
	.set _ZL18rocblas_dot_kernelIiLb1ELi1024ELi32ELb1EfPKPKddEviT5_lT_lS4_lS5_liPT6_PT4_.num_agpr, 0
	.set _ZL18rocblas_dot_kernelIiLb1ELi1024ELi32ELb1EfPKPKddEviT5_lT_lS4_lS5_liPT6_PT4_.numbered_sgpr, 38
	.set _ZL18rocblas_dot_kernelIiLb1ELi1024ELi32ELb1EfPKPKddEviT5_lT_lS4_lS5_liPT6_PT4_.num_named_barrier, 0
	.set _ZL18rocblas_dot_kernelIiLb1ELi1024ELi32ELb1EfPKPKddEviT5_lT_lS4_lS5_liPT6_PT4_.private_seg_size, 0
	.set _ZL18rocblas_dot_kernelIiLb1ELi1024ELi32ELb1EfPKPKddEviT5_lT_lS4_lS5_liPT6_PT4_.uses_vcc, 1
	.set _ZL18rocblas_dot_kernelIiLb1ELi1024ELi32ELb1EfPKPKddEviT5_lT_lS4_lS5_liPT6_PT4_.uses_flat_scratch, 0
	.set _ZL18rocblas_dot_kernelIiLb1ELi1024ELi32ELb1EfPKPKddEviT5_lT_lS4_lS5_liPT6_PT4_.has_dyn_sized_stack, 0
	.set _ZL18rocblas_dot_kernelIiLb1ELi1024ELi32ELb1EfPKPKddEviT5_lT_lS4_lS5_liPT6_PT4_.has_recursion, 0
	.set _ZL18rocblas_dot_kernelIiLb1ELi1024ELi32ELb1EfPKPKddEviT5_lT_lS4_lS5_liPT6_PT4_.has_indirect_call, 0
	.section	.AMDGPU.csdata,"",@progbits
; Kernel info:
; codeLenInByte = 1036
; TotalNumSgprs: 40
; NumVgprs: 22
; ScratchSize: 0
; MemoryBound: 0
; FloatMode: 240
; IeeeMode: 1
; LDSByteSize: 256 bytes/workgroup (compile time only)
; SGPRBlocks: 0
; VGPRBlocks: 1
; NumSGPRsForWavesPerEU: 40
; NumVGPRsForWavesPerEU: 22
; NamedBarCnt: 0
; Occupancy: 16
; WaveLimiterHint : 0
; COMPUTE_PGM_RSRC2:SCRATCH_EN: 0
; COMPUTE_PGM_RSRC2:USER_SGPR: 2
; COMPUTE_PGM_RSRC2:TRAP_HANDLER: 0
; COMPUTE_PGM_RSRC2:TGID_X_EN: 1
; COMPUTE_PGM_RSRC2:TGID_Y_EN: 0
; COMPUTE_PGM_RSRC2:TGID_Z_EN: 1
; COMPUTE_PGM_RSRC2:TIDIG_COMP_CNT: 0
	.section	.text._ZL24rocblas_dot_kernel_magsqIiLb1ELi1024ELi32ELb1EfPKPKddEviT5_lT_liPT6_PT4_,"axG",@progbits,_ZL24rocblas_dot_kernel_magsqIiLb1ELi1024ELi32ELb1EfPKPKddEviT5_lT_liPT6_PT4_,comdat
	.globl	_ZL24rocblas_dot_kernel_magsqIiLb1ELi1024ELi32ELb1EfPKPKddEviT5_lT_liPT6_PT4_ ; -- Begin function _ZL24rocblas_dot_kernel_magsqIiLb1ELi1024ELi32ELb1EfPKPKddEviT5_lT_liPT6_PT4_
	.p2align	8
	.type	_ZL24rocblas_dot_kernel_magsqIiLb1ELi1024ELi32ELb1EfPKPKddEviT5_lT_liPT6_PT4_,@function
_ZL24rocblas_dot_kernel_magsqIiLb1ELi1024ELi32ELb1EfPKPKddEviT5_lT_liPT6_PT4_: ; @_ZL24rocblas_dot_kernel_magsqIiLb1ELi1024ELi32ELb1EfPKPKddEviT5_lT_liPT6_PT4_
; %bb.0:
	s_load_b32 s3, s[0:1], 0x28
	s_bfe_u32 s2, ttmp6, 0x40014
	s_lshr_b32 s4, ttmp7, 16
	s_add_co_i32 s2, s2, 1
	s_bfe_u32 s5, ttmp6, 0x40008
	s_mul_i32 s2, s4, s2
	s_getreg_b32 s6, hwreg(HW_REG_IB_STS2, 6, 4)
	s_add_co_i32 s5, s5, s2
	s_cmp_eq_u32 s6, 0
	s_mov_b32 s13, 0
	s_cselect_b32 s12, s4, s5
	s_wait_kmcnt 0x0
	s_cmp_ge_u32 s12, s3
	s_cbranch_scc1 .LBB247_17
; %bb.1:
	v_mbcnt_lo_u32_b32 v3, -1, 0
	s_clause 0x3
	s_load_b32 s14, s[0:1], 0x18
	s_load_b96 s[8:10], s[0:1], 0x38
	s_load_b128 s[4:7], s[0:1], 0x8
	s_load_b32 s18, s[0:1], 0x0
	v_and_b32_e32 v2, 31, v0
	s_wait_xcnt 0x0
	v_cmp_eq_u32_e64 s1, 0, v0
	v_cmp_gt_u32_e64 s0, 24, v3
	v_lshl_or_b32 v8, v3, 2, 64
	v_mov_b32_e32 v14, 0
	v_cmp_gt_u32_e32 vcc_lo, 32, v0
	s_delay_alu instid0(VALU_DEP_4) | instskip(SKIP_1) | instid1(VALU_DEP_2)
	v_cndmask_b32_e64 v4, 0, 8, s0
	v_cmp_gt_u32_e64 s0, 28, v3
	v_add_lshl_u32 v9, v4, v3, 2
	s_delay_alu instid0(VALU_DEP_2)
	v_cndmask_b32_e64 v5, 0, 4, s0
	v_cmp_gt_u32_e64 s0, 30, v3
	v_lshrrev_b32_e32 v4, 2, v0
	s_wait_kmcnt 0x0
	s_ashr_i32 s15, s14, 31
	s_lshl_b32 s10, s10, 10
	v_cndmask_b32_e64 v6, 0, 2, s0
	v_cmp_ne_u32_e64 s0, 31, v3
	v_add_lshl_u32 v10, v5, v3, 2
	s_ashr_i32 s11, s10, 31
	v_and_b32_e32 v13, 0xf8, v4
	v_add_lshl_u32 v11, v6, v3, 2
	v_add_co_ci_u32_e64 v7, null, 0, v3, s0
	v_lshlrev_b32_e32 v1, 3, v2
	v_cmp_eq_u32_e64 s0, 0, v2
	v_mov_b64_e32 v[2:3], 0
	s_delay_alu instid0(VALU_DEP_4)
	v_lshlrev_b32_e32 v12, 2, v7
	s_mul_u64 s[16:17], s[14:15], s[10:11]
	s_lshl_b64 s[6:7], s[6:7], 3
	s_lshl_b64 s[14:15], s[14:15], 3
	;; [unrolled: 1-line block ×3, first 2 shown]
	s_branch .LBB247_3
.LBB247_2:                              ;   in Loop: Header=BB247_3 Depth=1
	s_wait_xcnt 0x0
	s_or_b32 exec_lo, exec_lo, s2
	s_add_co_i32 s12, s12, 0x10000
	s_delay_alu instid0(SALU_CYCLE_1)
	s_cmp_lt_u32 s12, s3
	s_cbranch_scc0 .LBB247_17
.LBB247_3:                              ; =>This Loop Header: Depth=1
                                        ;     Child Loop BB247_5 Depth 2
	s_wait_dscnt 0x0
	v_mov_b64_e32 v[4:5], 0
	s_mov_b32 s11, exec_lo
	v_cmpx_gt_i32_e64 s18, v0
	s_cbranch_execz .LBB247_7
; %bb.4:                                ;   in Loop: Header=BB247_3 Depth=1
	s_lshl_b64 s[20:21], s[12:13], 3
	v_ashrrev_i32_e32 v5, 31, v0
	s_add_nc_u64 s[20:21], s[4:5], s[20:21]
	s_mov_b32 s19, 0
	s_load_b64 s[20:21], s[20:21], 0x0
	s_wait_kmcnt 0x0
	s_wait_xcnt 0x0
	s_add_nc_u64 s[20:21], s[20:21], s[6:7]
	s_delay_alu instid0(SALU_CYCLE_1) | instskip(SKIP_1) | instid1(VALU_DEP_1)
	v_mad_nc_u64_u32 v[6:7], s14, v0, s[20:21]
	s_mov_b32 s20, 0
	v_mad_u32 v4, s15, v0, v7
	s_delay_alu instid0(VALU_DEP_1)
	v_mad_u32 v7, s14, v5, v4
	v_mov_b64_e32 v[4:5], 0
.LBB247_5:                              ;   Parent Loop BB247_3 Depth=1
                                        ; =>  This Inner Loop Header: Depth=2
	flat_load_b64 v[16:17], v[6:7]
	v_add_nc_u32_e32 v0, s10, v0
	s_add_co_i32 s21, s20, 1
	s_cmp_gt_u32 s20, 30
	s_wait_xcnt 0x0
	v_add_nc_u64_e32 v[6:7], s[16:17], v[6:7]
	s_cselect_b32 s20, -1, 0
	v_cmp_le_i32_e64 s2, s18, v0
	s_or_b32 s2, s20, s2
	s_mov_b32 s20, s21
	s_and_b32 s2, exec_lo, s2
	s_delay_alu instid0(SALU_CYCLE_1)
	s_or_b32 s19, s2, s19
	s_wait_loadcnt_dscnt 0x0
	v_fmac_f64_e32 v[4:5], v[16:17], v[16:17]
	s_and_not1_b32 exec_lo, exec_lo, s19
	s_cbranch_execnz .LBB247_5
; %bb.6:                                ;   in Loop: Header=BB247_3 Depth=1
	s_or_b32 exec_lo, exec_lo, s19
.LBB247_7:                              ;   in Loop: Header=BB247_3 Depth=1
	s_delay_alu instid0(SALU_CYCLE_1)
	s_or_b32 exec_lo, exec_lo, s11
	s_and_saveexec_b32 s2, vcc_lo
; %bb.8:                                ;   in Loop: Header=BB247_3 Depth=1
	ds_store_b64 v1, v[2:3]
; %bb.9:                                ;   in Loop: Header=BB247_3 Depth=1
	s_or_b32 exec_lo, exec_lo, s2
	ds_bpermute_b32 v6, v8, v4
	ds_bpermute_b32 v7, v8, v5
	s_wait_dscnt 0x0
	s_barrier_signal -1
	s_barrier_wait -1
	v_add_f64_e32 v[4:5], v[4:5], v[6:7]
	ds_bpermute_b32 v6, v9, v4
	ds_bpermute_b32 v7, v9, v5
	s_wait_dscnt 0x0
	v_add_f64_e32 v[4:5], v[4:5], v[6:7]
	ds_bpermute_b32 v6, v10, v4
	ds_bpermute_b32 v7, v10, v5
	s_wait_dscnt 0x0
	;; [unrolled: 4-line block ×3, first 2 shown]
	v_add_f64_e32 v[4:5], v[4:5], v[6:7]
	ds_bpermute_b32 v6, v12, v4
	ds_bpermute_b32 v7, v12, v5
	s_and_saveexec_b32 s2, s0
	s_cbranch_execz .LBB247_11
; %bb.10:                               ;   in Loop: Header=BB247_3 Depth=1
	s_wait_dscnt 0x0
	v_add_f64_e32 v[4:5], v[4:5], v[6:7]
	ds_store_b64 v13, v[4:5]
.LBB247_11:                             ;   in Loop: Header=BB247_3 Depth=1
	s_or_b32 exec_lo, exec_lo, s2
	v_mov_b64_e32 v[4:5], 0
	s_wait_dscnt 0x0
	s_barrier_signal -1
	s_barrier_wait -1
	s_and_saveexec_b32 s2, vcc_lo
	s_cbranch_execnz .LBB247_14
; %bb.12:                               ;   in Loop: Header=BB247_3 Depth=1
	s_or_b32 exec_lo, exec_lo, s2
	s_and_saveexec_b32 s2, vcc_lo
	s_cbranch_execnz .LBB247_15
.LBB247_13:                             ;   in Loop: Header=BB247_3 Depth=1
	s_or_b32 exec_lo, exec_lo, s2
	s_and_saveexec_b32 s2, s1
	s_cbranch_execz .LBB247_2
	s_branch .LBB247_16
.LBB247_14:                             ;   in Loop: Header=BB247_3 Depth=1
	ds_load_b64 v[4:5], v1
	s_or_b32 exec_lo, exec_lo, s2
	s_and_saveexec_b32 s2, vcc_lo
	s_cbranch_execz .LBB247_13
.LBB247_15:                             ;   in Loop: Header=BB247_3 Depth=1
	s_wait_dscnt 0x0
	ds_bpermute_b32 v6, v8, v4
	ds_bpermute_b32 v7, v8, v5
	s_wait_dscnt 0x0
	v_add_f64_e32 v[4:5], v[4:5], v[6:7]
	ds_bpermute_b32 v6, v9, v4
	ds_bpermute_b32 v7, v9, v5
	s_wait_dscnt 0x0
	v_add_f64_e32 v[4:5], v[4:5], v[6:7]
	ds_bpermute_b32 v6, v10, v4
	ds_bpermute_b32 v7, v10, v5
	s_wait_dscnt 0x0
	v_add_f64_e32 v[4:5], v[4:5], v[6:7]
	ds_bpermute_b32 v6, v11, v4
	ds_bpermute_b32 v7, v11, v5
	s_wait_dscnt 0x0
	v_add_f64_e32 v[4:5], v[4:5], v[6:7]
	ds_bpermute_b32 v6, v12, v4
	ds_bpermute_b32 v7, v12, v5
	s_wait_dscnt 0x0
	v_add_f64_e32 v[4:5], v[4:5], v[6:7]
	s_or_b32 exec_lo, exec_lo, s2
	s_and_saveexec_b32 s2, s1
	s_cbranch_execz .LBB247_2
.LBB247_16:                             ;   in Loop: Header=BB247_3 Depth=1
	s_wait_dscnt 0x0
	s_delay_alu instid0(VALU_DEP_1) | instskip(SKIP_1) | instid1(SALU_CYCLE_1)
	v_cvt_f32_f64_e32 v4, v[4:5]
	s_lshl_b64 s[20:21], s[12:13], 2
	s_add_nc_u64 s[20:21], s[8:9], s[20:21]
	global_store_b32 v14, v4, s[20:21]
	s_branch .LBB247_2
.LBB247_17:
	s_endpgm
	.section	.rodata,"a",@progbits
	.p2align	6, 0x0
	.amdhsa_kernel _ZL24rocblas_dot_kernel_magsqIiLb1ELi1024ELi32ELb1EfPKPKddEviT5_lT_liPT6_PT4_
		.amdhsa_group_segment_fixed_size 256
		.amdhsa_private_segment_fixed_size 0
		.amdhsa_kernarg_size 320
		.amdhsa_user_sgpr_count 2
		.amdhsa_user_sgpr_dispatch_ptr 0
		.amdhsa_user_sgpr_queue_ptr 0
		.amdhsa_user_sgpr_kernarg_segment_ptr 1
		.amdhsa_user_sgpr_dispatch_id 0
		.amdhsa_user_sgpr_kernarg_preload_length 0
		.amdhsa_user_sgpr_kernarg_preload_offset 0
		.amdhsa_user_sgpr_private_segment_size 0
		.amdhsa_wavefront_size32 1
		.amdhsa_uses_dynamic_stack 0
		.amdhsa_enable_private_segment 0
		.amdhsa_system_sgpr_workgroup_id_x 1
		.amdhsa_system_sgpr_workgroup_id_y 0
		.amdhsa_system_sgpr_workgroup_id_z 1
		.amdhsa_system_sgpr_workgroup_info 0
		.amdhsa_system_vgpr_workitem_id 0
		.amdhsa_next_free_vgpr 18
		.amdhsa_next_free_sgpr 22
		.amdhsa_named_barrier_count 0
		.amdhsa_reserve_vcc 1
		.amdhsa_float_round_mode_32 0
		.amdhsa_float_round_mode_16_64 0
		.amdhsa_float_denorm_mode_32 3
		.amdhsa_float_denorm_mode_16_64 3
		.amdhsa_fp16_overflow 0
		.amdhsa_memory_ordered 1
		.amdhsa_forward_progress 1
		.amdhsa_inst_pref_size 8
		.amdhsa_round_robin_scheduling 0
		.amdhsa_exception_fp_ieee_invalid_op 0
		.amdhsa_exception_fp_denorm_src 0
		.amdhsa_exception_fp_ieee_div_zero 0
		.amdhsa_exception_fp_ieee_overflow 0
		.amdhsa_exception_fp_ieee_underflow 0
		.amdhsa_exception_fp_ieee_inexact 0
		.amdhsa_exception_int_div_zero 0
	.end_amdhsa_kernel
	.section	.text._ZL24rocblas_dot_kernel_magsqIiLb1ELi1024ELi32ELb1EfPKPKddEviT5_lT_liPT6_PT4_,"axG",@progbits,_ZL24rocblas_dot_kernel_magsqIiLb1ELi1024ELi32ELb1EfPKPKddEviT5_lT_liPT6_PT4_,comdat
.Lfunc_end247:
	.size	_ZL24rocblas_dot_kernel_magsqIiLb1ELi1024ELi32ELb1EfPKPKddEviT5_lT_liPT6_PT4_, .Lfunc_end247-_ZL24rocblas_dot_kernel_magsqIiLb1ELi1024ELi32ELb1EfPKPKddEviT5_lT_liPT6_PT4_
                                        ; -- End function
	.set _ZL24rocblas_dot_kernel_magsqIiLb1ELi1024ELi32ELb1EfPKPKddEviT5_lT_liPT6_PT4_.num_vgpr, 18
	.set _ZL24rocblas_dot_kernel_magsqIiLb1ELi1024ELi32ELb1EfPKPKddEviT5_lT_liPT6_PT4_.num_agpr, 0
	.set _ZL24rocblas_dot_kernel_magsqIiLb1ELi1024ELi32ELb1EfPKPKddEviT5_lT_liPT6_PT4_.numbered_sgpr, 22
	.set _ZL24rocblas_dot_kernel_magsqIiLb1ELi1024ELi32ELb1EfPKPKddEviT5_lT_liPT6_PT4_.num_named_barrier, 0
	.set _ZL24rocblas_dot_kernel_magsqIiLb1ELi1024ELi32ELb1EfPKPKddEviT5_lT_liPT6_PT4_.private_seg_size, 0
	.set _ZL24rocblas_dot_kernel_magsqIiLb1ELi1024ELi32ELb1EfPKPKddEviT5_lT_liPT6_PT4_.uses_vcc, 1
	.set _ZL24rocblas_dot_kernel_magsqIiLb1ELi1024ELi32ELb1EfPKPKddEviT5_lT_liPT6_PT4_.uses_flat_scratch, 0
	.set _ZL24rocblas_dot_kernel_magsqIiLb1ELi1024ELi32ELb1EfPKPKddEviT5_lT_liPT6_PT4_.has_dyn_sized_stack, 0
	.set _ZL24rocblas_dot_kernel_magsqIiLb1ELi1024ELi32ELb1EfPKPKddEviT5_lT_liPT6_PT4_.has_recursion, 0
	.set _ZL24rocblas_dot_kernel_magsqIiLb1ELi1024ELi32ELb1EfPKPKddEviT5_lT_liPT6_PT4_.has_indirect_call, 0
	.section	.AMDGPU.csdata,"",@progbits
; Kernel info:
; codeLenInByte = 944
; TotalNumSgprs: 24
; NumVgprs: 18
; ScratchSize: 0
; MemoryBound: 0
; FloatMode: 240
; IeeeMode: 1
; LDSByteSize: 256 bytes/workgroup (compile time only)
; SGPRBlocks: 0
; VGPRBlocks: 1
; NumSGPRsForWavesPerEU: 24
; NumVGPRsForWavesPerEU: 18
; NamedBarCnt: 0
; Occupancy: 16
; WaveLimiterHint : 0
; COMPUTE_PGM_RSRC2:SCRATCH_EN: 0
; COMPUTE_PGM_RSRC2:USER_SGPR: 2
; COMPUTE_PGM_RSRC2:TRAP_HANDLER: 0
; COMPUTE_PGM_RSRC2:TGID_X_EN: 1
; COMPUTE_PGM_RSRC2:TGID_Y_EN: 0
; COMPUTE_PGM_RSRC2:TGID_Z_EN: 1
; COMPUTE_PGM_RSRC2:TIDIG_COMP_CNT: 0
	.section	.text._ZL38rocblas_dot_kernel_gfx942_float_doubleIiLi1024EfPKPKddEviT2_lT_lS4_lS5_lPT3_PT1_,"axG",@progbits,_ZL38rocblas_dot_kernel_gfx942_float_doubleIiLi1024EfPKPKddEviT2_lT_lS4_lS5_lPT3_PT1_,comdat
	.globl	_ZL38rocblas_dot_kernel_gfx942_float_doubleIiLi1024EfPKPKddEviT2_lT_lS4_lS5_lPT3_PT1_ ; -- Begin function _ZL38rocblas_dot_kernel_gfx942_float_doubleIiLi1024EfPKPKddEviT2_lT_lS4_lS5_lPT3_PT1_
	.p2align	8
	.type	_ZL38rocblas_dot_kernel_gfx942_float_doubleIiLi1024EfPKPKddEviT2_lT_lS4_lS5_lPT3_PT1_,@function
_ZL38rocblas_dot_kernel_gfx942_float_doubleIiLi1024EfPKPKddEviT2_lT_lS4_lS5_lPT3_PT1_: ; @_ZL38rocblas_dot_kernel_gfx942_float_doubleIiLi1024EfPKPKddEviT2_lT_lS4_lS5_lPT3_PT1_
; %bb.0:
	s_endpgm
	.section	.rodata,"a",@progbits
	.p2align	6, 0x0
	.amdhsa_kernel _ZL38rocblas_dot_kernel_gfx942_float_doubleIiLi1024EfPKPKddEviT2_lT_lS4_lS5_lPT3_PT1_
		.amdhsa_group_segment_fixed_size 0
		.amdhsa_private_segment_fixed_size 0
		.amdhsa_kernarg_size 88
		.amdhsa_user_sgpr_count 2
		.amdhsa_user_sgpr_dispatch_ptr 0
		.amdhsa_user_sgpr_queue_ptr 0
		.amdhsa_user_sgpr_kernarg_segment_ptr 1
		.amdhsa_user_sgpr_dispatch_id 0
		.amdhsa_user_sgpr_kernarg_preload_length 0
		.amdhsa_user_sgpr_kernarg_preload_offset 0
		.amdhsa_user_sgpr_private_segment_size 0
		.amdhsa_wavefront_size32 1
		.amdhsa_uses_dynamic_stack 0
		.amdhsa_enable_private_segment 0
		.amdhsa_system_sgpr_workgroup_id_x 1
		.amdhsa_system_sgpr_workgroup_id_y 0
		.amdhsa_system_sgpr_workgroup_id_z 0
		.amdhsa_system_sgpr_workgroup_info 0
		.amdhsa_system_vgpr_workitem_id 0
		.amdhsa_next_free_vgpr 1
		.amdhsa_next_free_sgpr 1
		.amdhsa_named_barrier_count 0
		.amdhsa_reserve_vcc 0
		.amdhsa_float_round_mode_32 0
		.amdhsa_float_round_mode_16_64 0
		.amdhsa_float_denorm_mode_32 3
		.amdhsa_float_denorm_mode_16_64 3
		.amdhsa_fp16_overflow 0
		.amdhsa_memory_ordered 1
		.amdhsa_forward_progress 1
		.amdhsa_inst_pref_size 1
		.amdhsa_round_robin_scheduling 0
		.amdhsa_exception_fp_ieee_invalid_op 0
		.amdhsa_exception_fp_denorm_src 0
		.amdhsa_exception_fp_ieee_div_zero 0
		.amdhsa_exception_fp_ieee_overflow 0
		.amdhsa_exception_fp_ieee_underflow 0
		.amdhsa_exception_fp_ieee_inexact 0
		.amdhsa_exception_int_div_zero 0
	.end_amdhsa_kernel
	.section	.text._ZL38rocblas_dot_kernel_gfx942_float_doubleIiLi1024EfPKPKddEviT2_lT_lS4_lS5_lPT3_PT1_,"axG",@progbits,_ZL38rocblas_dot_kernel_gfx942_float_doubleIiLi1024EfPKPKddEviT2_lT_lS4_lS5_lPT3_PT1_,comdat
.Lfunc_end248:
	.size	_ZL38rocblas_dot_kernel_gfx942_float_doubleIiLi1024EfPKPKddEviT2_lT_lS4_lS5_lPT3_PT1_, .Lfunc_end248-_ZL38rocblas_dot_kernel_gfx942_float_doubleIiLi1024EfPKPKddEviT2_lT_lS4_lS5_lPT3_PT1_
                                        ; -- End function
	.set _ZL38rocblas_dot_kernel_gfx942_float_doubleIiLi1024EfPKPKddEviT2_lT_lS4_lS5_lPT3_PT1_.num_vgpr, 0
	.set _ZL38rocblas_dot_kernel_gfx942_float_doubleIiLi1024EfPKPKddEviT2_lT_lS4_lS5_lPT3_PT1_.num_agpr, 0
	.set _ZL38rocblas_dot_kernel_gfx942_float_doubleIiLi1024EfPKPKddEviT2_lT_lS4_lS5_lPT3_PT1_.numbered_sgpr, 0
	.set _ZL38rocblas_dot_kernel_gfx942_float_doubleIiLi1024EfPKPKddEviT2_lT_lS4_lS5_lPT3_PT1_.num_named_barrier, 0
	.set _ZL38rocblas_dot_kernel_gfx942_float_doubleIiLi1024EfPKPKddEviT2_lT_lS4_lS5_lPT3_PT1_.private_seg_size, 0
	.set _ZL38rocblas_dot_kernel_gfx942_float_doubleIiLi1024EfPKPKddEviT2_lT_lS4_lS5_lPT3_PT1_.uses_vcc, 0
	.set _ZL38rocblas_dot_kernel_gfx942_float_doubleIiLi1024EfPKPKddEviT2_lT_lS4_lS5_lPT3_PT1_.uses_flat_scratch, 0
	.set _ZL38rocblas_dot_kernel_gfx942_float_doubleIiLi1024EfPKPKddEviT2_lT_lS4_lS5_lPT3_PT1_.has_dyn_sized_stack, 0
	.set _ZL38rocblas_dot_kernel_gfx942_float_doubleIiLi1024EfPKPKddEviT2_lT_lS4_lS5_lPT3_PT1_.has_recursion, 0
	.set _ZL38rocblas_dot_kernel_gfx942_float_doubleIiLi1024EfPKPKddEviT2_lT_lS4_lS5_lPT3_PT1_.has_indirect_call, 0
	.section	.AMDGPU.csdata,"",@progbits
; Kernel info:
; codeLenInByte = 4
; TotalNumSgprs: 0
; NumVgprs: 0
; ScratchSize: 0
; MemoryBound: 0
; FloatMode: 240
; IeeeMode: 1
; LDSByteSize: 0 bytes/workgroup (compile time only)
; SGPRBlocks: 0
; VGPRBlocks: 0
; NumSGPRsForWavesPerEU: 1
; NumVGPRsForWavesPerEU: 1
; NamedBarCnt: 0
; Occupancy: 16
; WaveLimiterHint : 0
; COMPUTE_PGM_RSRC2:SCRATCH_EN: 0
; COMPUTE_PGM_RSRC2:USER_SGPR: 2
; COMPUTE_PGM_RSRC2:TRAP_HANDLER: 0
; COMPUTE_PGM_RSRC2:TGID_X_EN: 1
; COMPUTE_PGM_RSRC2:TGID_Y_EN: 0
; COMPUTE_PGM_RSRC2:TGID_Z_EN: 0
; COMPUTE_PGM_RSRC2:TIDIG_COMP_CNT: 0
	.section	.text._ZL23rocblas_dot_kernel_inc1ILb0ELi512ELi4ELb1EfPKPKddEviT4_llS4_lliPT5_PT3_,"axG",@progbits,_ZL23rocblas_dot_kernel_inc1ILb0ELi512ELi4ELb1EfPKPKddEviT4_llS4_lliPT5_PT3_,comdat
	.globl	_ZL23rocblas_dot_kernel_inc1ILb0ELi512ELi4ELb1EfPKPKddEviT4_llS4_lliPT5_PT3_ ; -- Begin function _ZL23rocblas_dot_kernel_inc1ILb0ELi512ELi4ELb1EfPKPKddEviT4_llS4_lliPT5_PT3_
	.p2align	8
	.type	_ZL23rocblas_dot_kernel_inc1ILb0ELi512ELi4ELb1EfPKPKddEviT4_llS4_lliPT5_PT3_,@function
_ZL23rocblas_dot_kernel_inc1ILb0ELi512ELi4ELb1EfPKPKddEviT4_llS4_lliPT5_PT3_: ; @_ZL23rocblas_dot_kernel_inc1ILb0ELi512ELi4ELb1EfPKPKddEviT4_llS4_lliPT5_PT3_
; %bb.0:
	s_load_b32 s28, s[0:1], 0x38
	s_bfe_u32 s2, ttmp6, 0x40014
	s_lshr_b32 s3, ttmp7, 16
	s_add_co_i32 s2, s2, 1
	s_bfe_u32 s5, ttmp6, 0x40008
	s_mul_i32 s4, s3, s2
	s_getreg_b32 s2, hwreg(HW_REG_IB_STS2, 6, 4)
	s_add_co_i32 s5, s5, s4
	s_cmp_eq_u32 s2, 0
	s_mov_b32 s17, 0
	s_cselect_b32 s16, s3, s5
	s_wait_kmcnt 0x0
	s_cmp_ge_u32 s16, s28
	s_cbranch_scc1 .LBB249_20
; %bb.1:
	v_mbcnt_lo_u32_b32 v3, -1, 0
	s_clause 0x4
	s_load_b32 s18, s[0:1], 0x50
	s_load_b128 s[4:7], s[0:1], 0x40
	s_load_b128 s[8:11], s[0:1], 0x20
	;; [unrolled: 1-line block ×3, first 2 shown]
	s_load_b32 s29, s[0:1], 0x0
	s_bfe_u32 s3, ttmp6, 0x4000c
	s_wait_xcnt 0x0
	s_and_b32 s1, ttmp6, 15
	s_add_co_i32 s3, s3, 1
	v_cmp_gt_u32_e32 vcc_lo, 24, v3
	s_mul_i32 s3, ttmp9, s3
	v_and_b32_e32 v1, 31, v0
	s_add_co_i32 s1, s1, s3
	s_cmp_eq_u32 s2, 0
	v_cndmask_b32_e64 v4, 0, 8, vcc_lo
	v_cmp_gt_u32_e32 vcc_lo, 28, v3
	s_cselect_b32 s22, ttmp9, s1
	v_cmp_gt_u32_e64 s0, 32, v0
	v_lshl_or_b32 v2, s22, 9, v0
	v_add_lshl_u32 v10, v4, v3, 2
	v_cndmask_b32_e64 v5, 0, 4, vcc_lo
	v_cmp_gt_u32_e32 vcc_lo, 30, v3
	v_lshrrev_b32_e32 v4, 2, v0
	s_wait_kmcnt 0x0
	s_cmp_lg_u32 s18, 1
	v_cmp_eq_u32_e64 s1, 0, v1
	v_cmp_gt_u32_e64 s2, 16, v0
	v_cndmask_b32_e64 v6, 0, 2, vcc_lo
	v_cmp_ne_u32_e32 vcc_lo, 31, v3
	v_cmp_eq_u32_e64 s3, 0, v0
	s_cselect_b32 s30, -1, 0
	s_lshl_b32 s20, s18, 9
	s_mov_b32 s23, s17
	v_add_co_ci_u32_e64 v7, null, 0, v3, vcc_lo
	v_lshlrev_b32_e32 v8, 3, v1
	v_mov_b64_e32 v[0:1], 0
	v_lshl_or_b32 v9, v3, 2, 64
	v_add_lshl_u32 v11, v5, v3, 2
	v_add_lshl_u32 v12, v6, v3, 2
	v_lshlrev_b32_e32 v13, 2, v7
	v_and_b32_e32 v14, 0x78, v4
	v_mov_b32_e32 v15, 0
	s_lshl_b64 s[22:23], s[22:23], 3
	s_ashr_i32 s21, s20, 31
	s_mov_b32 s19, s17
	s_add_nc_u64 s[4:5], s[4:5], s[22:23]
	s_lshl_b64 s[22:23], s[20:21], 3
	s_lshl_b64 s[14:15], s[14:15], 3
	;; [unrolled: 1-line block ×3, first 2 shown]
	s_branch .LBB249_3
.LBB249_2:                              ;   in Loop: Header=BB249_3 Depth=1
	s_wait_xcnt 0x0
	s_or_b32 exec_lo, exec_lo, s21
	s_add_co_i32 s16, s16, 0x10000
	s_delay_alu instid0(SALU_CYCLE_1)
	s_cmp_lt_u32 s16, s28
	s_cbranch_scc0 .LBB249_20
.LBB249_3:                              ; =>This Loop Header: Depth=1
                                        ;     Child Loop BB249_5 Depth 2
	s_wait_dscnt 0x0
	v_mov_b64_e32 v[4:5], 0
	s_mov_b32 s21, exec_lo
	v_cmpx_gt_i32_e64 s29, v2
	s_cbranch_execz .LBB249_7
; %bb.4:                                ;   in Loop: Header=BB249_3 Depth=1
	s_lshl_b64 s[24:25], s[16:17], 3
	v_ashrrev_i32_e32 v3, 31, v2
	s_add_nc_u64 s[26:27], s[12:13], s[24:25]
	s_add_nc_u64 s[24:25], s[8:9], s[24:25]
	s_load_b64 s[34:35], s[26:27], 0x0
	s_load_b64 s[36:37], s[24:25], 0x0
	v_mov_b64_e32 v[4:5], 0
	v_lshlrev_b64_e32 v[6:7], 3, v[2:3]
	s_mov_b32 s31, 0
	s_mov_b32 s33, 0
	s_wait_kmcnt 0x0
	s_wait_xcnt 0x0
	s_add_nc_u64 s[24:25], s[34:35], s[14:15]
	s_add_nc_u64 s[26:27], s[36:37], s[10:11]
.LBB249_5:                              ;   Parent Loop BB249_3 Depth=1
                                        ; =>  This Inner Loop Header: Depth=2
	s_delay_alu instid0(SALU_CYCLE_1)
	v_add_nc_u64_e32 v[16:17], s[26:27], v[6:7]
	v_add_nc_u64_e32 v[18:19], s[24:25], v[6:7]
	v_add_nc_u32_e32 v2, s20, v2
	s_add_co_i32 s34, s33, 1
	s_cmp_gt_u32 s33, 2
	v_add_nc_u64_e32 v[6:7], s[22:23], v[6:7]
	s_cselect_b32 s33, -1, 0
	flat_load_b64 v[20:21], v[16:17]
	flat_load_b64 v[22:23], v[18:19]
	v_cmp_le_i32_e32 vcc_lo, s29, v2
	s_or_b32 s33, s33, vcc_lo
	s_delay_alu instid0(SALU_CYCLE_1) | instskip(NEXT) | instid1(SALU_CYCLE_1)
	s_and_b32 s33, exec_lo, s33
	s_or_b32 s31, s33, s31
	s_mov_b32 s33, s34
	s_wait_loadcnt_dscnt 0x0
	v_fmac_f64_e32 v[4:5], v[20:21], v[22:23]
	s_wait_xcnt 0x0
	s_and_not1_b32 exec_lo, exec_lo, s31
	s_cbranch_execnz .LBB249_5
; %bb.6:                                ;   in Loop: Header=BB249_3 Depth=1
	s_or_b32 exec_lo, exec_lo, s31
.LBB249_7:                              ;   in Loop: Header=BB249_3 Depth=1
	s_delay_alu instid0(SALU_CYCLE_1)
	s_or_b32 exec_lo, exec_lo, s21
	s_and_saveexec_b32 s21, s0
; %bb.8:                                ;   in Loop: Header=BB249_3 Depth=1
	ds_store_b64 v8, v[0:1]
; %bb.9:                                ;   in Loop: Header=BB249_3 Depth=1
	s_or_b32 exec_lo, exec_lo, s21
	ds_bpermute_b32 v6, v9, v4
	ds_bpermute_b32 v7, v9, v5
	s_wait_dscnt 0x0
	s_barrier_signal -1
	s_barrier_wait -1
	v_add_f64_e32 v[4:5], v[4:5], v[6:7]
	ds_bpermute_b32 v6, v10, v4
	ds_bpermute_b32 v7, v10, v5
	s_wait_dscnt 0x0
	v_add_f64_e32 v[4:5], v[4:5], v[6:7]
	ds_bpermute_b32 v6, v11, v4
	ds_bpermute_b32 v7, v11, v5
	s_wait_dscnt 0x0
	;; [unrolled: 4-line block ×3, first 2 shown]
	v_add_f64_e32 v[4:5], v[4:5], v[6:7]
	ds_bpermute_b32 v6, v13, v4
	ds_bpermute_b32 v7, v13, v5
	s_and_saveexec_b32 s21, s1
	s_cbranch_execz .LBB249_11
; %bb.10:                               ;   in Loop: Header=BB249_3 Depth=1
	s_wait_dscnt 0x0
	v_add_f64_e32 v[4:5], v[4:5], v[6:7]
	ds_store_b64 v14, v[4:5]
.LBB249_11:                             ;   in Loop: Header=BB249_3 Depth=1
	s_or_b32 exec_lo, exec_lo, s21
	v_mov_b64_e32 v[4:5], 0
	s_wait_dscnt 0x0
	s_barrier_signal -1
	s_barrier_wait -1
	s_and_saveexec_b32 s21, s2
	s_cbranch_execnz .LBB249_14
; %bb.12:                               ;   in Loop: Header=BB249_3 Depth=1
	s_or_b32 exec_lo, exec_lo, s21
	s_and_saveexec_b32 s21, s0
	s_cbranch_execnz .LBB249_15
.LBB249_13:                             ;   in Loop: Header=BB249_3 Depth=1
	s_or_b32 exec_lo, exec_lo, s21
	s_and_saveexec_b32 s21, s3
	s_cbranch_execz .LBB249_2
	s_branch .LBB249_16
.LBB249_14:                             ;   in Loop: Header=BB249_3 Depth=1
	ds_load_b64 v[4:5], v8
	s_or_b32 exec_lo, exec_lo, s21
	s_and_saveexec_b32 s21, s0
	s_cbranch_execz .LBB249_13
.LBB249_15:                             ;   in Loop: Header=BB249_3 Depth=1
	s_wait_dscnt 0x0
	ds_bpermute_b32 v6, v10, v4
	ds_bpermute_b32 v7, v10, v5
	s_wait_dscnt 0x0
	v_add_f64_e32 v[4:5], v[4:5], v[6:7]
	ds_bpermute_b32 v6, v11, v4
	ds_bpermute_b32 v7, v11, v5
	s_wait_dscnt 0x0
	v_add_f64_e32 v[4:5], v[4:5], v[6:7]
	;; [unrolled: 4-line block ×4, first 2 shown]
	s_or_b32 exec_lo, exec_lo, s21
	s_and_saveexec_b32 s21, s3
	s_cbranch_execz .LBB249_2
.LBB249_16:                             ;   in Loop: Header=BB249_3 Depth=1
	s_and_b32 vcc_lo, exec_lo, s30
	s_mov_b32 s24, -1
	s_cbranch_vccz .LBB249_18
; %bb.17:                               ;   in Loop: Header=BB249_3 Depth=1
	s_mul_u64 s[24:25], s[18:19], s[16:17]
	s_delay_alu instid0(SALU_CYCLE_1) | instskip(NEXT) | instid1(SALU_CYCLE_1)
	s_lshl_b64 s[24:25], s[24:25], 3
	s_add_nc_u64 s[26:27], s[4:5], s[24:25]
	s_mov_b32 s24, 0
	s_wait_dscnt 0x0
	global_store_b64 v15, v[4:5], s[26:27]
.LBB249_18:                             ;   in Loop: Header=BB249_3 Depth=1
	s_and_not1_b32 vcc_lo, exec_lo, s24
	s_cbranch_vccnz .LBB249_2
; %bb.19:                               ;   in Loop: Header=BB249_3 Depth=1
	s_wait_dscnt 0x0
	s_delay_alu instid0(VALU_DEP_1) | instskip(SKIP_1) | instid1(SALU_CYCLE_1)
	v_cvt_f32_f64_e32 v3, v[4:5]
	s_lshl_b64 s[24:25], s[16:17], 2
	s_add_nc_u64 s[24:25], s[6:7], s[24:25]
	global_store_b32 v15, v3, s[24:25]
	s_branch .LBB249_2
.LBB249_20:
	s_endpgm
	.section	.rodata,"a",@progbits
	.p2align	6, 0x0
	.amdhsa_kernel _ZL23rocblas_dot_kernel_inc1ILb0ELi512ELi4ELb1EfPKPKddEviT4_llS4_lliPT5_PT3_
		.amdhsa_group_segment_fixed_size 256
		.amdhsa_private_segment_fixed_size 0
		.amdhsa_kernarg_size 336
		.amdhsa_user_sgpr_count 2
		.amdhsa_user_sgpr_dispatch_ptr 0
		.amdhsa_user_sgpr_queue_ptr 0
		.amdhsa_user_sgpr_kernarg_segment_ptr 1
		.amdhsa_user_sgpr_dispatch_id 0
		.amdhsa_user_sgpr_kernarg_preload_length 0
		.amdhsa_user_sgpr_kernarg_preload_offset 0
		.amdhsa_user_sgpr_private_segment_size 0
		.amdhsa_wavefront_size32 1
		.amdhsa_uses_dynamic_stack 0
		.amdhsa_enable_private_segment 0
		.amdhsa_system_sgpr_workgroup_id_x 1
		.amdhsa_system_sgpr_workgroup_id_y 0
		.amdhsa_system_sgpr_workgroup_id_z 1
		.amdhsa_system_sgpr_workgroup_info 0
		.amdhsa_system_vgpr_workitem_id 0
		.amdhsa_next_free_vgpr 24
		.amdhsa_next_free_sgpr 38
		.amdhsa_named_barrier_count 0
		.amdhsa_reserve_vcc 1
		.amdhsa_float_round_mode_32 0
		.amdhsa_float_round_mode_16_64 0
		.amdhsa_float_denorm_mode_32 3
		.amdhsa_float_denorm_mode_16_64 3
		.amdhsa_fp16_overflow 0
		.amdhsa_memory_ordered 1
		.amdhsa_forward_progress 1
		.amdhsa_inst_pref_size 9
		.amdhsa_round_robin_scheduling 0
		.amdhsa_exception_fp_ieee_invalid_op 0
		.amdhsa_exception_fp_denorm_src 0
		.amdhsa_exception_fp_ieee_div_zero 0
		.amdhsa_exception_fp_ieee_overflow 0
		.amdhsa_exception_fp_ieee_underflow 0
		.amdhsa_exception_fp_ieee_inexact 0
		.amdhsa_exception_int_div_zero 0
	.end_amdhsa_kernel
	.section	.text._ZL23rocblas_dot_kernel_inc1ILb0ELi512ELi4ELb1EfPKPKddEviT4_llS4_lliPT5_PT3_,"axG",@progbits,_ZL23rocblas_dot_kernel_inc1ILb0ELi512ELi4ELb1EfPKPKddEviT4_llS4_lliPT5_PT3_,comdat
.Lfunc_end249:
	.size	_ZL23rocblas_dot_kernel_inc1ILb0ELi512ELi4ELb1EfPKPKddEviT4_llS4_lliPT5_PT3_, .Lfunc_end249-_ZL23rocblas_dot_kernel_inc1ILb0ELi512ELi4ELb1EfPKPKddEviT4_llS4_lliPT5_PT3_
                                        ; -- End function
	.set _ZL23rocblas_dot_kernel_inc1ILb0ELi512ELi4ELb1EfPKPKddEviT4_llS4_lliPT5_PT3_.num_vgpr, 24
	.set _ZL23rocblas_dot_kernel_inc1ILb0ELi512ELi4ELb1EfPKPKddEviT4_llS4_lliPT5_PT3_.num_agpr, 0
	.set _ZL23rocblas_dot_kernel_inc1ILb0ELi512ELi4ELb1EfPKPKddEviT4_llS4_lliPT5_PT3_.numbered_sgpr, 38
	.set _ZL23rocblas_dot_kernel_inc1ILb0ELi512ELi4ELb1EfPKPKddEviT4_llS4_lliPT5_PT3_.num_named_barrier, 0
	.set _ZL23rocblas_dot_kernel_inc1ILb0ELi512ELi4ELb1EfPKPKddEviT4_llS4_lliPT5_PT3_.private_seg_size, 0
	.set _ZL23rocblas_dot_kernel_inc1ILb0ELi512ELi4ELb1EfPKPKddEviT4_llS4_lliPT5_PT3_.uses_vcc, 1
	.set _ZL23rocblas_dot_kernel_inc1ILb0ELi512ELi4ELb1EfPKPKddEviT4_llS4_lliPT5_PT3_.uses_flat_scratch, 0
	.set _ZL23rocblas_dot_kernel_inc1ILb0ELi512ELi4ELb1EfPKPKddEviT4_llS4_lliPT5_PT3_.has_dyn_sized_stack, 0
	.set _ZL23rocblas_dot_kernel_inc1ILb0ELi512ELi4ELb1EfPKPKddEviT4_llS4_lliPT5_PT3_.has_recursion, 0
	.set _ZL23rocblas_dot_kernel_inc1ILb0ELi512ELi4ELb1EfPKPKddEviT4_llS4_lliPT5_PT3_.has_indirect_call, 0
	.section	.AMDGPU.csdata,"",@progbits
; Kernel info:
; codeLenInByte = 1032
; TotalNumSgprs: 40
; NumVgprs: 24
; ScratchSize: 0
; MemoryBound: 0
; FloatMode: 240
; IeeeMode: 1
; LDSByteSize: 256 bytes/workgroup (compile time only)
; SGPRBlocks: 0
; VGPRBlocks: 1
; NumSGPRsForWavesPerEU: 40
; NumVGPRsForWavesPerEU: 24
; NamedBarCnt: 0
; Occupancy: 16
; WaveLimiterHint : 1
; COMPUTE_PGM_RSRC2:SCRATCH_EN: 0
; COMPUTE_PGM_RSRC2:USER_SGPR: 2
; COMPUTE_PGM_RSRC2:TRAP_HANDLER: 0
; COMPUTE_PGM_RSRC2:TGID_X_EN: 1
; COMPUTE_PGM_RSRC2:TGID_Y_EN: 0
; COMPUTE_PGM_RSRC2:TGID_Z_EN: 1
; COMPUTE_PGM_RSRC2:TIDIG_COMP_CNT: 0
	.section	.text._ZL18rocblas_dot_kernelIiLb0ELi512ELi4ELb1EfPKPKddEviT5_lT_lS4_lS5_liPT6_PT4_,"axG",@progbits,_ZL18rocblas_dot_kernelIiLb0ELi512ELi4ELb1EfPKPKddEviT5_lT_lS4_lS5_liPT6_PT4_,comdat
	.globl	_ZL18rocblas_dot_kernelIiLb0ELi512ELi4ELb1EfPKPKddEviT5_lT_lS4_lS5_liPT6_PT4_ ; -- Begin function _ZL18rocblas_dot_kernelIiLb0ELi512ELi4ELb1EfPKPKddEviT5_lT_lS4_lS5_liPT6_PT4_
	.p2align	8
	.type	_ZL18rocblas_dot_kernelIiLb0ELi512ELi4ELb1EfPKPKddEviT5_lT_lS4_lS5_liPT6_PT4_,@function
_ZL18rocblas_dot_kernelIiLb0ELi512ELi4ELb1EfPKPKddEviT5_lT_lS4_lS5_liPT6_PT4_: ; @_ZL18rocblas_dot_kernelIiLb0ELi512ELi4ELb1EfPKPKddEviT5_lT_lS4_lS5_liPT6_PT4_
; %bb.0:
	s_load_b32 s30, s[0:1], 0x48
	s_bfe_u32 s2, ttmp6, 0x40014
	s_lshr_b32 s3, ttmp7, 16
	s_add_co_i32 s2, s2, 1
	s_bfe_u32 s5, ttmp6, 0x40008
	s_mul_i32 s4, s3, s2
	s_getreg_b32 s2, hwreg(HW_REG_IB_STS2, 6, 4)
	s_add_co_i32 s5, s5, s4
	s_cmp_eq_u32 s2, 0
	s_mov_b32 s17, 0
	s_cselect_b32 s16, s3, s5
	s_wait_kmcnt 0x0
	s_cmp_ge_u32 s16, s30
	s_cbranch_scc1 .LBB250_20
; %bb.1:
	v_mbcnt_lo_u32_b32 v2, -1, 0
	s_clause 0x6
	s_load_b32 s22, s[0:1], 0x18
	s_load_b32 s26, s[0:1], 0x38
	;; [unrolled: 1-line block ×3, first 2 shown]
	s_load_b128 s[4:7], s[0:1], 0x50
	s_load_b128 s[8:11], s[0:1], 0x28
	;; [unrolled: 1-line block ×3, first 2 shown]
	s_load_b32 s31, s[0:1], 0x0
	s_bfe_u32 s3, ttmp6, 0x4000c
	s_wait_xcnt 0x0
	s_and_b32 s1, ttmp6, 15
	s_add_co_i32 s3, s3, 1
	v_cmp_gt_u32_e32 vcc_lo, 24, v2
	s_mul_i32 s3, ttmp9, s3
	v_and_b32_e32 v1, 31, v0
	s_add_co_i32 s1, s1, s3
	s_mov_b32 s25, s17
	v_cndmask_b32_e64 v3, 0, 8, vcc_lo
	v_cmp_gt_u32_e32 vcc_lo, 28, v2
	v_cmp_gt_u32_e64 s0, 32, v0
	v_cmp_eq_u32_e64 s3, 0, v0
	v_lshl_or_b32 v9, v2, 2, 64
	s_wait_kmcnt 0x0
	s_ashr_i32 s23, s22, 31
	v_cndmask_b32_e64 v4, 0, 4, vcc_lo
	v_cmp_gt_u32_e32 vcc_lo, 30, v2
	s_ashr_i32 s27, s26, 31
	s_cmp_eq_u32 s2, 0
	v_add_lshl_u32 v11, v3, v2, 2
	s_cselect_b32 s24, ttmp9, s1
	v_cndmask_b32_e64 v5, 0, 2, vcc_lo
	v_cmp_ne_u32_e32 vcc_lo, 31, v2
	s_cmp_lg_u32 s18, 1
	v_lshrrev_b32_e32 v3, 2, v0
	s_cselect_b32 s33, -1, 0
	s_lshl_b32 s20, s18, 9
	v_add_co_ci_u32_e64 v6, null, 0, v2, vcc_lo
	v_lshlrev_b32_e32 v8, 3, v1
	v_lshl_or_b32 v10, s24, 9, v0
	v_cmp_eq_u32_e64 s1, 0, v1
	v_cmp_gt_u32_e64 s2, 16, v0
	v_mov_b64_e32 v[0:1], 0
	s_lshl_b64 s[24:25], s[24:25], 3
	s_ashr_i32 s21, s20, 31
	v_add_lshl_u32 v12, v4, v2, 2
	v_add_lshl_u32 v13, v5, v2, 2
	v_lshlrev_b32_e32 v14, 2, v6
	v_and_b32_e32 v15, 0x78, v3
	v_mov_b32_e32 v16, 0
	s_add_nc_u64 s[4:5], s[4:5], s[24:25]
	s_mul_u64 s[24:25], s[22:23], s[20:21]
	s_mul_u64 s[28:29], s[26:27], s[20:21]
	s_mov_b32 s19, s17
	s_lshl_b64 s[14:15], s[14:15], 3
	s_lshl_b64 s[22:23], s[22:23], 3
	;; [unrolled: 1-line block ×6, first 2 shown]
	s_branch .LBB250_3
.LBB250_2:                              ;   in Loop: Header=BB250_3 Depth=1
	s_wait_xcnt 0x0
	s_or_b32 exec_lo, exec_lo, s21
	s_add_co_i32 s16, s16, 0x10000
	s_delay_alu instid0(SALU_CYCLE_1)
	s_cmp_lt_u32 s16, s30
	s_cbranch_scc0 .LBB250_20
.LBB250_3:                              ; =>This Loop Header: Depth=1
                                        ;     Child Loop BB250_5 Depth 2
	s_wait_dscnt 0x0
	v_mov_b64_e32 v[2:3], 0
	s_mov_b32 s21, exec_lo
	v_cmpx_gt_i32_e64 s31, v10
	s_cbranch_execz .LBB250_7
; %bb.4:                                ;   in Loop: Header=BB250_3 Depth=1
	s_lshl_b64 s[34:35], s[16:17], 3
	s_delay_alu instid0(SALU_CYCLE_1)
	s_add_nc_u64 s[36:37], s[12:13], s[34:35]
	s_add_nc_u64 s[34:35], s[8:9], s[34:35]
	s_load_b64 s[38:39], s[36:37], 0x0
	s_load_b64 s[40:41], s[34:35], 0x0
	s_wait_kmcnt 0x0
	s_wait_xcnt 0x0
	s_add_nc_u64 s[34:35], s[38:39], s[14:15]
	s_add_nc_u64 s[36:37], s[40:41], s[10:11]
	v_mad_nc_u64_u32 v[4:5], s22, v10, s[34:35]
	v_mad_nc_u64_u32 v[6:7], s26, v10, s[36:37]
	s_mov_b32 s34, 0
	s_mov_b32 s35, 0
	s_delay_alu instid0(VALU_DEP_2) | instskip(NEXT) | instid1(VALU_DEP_2)
	v_mad_u32 v2, s23, v10, v5
	v_mad_u32 v3, s27, v10, v7
	v_ashrrev_i32_e32 v7, 31, v10
	s_delay_alu instid0(VALU_DEP_1) | instskip(NEXT) | instid1(VALU_DEP_3)
	v_mad_u32 v5, s22, v7, v2
	v_mad_u32 v7, s26, v7, v3
	v_mov_b64_e32 v[2:3], 0
.LBB250_5:                              ;   Parent Loop BB250_3 Depth=1
                                        ; =>  This Inner Loop Header: Depth=2
	flat_load_b64 v[18:19], v[6:7]
	flat_load_b64 v[20:21], v[4:5]
	v_add_nc_u32_e32 v10, s20, v10
	s_add_co_i32 s36, s35, 1
	s_cmp_gt_u32 s35, 2
	s_wait_xcnt 0x0
	v_add_nc_u64_e32 v[4:5], s[24:25], v[4:5]
	s_cselect_b32 s35, -1, 0
	v_cmp_le_i32_e32 vcc_lo, s31, v10
	v_add_nc_u64_e32 v[6:7], s[28:29], v[6:7]
	s_or_b32 s35, s35, vcc_lo
	s_delay_alu instid0(SALU_CYCLE_1) | instskip(NEXT) | instid1(SALU_CYCLE_1)
	s_and_b32 s35, exec_lo, s35
	s_or_b32 s34, s35, s34
	s_mov_b32 s35, s36
	s_wait_loadcnt_dscnt 0x0
	v_fmac_f64_e32 v[2:3], v[18:19], v[20:21]
	s_and_not1_b32 exec_lo, exec_lo, s34
	s_cbranch_execnz .LBB250_5
; %bb.6:                                ;   in Loop: Header=BB250_3 Depth=1
	s_or_b32 exec_lo, exec_lo, s34
.LBB250_7:                              ;   in Loop: Header=BB250_3 Depth=1
	s_delay_alu instid0(SALU_CYCLE_1)
	s_or_b32 exec_lo, exec_lo, s21
	s_and_saveexec_b32 s21, s0
; %bb.8:                                ;   in Loop: Header=BB250_3 Depth=1
	ds_store_b64 v8, v[0:1]
; %bb.9:                                ;   in Loop: Header=BB250_3 Depth=1
	s_or_b32 exec_lo, exec_lo, s21
	ds_bpermute_b32 v4, v9, v2
	ds_bpermute_b32 v5, v9, v3
	s_wait_dscnt 0x0
	s_barrier_signal -1
	s_barrier_wait -1
	v_add_f64_e32 v[2:3], v[2:3], v[4:5]
	ds_bpermute_b32 v4, v11, v2
	ds_bpermute_b32 v5, v11, v3
	s_wait_dscnt 0x0
	v_add_f64_e32 v[2:3], v[2:3], v[4:5]
	ds_bpermute_b32 v4, v12, v2
	ds_bpermute_b32 v5, v12, v3
	s_wait_dscnt 0x0
	;; [unrolled: 4-line block ×3, first 2 shown]
	v_add_f64_e32 v[2:3], v[2:3], v[4:5]
	ds_bpermute_b32 v4, v14, v2
	ds_bpermute_b32 v5, v14, v3
	s_and_saveexec_b32 s21, s1
	s_cbranch_execz .LBB250_11
; %bb.10:                               ;   in Loop: Header=BB250_3 Depth=1
	s_wait_dscnt 0x0
	v_add_f64_e32 v[2:3], v[2:3], v[4:5]
	ds_store_b64 v15, v[2:3]
.LBB250_11:                             ;   in Loop: Header=BB250_3 Depth=1
	s_or_b32 exec_lo, exec_lo, s21
	v_mov_b64_e32 v[2:3], 0
	s_wait_dscnt 0x0
	s_barrier_signal -1
	s_barrier_wait -1
	s_and_saveexec_b32 s21, s2
	s_cbranch_execnz .LBB250_14
; %bb.12:                               ;   in Loop: Header=BB250_3 Depth=1
	s_or_b32 exec_lo, exec_lo, s21
	s_and_saveexec_b32 s21, s0
	s_cbranch_execnz .LBB250_15
.LBB250_13:                             ;   in Loop: Header=BB250_3 Depth=1
	s_or_b32 exec_lo, exec_lo, s21
	s_and_saveexec_b32 s21, s3
	s_cbranch_execz .LBB250_2
	s_branch .LBB250_16
.LBB250_14:                             ;   in Loop: Header=BB250_3 Depth=1
	ds_load_b64 v[2:3], v8
	s_or_b32 exec_lo, exec_lo, s21
	s_and_saveexec_b32 s21, s0
	s_cbranch_execz .LBB250_13
.LBB250_15:                             ;   in Loop: Header=BB250_3 Depth=1
	s_wait_dscnt 0x0
	ds_bpermute_b32 v4, v11, v2
	ds_bpermute_b32 v5, v11, v3
	s_wait_dscnt 0x0
	v_add_f64_e32 v[2:3], v[2:3], v[4:5]
	ds_bpermute_b32 v4, v12, v2
	ds_bpermute_b32 v5, v12, v3
	s_wait_dscnt 0x0
	v_add_f64_e32 v[2:3], v[2:3], v[4:5]
	;; [unrolled: 4-line block ×4, first 2 shown]
	s_or_b32 exec_lo, exec_lo, s21
	s_and_saveexec_b32 s21, s3
	s_cbranch_execz .LBB250_2
.LBB250_16:                             ;   in Loop: Header=BB250_3 Depth=1
	s_and_b32 vcc_lo, exec_lo, s33
	s_mov_b32 s34, -1
	s_cbranch_vccz .LBB250_18
; %bb.17:                               ;   in Loop: Header=BB250_3 Depth=1
	s_mul_u64 s[34:35], s[18:19], s[16:17]
	s_delay_alu instid0(SALU_CYCLE_1) | instskip(NEXT) | instid1(SALU_CYCLE_1)
	s_lshl_b64 s[34:35], s[34:35], 3
	s_add_nc_u64 s[36:37], s[4:5], s[34:35]
	s_mov_b32 s34, 0
	s_wait_dscnt 0x0
	global_store_b64 v16, v[2:3], s[36:37]
.LBB250_18:                             ;   in Loop: Header=BB250_3 Depth=1
	s_and_not1_b32 vcc_lo, exec_lo, s34
	s_cbranch_vccnz .LBB250_2
; %bb.19:                               ;   in Loop: Header=BB250_3 Depth=1
	s_wait_dscnt 0x0
	s_wait_xcnt 0x0
	s_delay_alu instid0(VALU_DEP_1) | instskip(SKIP_1) | instid1(SALU_CYCLE_1)
	v_cvt_f32_f64_e32 v2, v[2:3]
	s_lshl_b64 s[34:35], s[16:17], 2
	s_add_nc_u64 s[34:35], s[6:7], s[34:35]
	global_store_b32 v16, v2, s[34:35]
	s_branch .LBB250_2
.LBB250_20:
	s_endpgm
	.section	.rodata,"a",@progbits
	.p2align	6, 0x0
	.amdhsa_kernel _ZL18rocblas_dot_kernelIiLb0ELi512ELi4ELb1EfPKPKddEviT5_lT_lS4_lS5_liPT6_PT4_
		.amdhsa_group_segment_fixed_size 256
		.amdhsa_private_segment_fixed_size 0
		.amdhsa_kernarg_size 352
		.amdhsa_user_sgpr_count 2
		.amdhsa_user_sgpr_dispatch_ptr 0
		.amdhsa_user_sgpr_queue_ptr 0
		.amdhsa_user_sgpr_kernarg_segment_ptr 1
		.amdhsa_user_sgpr_dispatch_id 0
		.amdhsa_user_sgpr_kernarg_preload_length 0
		.amdhsa_user_sgpr_kernarg_preload_offset 0
		.amdhsa_user_sgpr_private_segment_size 0
		.amdhsa_wavefront_size32 1
		.amdhsa_uses_dynamic_stack 0
		.amdhsa_enable_private_segment 0
		.amdhsa_system_sgpr_workgroup_id_x 1
		.amdhsa_system_sgpr_workgroup_id_y 0
		.amdhsa_system_sgpr_workgroup_id_z 1
		.amdhsa_system_sgpr_workgroup_info 0
		.amdhsa_system_vgpr_workitem_id 0
		.amdhsa_next_free_vgpr 22
		.amdhsa_next_free_sgpr 42
		.amdhsa_named_barrier_count 0
		.amdhsa_reserve_vcc 1
		.amdhsa_float_round_mode_32 0
		.amdhsa_float_round_mode_16_64 0
		.amdhsa_float_denorm_mode_32 3
		.amdhsa_float_denorm_mode_16_64 3
		.amdhsa_fp16_overflow 0
		.amdhsa_memory_ordered 1
		.amdhsa_forward_progress 1
		.amdhsa_inst_pref_size 9
		.amdhsa_round_robin_scheduling 0
		.amdhsa_exception_fp_ieee_invalid_op 0
		.amdhsa_exception_fp_denorm_src 0
		.amdhsa_exception_fp_ieee_div_zero 0
		.amdhsa_exception_fp_ieee_overflow 0
		.amdhsa_exception_fp_ieee_underflow 0
		.amdhsa_exception_fp_ieee_inexact 0
		.amdhsa_exception_int_div_zero 0
	.end_amdhsa_kernel
	.section	.text._ZL18rocblas_dot_kernelIiLb0ELi512ELi4ELb1EfPKPKddEviT5_lT_lS4_lS5_liPT6_PT4_,"axG",@progbits,_ZL18rocblas_dot_kernelIiLb0ELi512ELi4ELb1EfPKPKddEviT5_lT_lS4_lS5_liPT6_PT4_,comdat
.Lfunc_end250:
	.size	_ZL18rocblas_dot_kernelIiLb0ELi512ELi4ELb1EfPKPKddEviT5_lT_lS4_lS5_liPT6_PT4_, .Lfunc_end250-_ZL18rocblas_dot_kernelIiLb0ELi512ELi4ELb1EfPKPKddEviT5_lT_lS4_lS5_liPT6_PT4_
                                        ; -- End function
	.set _ZL18rocblas_dot_kernelIiLb0ELi512ELi4ELb1EfPKPKddEviT5_lT_lS4_lS5_liPT6_PT4_.num_vgpr, 22
	.set _ZL18rocblas_dot_kernelIiLb0ELi512ELi4ELb1EfPKPKddEviT5_lT_lS4_lS5_liPT6_PT4_.num_agpr, 0
	.set _ZL18rocblas_dot_kernelIiLb0ELi512ELi4ELb1EfPKPKddEviT5_lT_lS4_lS5_liPT6_PT4_.numbered_sgpr, 42
	.set _ZL18rocblas_dot_kernelIiLb0ELi512ELi4ELb1EfPKPKddEviT5_lT_lS4_lS5_liPT6_PT4_.num_named_barrier, 0
	.set _ZL18rocblas_dot_kernelIiLb0ELi512ELi4ELb1EfPKPKddEviT5_lT_lS4_lS5_liPT6_PT4_.private_seg_size, 0
	.set _ZL18rocblas_dot_kernelIiLb0ELi512ELi4ELb1EfPKPKddEviT5_lT_lS4_lS5_liPT6_PT4_.uses_vcc, 1
	.set _ZL18rocblas_dot_kernelIiLb0ELi512ELi4ELb1EfPKPKddEviT5_lT_lS4_lS5_liPT6_PT4_.uses_flat_scratch, 0
	.set _ZL18rocblas_dot_kernelIiLb0ELi512ELi4ELb1EfPKPKddEviT5_lT_lS4_lS5_liPT6_PT4_.has_dyn_sized_stack, 0
	.set _ZL18rocblas_dot_kernelIiLb0ELi512ELi4ELb1EfPKPKddEviT5_lT_lS4_lS5_liPT6_PT4_.has_recursion, 0
	.set _ZL18rocblas_dot_kernelIiLb0ELi512ELi4ELb1EfPKPKddEviT5_lT_lS4_lS5_liPT6_PT4_.has_indirect_call, 0
	.section	.AMDGPU.csdata,"",@progbits
; Kernel info:
; codeLenInByte = 1128
; TotalNumSgprs: 44
; NumVgprs: 22
; ScratchSize: 0
; MemoryBound: 0
; FloatMode: 240
; IeeeMode: 1
; LDSByteSize: 256 bytes/workgroup (compile time only)
; SGPRBlocks: 0
; VGPRBlocks: 1
; NumSGPRsForWavesPerEU: 44
; NumVGPRsForWavesPerEU: 22
; NamedBarCnt: 0
; Occupancy: 16
; WaveLimiterHint : 0
; COMPUTE_PGM_RSRC2:SCRATCH_EN: 0
; COMPUTE_PGM_RSRC2:USER_SGPR: 2
; COMPUTE_PGM_RSRC2:TRAP_HANDLER: 0
; COMPUTE_PGM_RSRC2:TGID_X_EN: 1
; COMPUTE_PGM_RSRC2:TGID_Y_EN: 0
; COMPUTE_PGM_RSRC2:TGID_Z_EN: 1
; COMPUTE_PGM_RSRC2:TIDIG_COMP_CNT: 0
	.section	.text._ZL24rocblas_dot_kernel_magsqIiLb0ELi512ELi4ELb1EfPKPKddEviT5_lT_liPT6_PT4_,"axG",@progbits,_ZL24rocblas_dot_kernel_magsqIiLb0ELi512ELi4ELb1EfPKPKddEviT5_lT_liPT6_PT4_,comdat
	.globl	_ZL24rocblas_dot_kernel_magsqIiLb0ELi512ELi4ELb1EfPKPKddEviT5_lT_liPT6_PT4_ ; -- Begin function _ZL24rocblas_dot_kernel_magsqIiLb0ELi512ELi4ELb1EfPKPKddEviT5_lT_liPT6_PT4_
	.p2align	8
	.type	_ZL24rocblas_dot_kernel_magsqIiLb0ELi512ELi4ELb1EfPKPKddEviT5_lT_liPT6_PT4_,@function
_ZL24rocblas_dot_kernel_magsqIiLb0ELi512ELi4ELb1EfPKPKddEviT5_lT_liPT6_PT4_: ; @_ZL24rocblas_dot_kernel_magsqIiLb0ELi512ELi4ELb1EfPKPKddEviT5_lT_liPT6_PT4_
; %bb.0:
	s_load_b32 s22, s[0:1], 0x28
	s_bfe_u32 s2, ttmp6, 0x40014
	s_lshr_b32 s3, ttmp7, 16
	s_add_co_i32 s2, s2, 1
	s_bfe_u32 s5, ttmp6, 0x40008
	s_mul_i32 s4, s3, s2
	s_getreg_b32 s2, hwreg(HW_REG_IB_STS2, 6, 4)
	s_add_co_i32 s5, s5, s4
	s_cmp_eq_u32 s2, 0
	s_mov_b32 s13, 0
	s_cselect_b32 s12, s3, s5
	s_wait_kmcnt 0x0
	s_cmp_ge_u32 s12, s22
	s_cbranch_scc1 .LBB251_20
; %bb.1:
	v_mbcnt_lo_u32_b32 v2, -1, 0
	s_clause 0x4
	s_load_b32 s18, s[0:1], 0x18
	s_load_b32 s14, s[0:1], 0x40
	s_load_b128 s[4:7], s[0:1], 0x30
	s_load_b128 s[8:11], s[0:1], 0x8
	s_load_b32 s23, s[0:1], 0x0
	s_wait_xcnt 0x0
	s_bfe_u32 s0, ttmp6, 0x4000c
	s_and_b32 s1, ttmp6, 15
	s_add_co_i32 s3, s0, 1
	v_cmp_gt_u32_e32 vcc_lo, 24, v2
	s_mul_i32 s3, ttmp9, s3
	v_and_b32_e32 v1, 31, v0
	s_add_co_i32 s1, s1, s3
	s_mov_b32 s21, s13
	v_cndmask_b32_e64 v3, 0, 8, vcc_lo
	v_cmp_gt_u32_e32 vcc_lo, 28, v2
	v_cmp_gt_u32_e64 s0, 32, v0
	v_cmp_eq_u32_e64 s3, 0, v0
	v_lshl_or_b32 v7, v2, 2, 64
	v_add_lshl_u32 v9, v3, v2, 2
	v_cndmask_b32_e64 v4, 0, 4, vcc_lo
	v_cmp_gt_u32_e32 vcc_lo, 30, v2
	s_wait_kmcnt 0x0
	s_ashr_i32 s19, s18, 31
	s_cmp_eq_u32 s2, 0
	v_lshrrev_b32_e32 v3, 2, v0
	s_cselect_b32 s20, ttmp9, s1
	v_cndmask_b32_e64 v5, 0, 2, vcc_lo
	v_cmp_ne_u32_e32 vcc_lo, 31, v2
	s_cmp_lg_u32 s14, 1
	v_lshl_or_b32 v8, s20, 9, v0
	s_cselect_b32 s24, -1, 0
	s_lshl_b32 s16, s14, 9
	v_add_co_ci_u32_e64 v12, null, 0, v2, vcc_lo
	v_lshlrev_b32_e32 v6, 3, v1
	v_cmp_eq_u32_e64 s1, 0, v1
	v_cmp_gt_u32_e64 s2, 16, v0
	v_mov_b64_e32 v[0:1], 0
	s_lshl_b64 s[20:21], s[20:21], 3
	s_ashr_i32 s17, s16, 31
	v_add_lshl_u32 v10, v4, v2, 2
	v_add_lshl_u32 v11, v5, v2, 2
	v_lshlrev_b32_e32 v12, 2, v12
	v_and_b32_e32 v13, 0x78, v3
	v_mov_b32_e32 v14, 0
	s_add_nc_u64 s[4:5], s[4:5], s[20:21]
	s_mul_u64 s[20:21], s[18:19], s[16:17]
	s_mov_b32 s15, s13
	s_lshl_b64 s[10:11], s[10:11], 3
	s_lshl_b64 s[18:19], s[18:19], 3
	;; [unrolled: 1-line block ×3, first 2 shown]
	s_branch .LBB251_3
.LBB251_2:                              ;   in Loop: Header=BB251_3 Depth=1
	s_wait_xcnt 0x0
	s_or_b32 exec_lo, exec_lo, s17
	s_add_co_i32 s12, s12, 0x10000
	s_delay_alu instid0(SALU_CYCLE_1)
	s_cmp_lt_u32 s12, s22
	s_cbranch_scc0 .LBB251_20
.LBB251_3:                              ; =>This Loop Header: Depth=1
                                        ;     Child Loop BB251_5 Depth 2
	s_wait_dscnt 0x0
	v_mov_b64_e32 v[2:3], 0
	s_mov_b32 s17, exec_lo
	v_cmpx_gt_i32_e64 s23, v8
	s_cbranch_execz .LBB251_7
; %bb.4:                                ;   in Loop: Header=BB251_3 Depth=1
	s_lshl_b64 s[26:27], s[12:13], 3
	v_ashrrev_i32_e32 v3, 31, v8
	s_add_nc_u64 s[26:27], s[8:9], s[26:27]
	s_mov_b32 s25, 0
	s_load_b64 s[26:27], s[26:27], 0x0
	s_wait_kmcnt 0x0
	s_wait_xcnt 0x0
	s_add_nc_u64 s[26:27], s[26:27], s[10:11]
	s_delay_alu instid0(SALU_CYCLE_1) | instskip(SKIP_1) | instid1(VALU_DEP_1)
	v_mad_nc_u64_u32 v[4:5], s18, v8, s[26:27]
	s_mov_b32 s26, 0
	v_mad_u32 v2, s19, v8, v5
	s_delay_alu instid0(VALU_DEP_1)
	v_mad_u32 v5, s18, v3, v2
	v_mov_b64_e32 v[2:3], 0
.LBB251_5:                              ;   Parent Loop BB251_3 Depth=1
                                        ; =>  This Inner Loop Header: Depth=2
	flat_load_b64 v[16:17], v[4:5]
	v_add_nc_u32_e32 v8, s16, v8
	s_add_co_i32 s27, s26, 1
	s_cmp_gt_u32 s26, 2
	s_wait_xcnt 0x0
	v_add_nc_u64_e32 v[4:5], s[20:21], v[4:5]
	s_cselect_b32 s26, -1, 0
	v_cmp_le_i32_e32 vcc_lo, s23, v8
	s_or_b32 s26, s26, vcc_lo
	s_delay_alu instid0(SALU_CYCLE_1) | instskip(NEXT) | instid1(SALU_CYCLE_1)
	s_and_b32 s26, exec_lo, s26
	s_or_b32 s25, s26, s25
	s_mov_b32 s26, s27
	s_wait_loadcnt_dscnt 0x0
	v_fmac_f64_e32 v[2:3], v[16:17], v[16:17]
	s_and_not1_b32 exec_lo, exec_lo, s25
	s_cbranch_execnz .LBB251_5
; %bb.6:                                ;   in Loop: Header=BB251_3 Depth=1
	s_or_b32 exec_lo, exec_lo, s25
.LBB251_7:                              ;   in Loop: Header=BB251_3 Depth=1
	s_delay_alu instid0(SALU_CYCLE_1)
	s_or_b32 exec_lo, exec_lo, s17
	s_and_saveexec_b32 s17, s0
; %bb.8:                                ;   in Loop: Header=BB251_3 Depth=1
	ds_store_b64 v6, v[0:1]
; %bb.9:                                ;   in Loop: Header=BB251_3 Depth=1
	s_or_b32 exec_lo, exec_lo, s17
	ds_bpermute_b32 v4, v7, v2
	ds_bpermute_b32 v5, v7, v3
	s_wait_dscnt 0x0
	s_barrier_signal -1
	s_barrier_wait -1
	v_add_f64_e32 v[2:3], v[2:3], v[4:5]
	ds_bpermute_b32 v4, v9, v2
	ds_bpermute_b32 v5, v9, v3
	s_wait_dscnt 0x0
	v_add_f64_e32 v[2:3], v[2:3], v[4:5]
	ds_bpermute_b32 v4, v10, v2
	ds_bpermute_b32 v5, v10, v3
	s_wait_dscnt 0x0
	;; [unrolled: 4-line block ×3, first 2 shown]
	v_add_f64_e32 v[2:3], v[2:3], v[4:5]
	ds_bpermute_b32 v4, v12, v2
	ds_bpermute_b32 v5, v12, v3
	s_and_saveexec_b32 s17, s1
	s_cbranch_execz .LBB251_11
; %bb.10:                               ;   in Loop: Header=BB251_3 Depth=1
	s_wait_dscnt 0x0
	v_add_f64_e32 v[2:3], v[2:3], v[4:5]
	ds_store_b64 v13, v[2:3]
.LBB251_11:                             ;   in Loop: Header=BB251_3 Depth=1
	s_or_b32 exec_lo, exec_lo, s17
	v_mov_b64_e32 v[2:3], 0
	s_wait_dscnt 0x0
	s_barrier_signal -1
	s_barrier_wait -1
	s_and_saveexec_b32 s17, s2
	s_cbranch_execnz .LBB251_14
; %bb.12:                               ;   in Loop: Header=BB251_3 Depth=1
	s_or_b32 exec_lo, exec_lo, s17
	s_and_saveexec_b32 s17, s0
	s_cbranch_execnz .LBB251_15
.LBB251_13:                             ;   in Loop: Header=BB251_3 Depth=1
	s_or_b32 exec_lo, exec_lo, s17
	s_and_saveexec_b32 s17, s3
	s_cbranch_execz .LBB251_2
	s_branch .LBB251_16
.LBB251_14:                             ;   in Loop: Header=BB251_3 Depth=1
	ds_load_b64 v[2:3], v6
	s_or_b32 exec_lo, exec_lo, s17
	s_and_saveexec_b32 s17, s0
	s_cbranch_execz .LBB251_13
.LBB251_15:                             ;   in Loop: Header=BB251_3 Depth=1
	s_wait_dscnt 0x0
	ds_bpermute_b32 v4, v9, v2
	ds_bpermute_b32 v5, v9, v3
	s_wait_dscnt 0x0
	v_add_f64_e32 v[2:3], v[2:3], v[4:5]
	ds_bpermute_b32 v4, v10, v2
	ds_bpermute_b32 v5, v10, v3
	s_wait_dscnt 0x0
	v_add_f64_e32 v[2:3], v[2:3], v[4:5]
	;; [unrolled: 4-line block ×4, first 2 shown]
	s_or_b32 exec_lo, exec_lo, s17
	s_and_saveexec_b32 s17, s3
	s_cbranch_execz .LBB251_2
.LBB251_16:                             ;   in Loop: Header=BB251_3 Depth=1
	s_and_b32 vcc_lo, exec_lo, s24
	s_mov_b32 s25, -1
	s_cbranch_vccz .LBB251_18
; %bb.17:                               ;   in Loop: Header=BB251_3 Depth=1
	s_mul_u64 s[26:27], s[14:15], s[12:13]
	s_mov_b32 s25, 0
	s_lshl_b64 s[26:27], s[26:27], 3
	s_delay_alu instid0(SALU_CYCLE_1)
	s_add_nc_u64 s[26:27], s[4:5], s[26:27]
	s_wait_dscnt 0x0
	global_store_b64 v14, v[2:3], s[26:27]
.LBB251_18:                             ;   in Loop: Header=BB251_3 Depth=1
	s_and_not1_b32 vcc_lo, exec_lo, s25
	s_cbranch_vccnz .LBB251_2
; %bb.19:                               ;   in Loop: Header=BB251_3 Depth=1
	s_wait_dscnt 0x0
	s_wait_xcnt 0x0
	s_delay_alu instid0(VALU_DEP_1) | instskip(SKIP_1) | instid1(SALU_CYCLE_1)
	v_cvt_f32_f64_e32 v2, v[2:3]
	s_lshl_b64 s[26:27], s[12:13], 2
	s_add_nc_u64 s[26:27], s[6:7], s[26:27]
	global_store_b32 v14, v2, s[26:27]
	s_branch .LBB251_2
.LBB251_20:
	s_endpgm
	.section	.rodata,"a",@progbits
	.p2align	6, 0x0
	.amdhsa_kernel _ZL24rocblas_dot_kernel_magsqIiLb0ELi512ELi4ELb1EfPKPKddEviT5_lT_liPT6_PT4_
		.amdhsa_group_segment_fixed_size 256
		.amdhsa_private_segment_fixed_size 0
		.amdhsa_kernarg_size 320
		.amdhsa_user_sgpr_count 2
		.amdhsa_user_sgpr_dispatch_ptr 0
		.amdhsa_user_sgpr_queue_ptr 0
		.amdhsa_user_sgpr_kernarg_segment_ptr 1
		.amdhsa_user_sgpr_dispatch_id 0
		.amdhsa_user_sgpr_kernarg_preload_length 0
		.amdhsa_user_sgpr_kernarg_preload_offset 0
		.amdhsa_user_sgpr_private_segment_size 0
		.amdhsa_wavefront_size32 1
		.amdhsa_uses_dynamic_stack 0
		.amdhsa_enable_private_segment 0
		.amdhsa_system_sgpr_workgroup_id_x 1
		.amdhsa_system_sgpr_workgroup_id_y 0
		.amdhsa_system_sgpr_workgroup_id_z 1
		.amdhsa_system_sgpr_workgroup_info 0
		.amdhsa_system_vgpr_workitem_id 0
		.amdhsa_next_free_vgpr 18
		.amdhsa_next_free_sgpr 28
		.amdhsa_named_barrier_count 0
		.amdhsa_reserve_vcc 1
		.amdhsa_float_round_mode_32 0
		.amdhsa_float_round_mode_16_64 0
		.amdhsa_float_denorm_mode_32 3
		.amdhsa_float_denorm_mode_16_64 3
		.amdhsa_fp16_overflow 0
		.amdhsa_memory_ordered 1
		.amdhsa_forward_progress 1
		.amdhsa_inst_pref_size 9
		.amdhsa_round_robin_scheduling 0
		.amdhsa_exception_fp_ieee_invalid_op 0
		.amdhsa_exception_fp_denorm_src 0
		.amdhsa_exception_fp_ieee_div_zero 0
		.amdhsa_exception_fp_ieee_overflow 0
		.amdhsa_exception_fp_ieee_underflow 0
		.amdhsa_exception_fp_ieee_inexact 0
		.amdhsa_exception_int_div_zero 0
	.end_amdhsa_kernel
	.section	.text._ZL24rocblas_dot_kernel_magsqIiLb0ELi512ELi4ELb1EfPKPKddEviT5_lT_liPT6_PT4_,"axG",@progbits,_ZL24rocblas_dot_kernel_magsqIiLb0ELi512ELi4ELb1EfPKPKddEviT5_lT_liPT6_PT4_,comdat
.Lfunc_end251:
	.size	_ZL24rocblas_dot_kernel_magsqIiLb0ELi512ELi4ELb1EfPKPKddEviT5_lT_liPT6_PT4_, .Lfunc_end251-_ZL24rocblas_dot_kernel_magsqIiLb0ELi512ELi4ELb1EfPKPKddEviT5_lT_liPT6_PT4_
                                        ; -- End function
	.set _ZL24rocblas_dot_kernel_magsqIiLb0ELi512ELi4ELb1EfPKPKddEviT5_lT_liPT6_PT4_.num_vgpr, 18
	.set _ZL24rocblas_dot_kernel_magsqIiLb0ELi512ELi4ELb1EfPKPKddEviT5_lT_liPT6_PT4_.num_agpr, 0
	.set _ZL24rocblas_dot_kernel_magsqIiLb0ELi512ELi4ELb1EfPKPKddEviT5_lT_liPT6_PT4_.numbered_sgpr, 28
	.set _ZL24rocblas_dot_kernel_magsqIiLb0ELi512ELi4ELb1EfPKPKddEviT5_lT_liPT6_PT4_.num_named_barrier, 0
	.set _ZL24rocblas_dot_kernel_magsqIiLb0ELi512ELi4ELb1EfPKPKddEviT5_lT_liPT6_PT4_.private_seg_size, 0
	.set _ZL24rocblas_dot_kernel_magsqIiLb0ELi512ELi4ELb1EfPKPKddEviT5_lT_liPT6_PT4_.uses_vcc, 1
	.set _ZL24rocblas_dot_kernel_magsqIiLb0ELi512ELi4ELb1EfPKPKddEviT5_lT_liPT6_PT4_.uses_flat_scratch, 0
	.set _ZL24rocblas_dot_kernel_magsqIiLb0ELi512ELi4ELb1EfPKPKddEviT5_lT_liPT6_PT4_.has_dyn_sized_stack, 0
	.set _ZL24rocblas_dot_kernel_magsqIiLb0ELi512ELi4ELb1EfPKPKddEviT5_lT_liPT6_PT4_.has_recursion, 0
	.set _ZL24rocblas_dot_kernel_magsqIiLb0ELi512ELi4ELb1EfPKPKddEviT5_lT_liPT6_PT4_.has_indirect_call, 0
	.section	.AMDGPU.csdata,"",@progbits
; Kernel info:
; codeLenInByte = 1032
; TotalNumSgprs: 30
; NumVgprs: 18
; ScratchSize: 0
; MemoryBound: 0
; FloatMode: 240
; IeeeMode: 1
; LDSByteSize: 256 bytes/workgroup (compile time only)
; SGPRBlocks: 0
; VGPRBlocks: 1
; NumSGPRsForWavesPerEU: 30
; NumVGPRsForWavesPerEU: 18
; NamedBarCnt: 0
; Occupancy: 16
; WaveLimiterHint : 0
; COMPUTE_PGM_RSRC2:SCRATCH_EN: 0
; COMPUTE_PGM_RSRC2:USER_SGPR: 2
; COMPUTE_PGM_RSRC2:TRAP_HANDLER: 0
; COMPUTE_PGM_RSRC2:TGID_X_EN: 1
; COMPUTE_PGM_RSRC2:TGID_Y_EN: 0
; COMPUTE_PGM_RSRC2:TGID_Z_EN: 1
; COMPUTE_PGM_RSRC2:TIDIG_COMP_CNT: 0
	.section	.text._ZL28rocblas_dot_batched_4_kernelIiLi32ELi4ELb1EddPKdEviT5_lT_lS2_lS3_liPT4_,"axG",@progbits,_ZL28rocblas_dot_batched_4_kernelIiLi32ELi4ELb1EddPKdEviT5_lT_lS2_lS3_liPT4_,comdat
	.globl	_ZL28rocblas_dot_batched_4_kernelIiLi32ELi4ELb1EddPKdEviT5_lT_lS2_lS3_liPT4_ ; -- Begin function _ZL28rocblas_dot_batched_4_kernelIiLi32ELi4ELb1EddPKdEviT5_lT_lS2_lS3_liPT4_
	.p2align	8
	.type	_ZL28rocblas_dot_batched_4_kernelIiLi32ELi4ELb1EddPKdEviT5_lT_lS2_lS3_liPT4_,@function
_ZL28rocblas_dot_batched_4_kernelIiLi32ELi4ELb1EddPKdEviT5_lT_lS2_lS3_liPT4_: ; @_ZL28rocblas_dot_batched_4_kernelIiLi32ELi4ELb1EddPKdEviT5_lT_lS2_lS3_liPT4_
; %bb.0:
	s_load_b32 s2, s[0:1], 0x48
	s_bfe_u32 s3, ttmp6, 0x4000c
	s_and_b32 s4, ttmp6, 15
	s_add_co_i32 s3, s3, 1
	v_bfe_u32 v1, v0, 10, 10
	s_mul_i32 s3, ttmp9, s3
	s_delay_alu instid0(SALU_CYCLE_1) | instskip(SKIP_1) | instid1(SALU_CYCLE_1)
	s_add_co_i32 s4, s4, s3
	s_getreg_b32 s3, hwreg(HW_REG_IB_STS2, 6, 4)
	s_cmp_eq_u32 s3, 0
	s_cselect_b32 s3, ttmp9, s4
	s_delay_alu instid0(SALU_CYCLE_1) | instskip(SKIP_1) | instid1(VALU_DEP_1)
	v_lshl_add_u32 v2, s3, 2, v1
	s_wait_kmcnt 0x0
	v_cmp_gt_u32_e32 vcc_lo, s2, v2
	s_and_saveexec_b32 s2, vcc_lo
	s_cbranch_execz .LBB252_7
; %bb.1:
	s_load_b32 s6, s[0:1], 0x0
	v_mov_b64_e32 v[4:5], 0
	v_and_b32_e32 v0, 0x3ff, v0
	v_mov_b32_e32 v3, 0
	s_mov_b32 s7, exec_lo
	s_wait_kmcnt 0x0
	s_delay_alu instid0(VALU_DEP_2)
	v_cmpx_gt_i32_e64 s6, v0
	s_cbranch_execz .LBB252_5
; %bb.2:
	s_clause 0x3
	s_load_b128 s[8:11], s[0:1], 0x20
	s_load_b64 s[2:3], s[0:1], 0x40
	s_load_b32 s4, s[0:1], 0x18
	s_load_b96 s[16:18], s[0:1], 0x30
	v_mov_b32_e32 v1, v3
	s_load_b128 s[12:15], s[0:1], 0x8
	s_wait_kmcnt 0x0
	v_mul_u64_e32 v[4:5], s[8:9], v[2:3]
	v_mul_u64_e32 v[6:7], s[2:3], v[2:3]
	s_ashr_i32 s5, s4, 31
	s_ashr_i32 s9, s18, 31
	s_mov_b32 s8, s18
	v_mul_u64_e32 v[8:9], s[4:5], v[0:1]
	v_mul_u64_e32 v[10:11], s[8:9], v[0:1]
	s_lshl_b64 s[2:3], s[14:15], 3
	s_lshl_b64 s[14:15], s[16:17], 3
	s_add_nc_u64 s[2:3], s[12:13], s[2:3]
	s_add_nc_u64 s[10:11], s[10:11], s[14:15]
	v_mov_b32_e32 v1, v0
	v_lshlrev_b64_e32 v[4:5], 3, v[4:5]
	v_lshlrev_b64_e32 v[6:7], 3, v[6:7]
	s_delay_alu instid0(VALU_DEP_2) | instskip(NEXT) | instid1(VALU_DEP_2)
	v_lshl_add_u64 v[4:5], v[8:9], 3, v[4:5]
	v_lshl_add_u64 v[8:9], v[10:11], 3, v[6:7]
	s_delay_alu instid0(VALU_DEP_2) | instskip(NEXT) | instid1(VALU_DEP_2)
	v_add_nc_u64_e32 v[6:7], s[2:3], v[4:5]
	v_add_nc_u64_e32 v[8:9], s[10:11], v[8:9]
	v_mov_b64_e32 v[4:5], 0
	s_lshl_b64 s[2:3], s[4:5], 8
	s_lshl_b64 s[4:5], s[8:9], 8
	s_mov_b32 s8, 0
.LBB252_3:                              ; =>This Inner Loop Header: Depth=1
	global_load_b64 v[10:11], v[6:7], off
	global_load_b64 v[12:13], v[8:9], off
	v_add_nc_u32_e32 v1, 32, v1
	s_wait_xcnt 0x1
	v_add_nc_u64_e32 v[6:7], s[2:3], v[6:7]
	s_wait_xcnt 0x0
	v_add_nc_u64_e32 v[8:9], s[4:5], v[8:9]
	v_cmp_le_i32_e32 vcc_lo, s6, v1
	s_or_b32 s8, vcc_lo, s8
	s_wait_loadcnt 0x0
	v_fmac_f64_e32 v[4:5], v[10:11], v[12:13]
	s_and_not1_b32 exec_lo, exec_lo, s8
	s_cbranch_execnz .LBB252_3
; %bb.4:
	s_or_b32 exec_lo, exec_lo, s8
.LBB252_5:
	s_delay_alu instid0(SALU_CYCLE_1) | instskip(SKIP_4) | instid1(VALU_DEP_1)
	s_or_b32 exec_lo, exec_lo, s7
	v_mbcnt_lo_u32_b32 v1, -1, 0
	s_load_b64 s[0:1], s[0:1], 0x50
	s_barrier_signal -1
	s_barrier_wait -1
	v_lshl_or_b32 v7, v1, 2, 64
	v_cmp_gt_u32_e32 vcc_lo, 24, v1
	ds_bpermute_b32 v6, v7, v4
	ds_bpermute_b32 v7, v7, v5
	s_wait_dscnt 0x0
	v_add_f64_e32 v[4:5], v[4:5], v[6:7]
	v_cndmask_b32_e64 v6, 0, 8, vcc_lo
	v_cmp_gt_u32_e32 vcc_lo, 28, v1
	s_delay_alu instid0(VALU_DEP_2)
	v_add_lshl_u32 v7, v6, v1, 2
	ds_bpermute_b32 v6, v7, v4
	ds_bpermute_b32 v7, v7, v5
	s_wait_dscnt 0x0
	v_add_f64_e32 v[4:5], v[4:5], v[6:7]
	v_cndmask_b32_e64 v6, 0, 4, vcc_lo
	v_cmp_gt_u32_e32 vcc_lo, 30, v1
	s_delay_alu instid0(VALU_DEP_2)
	v_add_lshl_u32 v7, v6, v1, 2
	ds_bpermute_b32 v6, v7, v4
	ds_bpermute_b32 v7, v7, v5
	s_wait_dscnt 0x0
	v_add_f64_e32 v[4:5], v[4:5], v[6:7]
	v_cndmask_b32_e64 v6, 0, 2, vcc_lo
	v_cmp_ne_u32_e32 vcc_lo, 31, v1
	s_delay_alu instid0(VALU_DEP_2) | instskip(SKIP_2) | instid1(VALU_DEP_2)
	v_add_lshl_u32 v7, v6, v1, 2
	v_add_co_ci_u32_e64 v1, null, 0, v1, vcc_lo
	v_cmp_eq_u32_e32 vcc_lo, 0, v0
	v_lshlrev_b32_e32 v1, 2, v1
	ds_bpermute_b32 v6, v7, v4
	ds_bpermute_b32 v7, v7, v5
	s_wait_dscnt 0x0
	v_add_f64_e32 v[4:5], v[4:5], v[6:7]
	ds_bpermute_b32 v6, v1, v4
	ds_bpermute_b32 v7, v1, v5
	s_and_b32 exec_lo, exec_lo, vcc_lo
	s_cbranch_execz .LBB252_7
; %bb.6:
	s_wait_dscnt 0x0
	v_add_f64_e32 v[0:1], v[4:5], v[6:7]
	s_wait_kmcnt 0x0
	v_lshl_add_u64 v[2:3], v[2:3], 3, s[0:1]
	global_store_b64 v[2:3], v[0:1], off
.LBB252_7:
	s_endpgm
	.section	.rodata,"a",@progbits
	.p2align	6, 0x0
	.amdhsa_kernel _ZL28rocblas_dot_batched_4_kernelIiLi32ELi4ELb1EddPKdEviT5_lT_lS2_lS3_liPT4_
		.amdhsa_group_segment_fixed_size 0
		.amdhsa_private_segment_fixed_size 0
		.amdhsa_kernarg_size 88
		.amdhsa_user_sgpr_count 2
		.amdhsa_user_sgpr_dispatch_ptr 0
		.amdhsa_user_sgpr_queue_ptr 0
		.amdhsa_user_sgpr_kernarg_segment_ptr 1
		.amdhsa_user_sgpr_dispatch_id 0
		.amdhsa_user_sgpr_kernarg_preload_length 0
		.amdhsa_user_sgpr_kernarg_preload_offset 0
		.amdhsa_user_sgpr_private_segment_size 0
		.amdhsa_wavefront_size32 1
		.amdhsa_uses_dynamic_stack 0
		.amdhsa_enable_private_segment 0
		.amdhsa_system_sgpr_workgroup_id_x 1
		.amdhsa_system_sgpr_workgroup_id_y 0
		.amdhsa_system_sgpr_workgroup_id_z 0
		.amdhsa_system_sgpr_workgroup_info 0
		.amdhsa_system_vgpr_workitem_id 1
		.amdhsa_next_free_vgpr 14
		.amdhsa_next_free_sgpr 19
		.amdhsa_named_barrier_count 0
		.amdhsa_reserve_vcc 1
		.amdhsa_float_round_mode_32 0
		.amdhsa_float_round_mode_16_64 0
		.amdhsa_float_denorm_mode_32 3
		.amdhsa_float_denorm_mode_16_64 3
		.amdhsa_fp16_overflow 0
		.amdhsa_memory_ordered 1
		.amdhsa_forward_progress 1
		.amdhsa_inst_pref_size 6
		.amdhsa_round_robin_scheduling 0
		.amdhsa_exception_fp_ieee_invalid_op 0
		.amdhsa_exception_fp_denorm_src 0
		.amdhsa_exception_fp_ieee_div_zero 0
		.amdhsa_exception_fp_ieee_overflow 0
		.amdhsa_exception_fp_ieee_underflow 0
		.amdhsa_exception_fp_ieee_inexact 0
		.amdhsa_exception_int_div_zero 0
	.end_amdhsa_kernel
	.section	.text._ZL28rocblas_dot_batched_4_kernelIiLi32ELi4ELb1EddPKdEviT5_lT_lS2_lS3_liPT4_,"axG",@progbits,_ZL28rocblas_dot_batched_4_kernelIiLi32ELi4ELb1EddPKdEviT5_lT_lS2_lS3_liPT4_,comdat
.Lfunc_end252:
	.size	_ZL28rocblas_dot_batched_4_kernelIiLi32ELi4ELb1EddPKdEviT5_lT_lS2_lS3_liPT4_, .Lfunc_end252-_ZL28rocblas_dot_batched_4_kernelIiLi32ELi4ELb1EddPKdEviT5_lT_lS2_lS3_liPT4_
                                        ; -- End function
	.set _ZL28rocblas_dot_batched_4_kernelIiLi32ELi4ELb1EddPKdEviT5_lT_lS2_lS3_liPT4_.num_vgpr, 14
	.set _ZL28rocblas_dot_batched_4_kernelIiLi32ELi4ELb1EddPKdEviT5_lT_lS2_lS3_liPT4_.num_agpr, 0
	.set _ZL28rocblas_dot_batched_4_kernelIiLi32ELi4ELb1EddPKdEviT5_lT_lS2_lS3_liPT4_.numbered_sgpr, 19
	.set _ZL28rocblas_dot_batched_4_kernelIiLi32ELi4ELb1EddPKdEviT5_lT_lS2_lS3_liPT4_.num_named_barrier, 0
	.set _ZL28rocblas_dot_batched_4_kernelIiLi32ELi4ELb1EddPKdEviT5_lT_lS2_lS3_liPT4_.private_seg_size, 0
	.set _ZL28rocblas_dot_batched_4_kernelIiLi32ELi4ELb1EddPKdEviT5_lT_lS2_lS3_liPT4_.uses_vcc, 1
	.set _ZL28rocblas_dot_batched_4_kernelIiLi32ELi4ELb1EddPKdEviT5_lT_lS2_lS3_liPT4_.uses_flat_scratch, 0
	.set _ZL28rocblas_dot_batched_4_kernelIiLi32ELi4ELb1EddPKdEviT5_lT_lS2_lS3_liPT4_.has_dyn_sized_stack, 0
	.set _ZL28rocblas_dot_batched_4_kernelIiLi32ELi4ELb1EddPKdEviT5_lT_lS2_lS3_liPT4_.has_recursion, 0
	.set _ZL28rocblas_dot_batched_4_kernelIiLi32ELi4ELb1EddPKdEviT5_lT_lS2_lS3_liPT4_.has_indirect_call, 0
	.section	.AMDGPU.csdata,"",@progbits
; Kernel info:
; codeLenInByte = 648
; TotalNumSgprs: 21
; NumVgprs: 14
; ScratchSize: 0
; MemoryBound: 0
; FloatMode: 240
; IeeeMode: 1
; LDSByteSize: 0 bytes/workgroup (compile time only)
; SGPRBlocks: 0
; VGPRBlocks: 0
; NumSGPRsForWavesPerEU: 21
; NumVGPRsForWavesPerEU: 14
; NamedBarCnt: 0
; Occupancy: 16
; WaveLimiterHint : 0
; COMPUTE_PGM_RSRC2:SCRATCH_EN: 0
; COMPUTE_PGM_RSRC2:USER_SGPR: 2
; COMPUTE_PGM_RSRC2:TRAP_HANDLER: 0
; COMPUTE_PGM_RSRC2:TGID_X_EN: 1
; COMPUTE_PGM_RSRC2:TGID_Y_EN: 0
; COMPUTE_PGM_RSRC2:TGID_Z_EN: 0
; COMPUTE_PGM_RSRC2:TIDIG_COMP_CNT: 1
	.section	.text._ZL28rocblas_dot_batched_4_kernelIiLi64ELi4ELb1EddPKdEviT5_lT_lS2_lS3_liPT4_,"axG",@progbits,_ZL28rocblas_dot_batched_4_kernelIiLi64ELi4ELb1EddPKdEviT5_lT_lS2_lS3_liPT4_,comdat
	.globl	_ZL28rocblas_dot_batched_4_kernelIiLi64ELi4ELb1EddPKdEviT5_lT_lS2_lS3_liPT4_ ; -- Begin function _ZL28rocblas_dot_batched_4_kernelIiLi64ELi4ELb1EddPKdEviT5_lT_lS2_lS3_liPT4_
	.p2align	8
	.type	_ZL28rocblas_dot_batched_4_kernelIiLi64ELi4ELb1EddPKdEviT5_lT_lS2_lS3_liPT4_,@function
_ZL28rocblas_dot_batched_4_kernelIiLi64ELi4ELb1EddPKdEviT5_lT_lS2_lS3_liPT4_: ; @_ZL28rocblas_dot_batched_4_kernelIiLi64ELi4ELb1EddPKdEviT5_lT_lS2_lS3_liPT4_
; %bb.0:
	s_load_b32 s2, s[0:1], 0x48
	s_bfe_u32 s3, ttmp6, 0x4000c
	s_and_b32 s4, ttmp6, 15
	s_add_co_i32 s3, s3, 1
	v_bfe_u32 v1, v0, 10, 10
	s_mul_i32 s3, ttmp9, s3
	s_delay_alu instid0(SALU_CYCLE_1) | instskip(SKIP_1) | instid1(SALU_CYCLE_1)
	s_add_co_i32 s4, s4, s3
	s_getreg_b32 s3, hwreg(HW_REG_IB_STS2, 6, 4)
	s_cmp_eq_u32 s3, 0
	s_cselect_b32 s3, ttmp9, s4
	s_delay_alu instid0(SALU_CYCLE_1) | instskip(SKIP_1) | instid1(VALU_DEP_1)
	v_lshl_add_u32 v2, s3, 2, v1
	s_wait_kmcnt 0x0
	v_cmp_gt_u32_e32 vcc_lo, s2, v2
	s_and_saveexec_b32 s2, vcc_lo
	s_cbranch_execz .LBB253_7
; %bb.1:
	s_load_b32 s6, s[0:1], 0x0
	v_mov_b64_e32 v[4:5], 0
	v_and_b32_e32 v0, 0x3ff, v0
	v_mov_b32_e32 v3, 0
	s_mov_b32 s7, exec_lo
	s_wait_kmcnt 0x0
	s_delay_alu instid0(VALU_DEP_2)
	v_cmpx_gt_i32_e64 s6, v0
	s_cbranch_execz .LBB253_5
; %bb.2:
	s_clause 0x3
	s_load_b128 s[8:11], s[0:1], 0x20
	s_load_b64 s[2:3], s[0:1], 0x40
	s_load_b32 s4, s[0:1], 0x18
	s_load_b96 s[16:18], s[0:1], 0x30
	v_mov_b32_e32 v1, v3
	s_load_b128 s[12:15], s[0:1], 0x8
	s_wait_kmcnt 0x0
	v_mul_u64_e32 v[4:5], s[8:9], v[2:3]
	v_mul_u64_e32 v[6:7], s[2:3], v[2:3]
	s_ashr_i32 s5, s4, 31
	s_ashr_i32 s9, s18, 31
	s_mov_b32 s8, s18
	v_mul_u64_e32 v[8:9], s[4:5], v[0:1]
	v_mul_u64_e32 v[10:11], s[8:9], v[0:1]
	s_lshl_b64 s[2:3], s[14:15], 3
	s_lshl_b64 s[14:15], s[16:17], 3
	s_add_nc_u64 s[2:3], s[12:13], s[2:3]
	s_add_nc_u64 s[10:11], s[10:11], s[14:15]
	v_mov_b32_e32 v1, v0
	v_lshlrev_b64_e32 v[4:5], 3, v[4:5]
	v_lshlrev_b64_e32 v[6:7], 3, v[6:7]
	s_delay_alu instid0(VALU_DEP_2) | instskip(NEXT) | instid1(VALU_DEP_2)
	v_lshl_add_u64 v[4:5], v[8:9], 3, v[4:5]
	v_lshl_add_u64 v[8:9], v[10:11], 3, v[6:7]
	s_delay_alu instid0(VALU_DEP_2) | instskip(NEXT) | instid1(VALU_DEP_2)
	v_add_nc_u64_e32 v[6:7], s[2:3], v[4:5]
	v_add_nc_u64_e32 v[8:9], s[10:11], v[8:9]
	v_mov_b64_e32 v[4:5], 0
	s_lshl_b64 s[2:3], s[4:5], 9
	s_lshl_b64 s[4:5], s[8:9], 9
	s_mov_b32 s8, 0
.LBB253_3:                              ; =>This Inner Loop Header: Depth=1
	global_load_b64 v[10:11], v[6:7], off
	global_load_b64 v[12:13], v[8:9], off
	v_add_nc_u32_e32 v1, 64, v1
	s_wait_xcnt 0x1
	v_add_nc_u64_e32 v[6:7], s[2:3], v[6:7]
	s_wait_xcnt 0x0
	v_add_nc_u64_e32 v[8:9], s[4:5], v[8:9]
	v_cmp_le_i32_e32 vcc_lo, s6, v1
	s_or_b32 s8, vcc_lo, s8
	s_wait_loadcnt 0x0
	v_fmac_f64_e32 v[4:5], v[10:11], v[12:13]
	s_and_not1_b32 exec_lo, exec_lo, s8
	s_cbranch_execnz .LBB253_3
; %bb.4:
	s_or_b32 exec_lo, exec_lo, s8
.LBB253_5:
	s_delay_alu instid0(SALU_CYCLE_1) | instskip(SKIP_4) | instid1(VALU_DEP_1)
	s_or_b32 exec_lo, exec_lo, s7
	v_mbcnt_lo_u32_b32 v1, -1, 0
	s_load_b64 s[0:1], s[0:1], 0x50
	s_barrier_signal -1
	s_barrier_wait -1
	v_lshlrev_b32_e32 v8, 2, v1
	v_cmp_gt_u32_e32 vcc_lo, 24, v1
	ds_bpermute_b32 v6, v8, v4
	ds_bpermute_b32 v7, v8, v5
	s_wait_dscnt 0x0
	v_dual_add_f64 v[4:5], v[4:5], v[6:7] :: v_dual_bitop2_b32 v7, 64, v8 bitop3:0x54
	ds_bpermute_b32 v6, v7, v4
	ds_bpermute_b32 v7, v7, v5
	s_wait_dscnt 0x0
	v_add_f64_e32 v[4:5], v[4:5], v[6:7]
	v_cndmask_b32_e64 v6, 0, 8, vcc_lo
	v_cmp_gt_u32_e32 vcc_lo, 28, v1
	s_delay_alu instid0(VALU_DEP_2)
	v_add_lshl_u32 v7, v6, v1, 2
	ds_bpermute_b32 v6, v7, v4
	ds_bpermute_b32 v7, v7, v5
	s_wait_dscnt 0x0
	v_add_f64_e32 v[4:5], v[4:5], v[6:7]
	v_cndmask_b32_e64 v6, 0, 4, vcc_lo
	v_cmp_gt_u32_e32 vcc_lo, 30, v1
	s_delay_alu instid0(VALU_DEP_2)
	v_add_lshl_u32 v7, v6, v1, 2
	ds_bpermute_b32 v6, v7, v4
	ds_bpermute_b32 v7, v7, v5
	s_wait_dscnt 0x0
	v_add_f64_e32 v[4:5], v[4:5], v[6:7]
	v_cndmask_b32_e64 v6, 0, 2, vcc_lo
	v_cmp_ne_u32_e32 vcc_lo, 31, v1
	s_delay_alu instid0(VALU_DEP_2) | instskip(SKIP_2) | instid1(VALU_DEP_2)
	v_add_lshl_u32 v7, v6, v1, 2
	v_add_co_ci_u32_e64 v1, null, 0, v1, vcc_lo
	v_cmp_eq_u32_e32 vcc_lo, 0, v0
	v_lshlrev_b32_e32 v1, 2, v1
	ds_bpermute_b32 v6, v7, v4
	ds_bpermute_b32 v7, v7, v5
	s_wait_dscnt 0x0
	v_add_f64_e32 v[4:5], v[4:5], v[6:7]
	ds_bpermute_b32 v6, v1, v4
	ds_bpermute_b32 v7, v1, v5
	s_and_b32 exec_lo, exec_lo, vcc_lo
	s_cbranch_execz .LBB253_7
; %bb.6:
	s_wait_dscnt 0x0
	v_add_f64_e32 v[0:1], v[4:5], v[6:7]
	s_wait_kmcnt 0x0
	v_lshl_add_u64 v[2:3], v[2:3], 3, s[0:1]
	global_store_b64 v[2:3], v[0:1], off
.LBB253_7:
	s_endpgm
	.section	.rodata,"a",@progbits
	.p2align	6, 0x0
	.amdhsa_kernel _ZL28rocblas_dot_batched_4_kernelIiLi64ELi4ELb1EddPKdEviT5_lT_lS2_lS3_liPT4_
		.amdhsa_group_segment_fixed_size 0
		.amdhsa_private_segment_fixed_size 0
		.amdhsa_kernarg_size 88
		.amdhsa_user_sgpr_count 2
		.amdhsa_user_sgpr_dispatch_ptr 0
		.amdhsa_user_sgpr_queue_ptr 0
		.amdhsa_user_sgpr_kernarg_segment_ptr 1
		.amdhsa_user_sgpr_dispatch_id 0
		.amdhsa_user_sgpr_kernarg_preload_length 0
		.amdhsa_user_sgpr_kernarg_preload_offset 0
		.amdhsa_user_sgpr_private_segment_size 0
		.amdhsa_wavefront_size32 1
		.amdhsa_uses_dynamic_stack 0
		.amdhsa_enable_private_segment 0
		.amdhsa_system_sgpr_workgroup_id_x 1
		.amdhsa_system_sgpr_workgroup_id_y 0
		.amdhsa_system_sgpr_workgroup_id_z 0
		.amdhsa_system_sgpr_workgroup_info 0
		.amdhsa_system_vgpr_workitem_id 1
		.amdhsa_next_free_vgpr 14
		.amdhsa_next_free_sgpr 19
		.amdhsa_named_barrier_count 0
		.amdhsa_reserve_vcc 1
		.amdhsa_float_round_mode_32 0
		.amdhsa_float_round_mode_16_64 0
		.amdhsa_float_denorm_mode_32 3
		.amdhsa_float_denorm_mode_16_64 3
		.amdhsa_fp16_overflow 0
		.amdhsa_memory_ordered 1
		.amdhsa_forward_progress 1
		.amdhsa_inst_pref_size 6
		.amdhsa_round_robin_scheduling 0
		.amdhsa_exception_fp_ieee_invalid_op 0
		.amdhsa_exception_fp_denorm_src 0
		.amdhsa_exception_fp_ieee_div_zero 0
		.amdhsa_exception_fp_ieee_overflow 0
		.amdhsa_exception_fp_ieee_underflow 0
		.amdhsa_exception_fp_ieee_inexact 0
		.amdhsa_exception_int_div_zero 0
	.end_amdhsa_kernel
	.section	.text._ZL28rocblas_dot_batched_4_kernelIiLi64ELi4ELb1EddPKdEviT5_lT_lS2_lS3_liPT4_,"axG",@progbits,_ZL28rocblas_dot_batched_4_kernelIiLi64ELi4ELb1EddPKdEviT5_lT_lS2_lS3_liPT4_,comdat
.Lfunc_end253:
	.size	_ZL28rocblas_dot_batched_4_kernelIiLi64ELi4ELb1EddPKdEviT5_lT_lS2_lS3_liPT4_, .Lfunc_end253-_ZL28rocblas_dot_batched_4_kernelIiLi64ELi4ELb1EddPKdEviT5_lT_lS2_lS3_liPT4_
                                        ; -- End function
	.set _ZL28rocblas_dot_batched_4_kernelIiLi64ELi4ELb1EddPKdEviT5_lT_lS2_lS3_liPT4_.num_vgpr, 14
	.set _ZL28rocblas_dot_batched_4_kernelIiLi64ELi4ELb1EddPKdEviT5_lT_lS2_lS3_liPT4_.num_agpr, 0
	.set _ZL28rocblas_dot_batched_4_kernelIiLi64ELi4ELb1EddPKdEviT5_lT_lS2_lS3_liPT4_.numbered_sgpr, 19
	.set _ZL28rocblas_dot_batched_4_kernelIiLi64ELi4ELb1EddPKdEviT5_lT_lS2_lS3_liPT4_.num_named_barrier, 0
	.set _ZL28rocblas_dot_batched_4_kernelIiLi64ELi4ELb1EddPKdEviT5_lT_lS2_lS3_liPT4_.private_seg_size, 0
	.set _ZL28rocblas_dot_batched_4_kernelIiLi64ELi4ELb1EddPKdEviT5_lT_lS2_lS3_liPT4_.uses_vcc, 1
	.set _ZL28rocblas_dot_batched_4_kernelIiLi64ELi4ELb1EddPKdEviT5_lT_lS2_lS3_liPT4_.uses_flat_scratch, 0
	.set _ZL28rocblas_dot_batched_4_kernelIiLi64ELi4ELb1EddPKdEviT5_lT_lS2_lS3_liPT4_.has_dyn_sized_stack, 0
	.set _ZL28rocblas_dot_batched_4_kernelIiLi64ELi4ELb1EddPKdEviT5_lT_lS2_lS3_liPT4_.has_recursion, 0
	.set _ZL28rocblas_dot_batched_4_kernelIiLi64ELi4ELb1EddPKdEviT5_lT_lS2_lS3_liPT4_.has_indirect_call, 0
	.section	.AMDGPU.csdata,"",@progbits
; Kernel info:
; codeLenInByte = 676
; TotalNumSgprs: 21
; NumVgprs: 14
; ScratchSize: 0
; MemoryBound: 0
; FloatMode: 240
; IeeeMode: 1
; LDSByteSize: 0 bytes/workgroup (compile time only)
; SGPRBlocks: 0
; VGPRBlocks: 0
; NumSGPRsForWavesPerEU: 21
; NumVGPRsForWavesPerEU: 14
; NamedBarCnt: 0
; Occupancy: 16
; WaveLimiterHint : 0
; COMPUTE_PGM_RSRC2:SCRATCH_EN: 0
; COMPUTE_PGM_RSRC2:USER_SGPR: 2
; COMPUTE_PGM_RSRC2:TRAP_HANDLER: 0
; COMPUTE_PGM_RSRC2:TGID_X_EN: 1
; COMPUTE_PGM_RSRC2:TGID_Y_EN: 0
; COMPUTE_PGM_RSRC2:TGID_Z_EN: 0
; COMPUTE_PGM_RSRC2:TIDIG_COMP_CNT: 1
	.section	.text._ZL26rocblas_dot_kernel_inc1by2ILb1ELi1024ELi32ELb1EdPKddEviT4_llS2_lliPT5_PT3_,"axG",@progbits,_ZL26rocblas_dot_kernel_inc1by2ILb1ELi1024ELi32ELb1EdPKddEviT4_llS2_lliPT5_PT3_,comdat
	.globl	_ZL26rocblas_dot_kernel_inc1by2ILb1ELi1024ELi32ELb1EdPKddEviT4_llS2_lliPT5_PT3_ ; -- Begin function _ZL26rocblas_dot_kernel_inc1by2ILb1ELi1024ELi32ELb1EdPKddEviT4_llS2_lliPT5_PT3_
	.p2align	8
	.type	_ZL26rocblas_dot_kernel_inc1by2ILb1ELi1024ELi32ELb1EdPKddEviT4_llS2_lliPT5_PT3_,@function
_ZL26rocblas_dot_kernel_inc1by2ILb1ELi1024ELi32ELb1EdPKddEviT4_llS2_lliPT5_PT3_: ; @_ZL26rocblas_dot_kernel_inc1by2ILb1ELi1024ELi32ELb1EdPKddEviT4_llS2_lliPT5_PT3_
; %bb.0:
	s_load_b32 s3, s[0:1], 0x38
	s_bfe_u32 s2, ttmp6, 0x40014
	s_lshr_b32 s4, ttmp7, 16
	s_add_co_i32 s2, s2, 1
	s_bfe_u32 s5, ttmp6, 0x40008
	s_mul_i32 s2, s4, s2
	s_getreg_b32 s6, hwreg(HW_REG_IB_STS2, 6, 4)
	s_add_co_i32 s5, s5, s2
	s_cmp_eq_u32 s6, 0
	s_mov_b32 s9, 0
	s_cselect_b32 s8, s4, s5
	s_wait_kmcnt 0x0
	s_cmp_ge_u32 s8, s3
	s_cbranch_scc1 .LBB254_17
; %bb.1:
	v_mbcnt_lo_u32_b32 v2, -1, 0
	s_clause 0x5
	s_load_b64 s[18:19], s[0:1], 0x8
	s_load_b32 s16, s[0:1], 0x0
	s_load_b64 s[20:21], s[0:1], 0x20
	s_load_b128 s[4:7], s[0:1], 0x10
	s_load_b64 s[10:11], s[0:1], 0x48
	s_load_b128 s[12:15], s[0:1], 0x28
	v_and_b32_e32 v1, 31, v0
	s_wait_xcnt 0x0
	v_cmp_eq_u32_e64 s1, 0, v0
	v_cmp_gt_u32_e64 s0, 24, v2
	v_lshl_or_b32 v11, v2, 2, 64
	v_mov_b32_e32 v17, 0
	v_cmp_gt_u32_e32 vcc_lo, 32, v0
	s_delay_alu instid0(VALU_DEP_4) | instskip(SKIP_1) | instid1(VALU_DEP_2)
	v_cndmask_b32_e64 v3, 0, 8, s0
	v_cmp_gt_u32_e64 s0, 28, v2
	v_add_lshl_u32 v12, v3, v2, 2
	s_delay_alu instid0(VALU_DEP_2) | instskip(SKIP_2) | instid1(VALU_DEP_3)
	v_cndmask_b32_e64 v4, 0, 4, s0
	v_cmp_gt_u32_e64 s0, 30, v2
	v_lshrrev_b32_e32 v3, 2, v0
	v_add_lshl_u32 v13, v4, v2, 2
	s_delay_alu instid0(VALU_DEP_3) | instskip(SKIP_1) | instid1(VALU_DEP_4)
	v_cndmask_b32_e64 v5, 0, 2, s0
	v_cmp_ne_u32_e64 s0, 31, v2
	v_and_b32_e32 v16, 0xf8, v3
	s_wait_kmcnt 0x0
	s_lshl_b64 s[12:13], s[12:13], 3
	s_lshl_b64 s[6:7], s[6:7], 3
	v_add_lshl_u32 v14, v5, v2, 2
	v_add_co_ci_u32_e64 v6, null, 0, v2, s0
	v_mov_b64_e32 v[2:3], 0
	v_lshlrev_b32_e32 v10, 3, v1
	v_cmp_eq_u32_e64 s0, 0, v1
	s_delay_alu instid0(VALU_DEP_4)
	v_lshlrev_b32_e32 v15, 2, v6
	s_add_nc_u64 s[12:13], s[20:21], s[12:13]
	s_lshl_b64 s[20:21], s[4:5], 3
	s_lshl_b64 s[4:5], s[14:15], 3
	s_add_nc_u64 s[14:15], s[18:19], s[20:21]
	s_branch .LBB254_3
.LBB254_2:                              ;   in Loop: Header=BB254_3 Depth=1
	s_wait_xcnt 0x0
	s_or_b32 exec_lo, exec_lo, s2
	s_add_co_i32 s8, s8, 0x10000
	s_delay_alu instid0(SALU_CYCLE_1)
	s_cmp_lt_u32 s8, s3
	s_cbranch_scc0 .LBB254_17
.LBB254_3:                              ; =>This Loop Header: Depth=1
                                        ;     Child Loop BB254_5 Depth 2
	s_wait_dscnt 0x0
	v_mov_b64_e32 v[4:5], 0
	s_mov_b32 s17, exec_lo
	v_cmpx_gt_i32_e64 s16, v0
	s_cbranch_execz .LBB254_7
; %bb.4:                                ;   in Loop: Header=BB254_3 Depth=1
	v_ashrrev_i32_e32 v1, 31, v0
	s_mul_u64 s[18:19], s[4:5], s[8:9]
	s_mul_u64 s[20:21], s[6:7], s[8:9]
	s_add_nc_u64 s[18:19], s[12:13], s[18:19]
	s_add_nc_u64 s[20:21], s[14:15], s[20:21]
	v_lshlrev_b64_e32 v[4:5], 3, v[0:1]
	s_delay_alu instid0(VALU_DEP_1)
	v_add_nc_u64_e32 v[6:7], s[18:19], v[4:5]
	v_add_nc_u64_e32 v[8:9], s[20:21], v[4:5]
	v_mov_b64_e32 v[4:5], 0
	s_mov_b32 s18, 0
	s_mov_b32 s19, 0
.LBB254_5:                              ;   Parent Loop BB254_3 Depth=1
                                        ; =>  This Inner Loop Header: Depth=2
	global_load_b64 v[18:19], v[6:7], off
	global_load_b64 v[20:21], v[8:9], off
	v_add_nc_u32_e32 v0, 0x400, v0
	s_add_co_i32 s20, s19, 1
	s_cmp_gt_u32 s19, 30
	s_wait_xcnt 0x1
	v_add_nc_u64_e32 v[6:7], 0x2000, v[6:7]
	s_cselect_b32 s19, -1, 0
	v_cmp_le_i32_e64 s2, s16, v0
	s_wait_xcnt 0x0
	v_add_nc_u64_e32 v[8:9], 0x2000, v[8:9]
	s_or_b32 s2, s19, s2
	s_mov_b32 s19, s20
	s_and_b32 s2, exec_lo, s2
	s_delay_alu instid0(SALU_CYCLE_1)
	s_or_b32 s18, s2, s18
	s_wait_loadcnt 0x0
	v_fmac_f64_e32 v[4:5], v[18:19], v[20:21]
	s_and_not1_b32 exec_lo, exec_lo, s18
	s_cbranch_execnz .LBB254_5
; %bb.6:                                ;   in Loop: Header=BB254_3 Depth=1
	s_or_b32 exec_lo, exec_lo, s18
.LBB254_7:                              ;   in Loop: Header=BB254_3 Depth=1
	s_delay_alu instid0(SALU_CYCLE_1)
	s_or_b32 exec_lo, exec_lo, s17
	s_and_saveexec_b32 s2, vcc_lo
; %bb.8:                                ;   in Loop: Header=BB254_3 Depth=1
	ds_store_b64 v10, v[2:3]
; %bb.9:                                ;   in Loop: Header=BB254_3 Depth=1
	s_or_b32 exec_lo, exec_lo, s2
	ds_bpermute_b32 v6, v11, v4
	ds_bpermute_b32 v7, v11, v5
	s_wait_dscnt 0x0
	s_barrier_signal -1
	s_barrier_wait -1
	v_add_f64_e32 v[4:5], v[4:5], v[6:7]
	ds_bpermute_b32 v6, v12, v4
	ds_bpermute_b32 v7, v12, v5
	s_wait_dscnt 0x0
	v_add_f64_e32 v[4:5], v[4:5], v[6:7]
	ds_bpermute_b32 v6, v13, v4
	ds_bpermute_b32 v7, v13, v5
	s_wait_dscnt 0x0
	v_add_f64_e32 v[4:5], v[4:5], v[6:7]
	ds_bpermute_b32 v6, v14, v4
	ds_bpermute_b32 v7, v14, v5
	s_wait_dscnt 0x0
	v_add_f64_e32 v[4:5], v[4:5], v[6:7]
	ds_bpermute_b32 v6, v15, v4
	ds_bpermute_b32 v7, v15, v5
	s_and_saveexec_b32 s2, s0
	s_cbranch_execz .LBB254_11
; %bb.10:                               ;   in Loop: Header=BB254_3 Depth=1
	s_wait_dscnt 0x0
	v_add_f64_e32 v[4:5], v[4:5], v[6:7]
	ds_store_b64 v16, v[4:5]
.LBB254_11:                             ;   in Loop: Header=BB254_3 Depth=1
	s_or_b32 exec_lo, exec_lo, s2
	v_mov_b64_e32 v[4:5], 0
	s_wait_dscnt 0x0
	s_barrier_signal -1
	s_barrier_wait -1
	s_and_saveexec_b32 s2, vcc_lo
	s_cbranch_execnz .LBB254_14
; %bb.12:                               ;   in Loop: Header=BB254_3 Depth=1
	s_or_b32 exec_lo, exec_lo, s2
	s_and_saveexec_b32 s2, vcc_lo
	s_cbranch_execnz .LBB254_15
.LBB254_13:                             ;   in Loop: Header=BB254_3 Depth=1
	s_or_b32 exec_lo, exec_lo, s2
	s_and_saveexec_b32 s2, s1
	s_cbranch_execz .LBB254_2
	s_branch .LBB254_16
.LBB254_14:                             ;   in Loop: Header=BB254_3 Depth=1
	ds_load_b64 v[4:5], v10
	s_or_b32 exec_lo, exec_lo, s2
	s_and_saveexec_b32 s2, vcc_lo
	s_cbranch_execz .LBB254_13
.LBB254_15:                             ;   in Loop: Header=BB254_3 Depth=1
	s_wait_dscnt 0x0
	ds_bpermute_b32 v6, v11, v4
	ds_bpermute_b32 v7, v11, v5
	s_wait_dscnt 0x0
	v_add_f64_e32 v[4:5], v[4:5], v[6:7]
	ds_bpermute_b32 v6, v12, v4
	ds_bpermute_b32 v7, v12, v5
	s_wait_dscnt 0x0
	v_add_f64_e32 v[4:5], v[4:5], v[6:7]
	;; [unrolled: 4-line block ×5, first 2 shown]
	s_or_b32 exec_lo, exec_lo, s2
	s_and_saveexec_b32 s2, s1
	s_cbranch_execz .LBB254_2
.LBB254_16:                             ;   in Loop: Header=BB254_3 Depth=1
	s_lshl_b64 s[18:19], s[8:9], 3
	s_delay_alu instid0(SALU_CYCLE_1)
	s_add_nc_u64 s[18:19], s[10:11], s[18:19]
	s_wait_dscnt 0x0
	global_store_b64 v17, v[4:5], s[18:19]
	s_branch .LBB254_2
.LBB254_17:
	s_endpgm
	.section	.rodata,"a",@progbits
	.p2align	6, 0x0
	.amdhsa_kernel _ZL26rocblas_dot_kernel_inc1by2ILb1ELi1024ELi32ELb1EdPKddEviT4_llS2_lliPT5_PT3_
		.amdhsa_group_segment_fixed_size 256
		.amdhsa_private_segment_fixed_size 0
		.amdhsa_kernarg_size 80
		.amdhsa_user_sgpr_count 2
		.amdhsa_user_sgpr_dispatch_ptr 0
		.amdhsa_user_sgpr_queue_ptr 0
		.amdhsa_user_sgpr_kernarg_segment_ptr 1
		.amdhsa_user_sgpr_dispatch_id 0
		.amdhsa_user_sgpr_kernarg_preload_length 0
		.amdhsa_user_sgpr_kernarg_preload_offset 0
		.amdhsa_user_sgpr_private_segment_size 0
		.amdhsa_wavefront_size32 1
		.amdhsa_uses_dynamic_stack 0
		.amdhsa_enable_private_segment 0
		.amdhsa_system_sgpr_workgroup_id_x 1
		.amdhsa_system_sgpr_workgroup_id_y 0
		.amdhsa_system_sgpr_workgroup_id_z 1
		.amdhsa_system_sgpr_workgroup_info 0
		.amdhsa_system_vgpr_workitem_id 0
		.amdhsa_next_free_vgpr 22
		.amdhsa_next_free_sgpr 22
		.amdhsa_named_barrier_count 0
		.amdhsa_reserve_vcc 1
		.amdhsa_float_round_mode_32 0
		.amdhsa_float_round_mode_16_64 0
		.amdhsa_float_denorm_mode_32 3
		.amdhsa_float_denorm_mode_16_64 3
		.amdhsa_fp16_overflow 0
		.amdhsa_memory_ordered 1
		.amdhsa_forward_progress 1
		.amdhsa_inst_pref_size 8
		.amdhsa_round_robin_scheduling 0
		.amdhsa_exception_fp_ieee_invalid_op 0
		.amdhsa_exception_fp_denorm_src 0
		.amdhsa_exception_fp_ieee_div_zero 0
		.amdhsa_exception_fp_ieee_overflow 0
		.amdhsa_exception_fp_ieee_underflow 0
		.amdhsa_exception_fp_ieee_inexact 0
		.amdhsa_exception_int_div_zero 0
	.end_amdhsa_kernel
	.section	.text._ZL26rocblas_dot_kernel_inc1by2ILb1ELi1024ELi32ELb1EdPKddEviT4_llS2_lliPT5_PT3_,"axG",@progbits,_ZL26rocblas_dot_kernel_inc1by2ILb1ELi1024ELi32ELb1EdPKddEviT4_llS2_lliPT5_PT3_,comdat
.Lfunc_end254:
	.size	_ZL26rocblas_dot_kernel_inc1by2ILb1ELi1024ELi32ELb1EdPKddEviT4_llS2_lliPT5_PT3_, .Lfunc_end254-_ZL26rocblas_dot_kernel_inc1by2ILb1ELi1024ELi32ELb1EdPKddEviT4_llS2_lliPT5_PT3_
                                        ; -- End function
	.set _ZL26rocblas_dot_kernel_inc1by2ILb1ELi1024ELi32ELb1EdPKddEviT4_llS2_lliPT5_PT3_.num_vgpr, 22
	.set _ZL26rocblas_dot_kernel_inc1by2ILb1ELi1024ELi32ELb1EdPKddEviT4_llS2_lliPT5_PT3_.num_agpr, 0
	.set _ZL26rocblas_dot_kernel_inc1by2ILb1ELi1024ELi32ELb1EdPKddEviT4_llS2_lliPT5_PT3_.numbered_sgpr, 22
	.set _ZL26rocblas_dot_kernel_inc1by2ILb1ELi1024ELi32ELb1EdPKddEviT4_llS2_lliPT5_PT3_.num_named_barrier, 0
	.set _ZL26rocblas_dot_kernel_inc1by2ILb1ELi1024ELi32ELb1EdPKddEviT4_llS2_lliPT5_PT3_.private_seg_size, 0
	.set _ZL26rocblas_dot_kernel_inc1by2ILb1ELi1024ELi32ELb1EdPKddEviT4_llS2_lliPT5_PT3_.uses_vcc, 1
	.set _ZL26rocblas_dot_kernel_inc1by2ILb1ELi1024ELi32ELb1EdPKddEviT4_llS2_lliPT5_PT3_.uses_flat_scratch, 0
	.set _ZL26rocblas_dot_kernel_inc1by2ILb1ELi1024ELi32ELb1EdPKddEviT4_llS2_lliPT5_PT3_.has_dyn_sized_stack, 0
	.set _ZL26rocblas_dot_kernel_inc1by2ILb1ELi1024ELi32ELb1EdPKddEviT4_llS2_lliPT5_PT3_.has_recursion, 0
	.set _ZL26rocblas_dot_kernel_inc1by2ILb1ELi1024ELi32ELb1EdPKddEviT4_llS2_lliPT5_PT3_.has_indirect_call, 0
	.section	.AMDGPU.csdata,"",@progbits
; Kernel info:
; codeLenInByte = 960
; TotalNumSgprs: 24
; NumVgprs: 22
; ScratchSize: 0
; MemoryBound: 0
; FloatMode: 240
; IeeeMode: 1
; LDSByteSize: 256 bytes/workgroup (compile time only)
; SGPRBlocks: 0
; VGPRBlocks: 1
; NumSGPRsForWavesPerEU: 24
; NumVGPRsForWavesPerEU: 22
; NamedBarCnt: 0
; Occupancy: 16
; WaveLimiterHint : 0
; COMPUTE_PGM_RSRC2:SCRATCH_EN: 0
; COMPUTE_PGM_RSRC2:USER_SGPR: 2
; COMPUTE_PGM_RSRC2:TRAP_HANDLER: 0
; COMPUTE_PGM_RSRC2:TGID_X_EN: 1
; COMPUTE_PGM_RSRC2:TGID_Y_EN: 0
; COMPUTE_PGM_RSRC2:TGID_Z_EN: 1
; COMPUTE_PGM_RSRC2:TIDIG_COMP_CNT: 0
	.section	.text._ZL18rocblas_dot_kernelIiLb1ELi1024ELi32ELb1EdPKddEviT5_lT_lS2_lS3_liPT6_PT4_,"axG",@progbits,_ZL18rocblas_dot_kernelIiLb1ELi1024ELi32ELb1EdPKddEviT5_lT_lS2_lS3_liPT6_PT4_,comdat
	.globl	_ZL18rocblas_dot_kernelIiLb1ELi1024ELi32ELb1EdPKddEviT5_lT_lS2_lS3_liPT6_PT4_ ; -- Begin function _ZL18rocblas_dot_kernelIiLb1ELi1024ELi32ELb1EdPKddEviT5_lT_lS2_lS3_liPT6_PT4_
	.p2align	8
	.type	_ZL18rocblas_dot_kernelIiLb1ELi1024ELi32ELb1EdPKddEviT5_lT_lS2_lS3_liPT6_PT4_,@function
_ZL18rocblas_dot_kernelIiLb1ELi1024ELi32ELb1EdPKddEviT5_lT_lS2_lS3_liPT6_PT4_: ; @_ZL18rocblas_dot_kernelIiLb1ELi1024ELi32ELb1EdPKddEviT5_lT_lS2_lS3_liPT6_PT4_
; %bb.0:
	s_load_b32 s3, s[0:1], 0x48
	s_bfe_u32 s2, ttmp6, 0x40014
	s_lshr_b32 s4, ttmp7, 16
	s_add_co_i32 s2, s2, 1
	s_bfe_u32 s5, ttmp6, 0x40008
	s_mul_i32 s2, s4, s2
	s_getreg_b32 s6, hwreg(HW_REG_IB_STS2, 6, 4)
	s_add_co_i32 s5, s5, s2
	s_cmp_eq_u32 s6, 0
	s_mov_b32 s17, 0
	s_cselect_b32 s16, s4, s5
	s_wait_kmcnt 0x0
	s_cmp_ge_u32 s16, s3
	s_cbranch_scc1 .LBB255_17
; %bb.1:
	v_mbcnt_lo_u32_b32 v3, -1, 0
	s_clause 0x6
	s_load_b32 s24, s[0:1], 0x18
	s_load_b96 s[12:14], s[0:1], 0x30
	s_load_b96 s[8:10], s[0:1], 0x58
	s_load_b128 s[4:7], s[0:1], 0x20
	s_load_b128 s[20:23], s[0:1], 0x8
	s_load_b32 s26, s[0:1], 0x0
	s_load_b64 s[28:29], s[0:1], 0x40
	v_and_b32_e32 v2, 31, v0
	s_wait_xcnt 0x0
	v_cmp_eq_u32_e64 s1, 0, v0
	v_cmp_gt_u32_e64 s0, 24, v3
	v_lshl_or_b32 v10, v3, 2, 64
	v_mov_b32_e32 v16, 0
	v_cmp_gt_u32_e32 vcc_lo, 32, v0
	s_delay_alu instid0(VALU_DEP_4) | instskip(SKIP_1) | instid1(VALU_DEP_2)
	v_cndmask_b32_e64 v4, 0, 8, s0
	v_cmp_gt_u32_e64 s0, 28, v3
	v_add_lshl_u32 v11, v4, v3, 2
	s_delay_alu instid0(VALU_DEP_2)
	v_cndmask_b32_e64 v5, 0, 4, s0
	v_cmp_gt_u32_e64 s0, 30, v3
	v_lshrrev_b32_e32 v4, 2, v0
	s_wait_kmcnt 0x0
	s_ashr_i32 s25, s24, 31
	s_lshl_b32 s10, s10, 10
	v_add_lshl_u32 v12, v5, v3, 2
	v_cndmask_b32_e64 v6, 0, 2, s0
	v_cmp_ne_u32_e64 s0, 31, v3
	s_ashr_i32 s31, s14, 31
	s_mov_b32 s30, s14
	s_lshl_b64 s[14:15], s[22:23], 3
	v_add_lshl_u32 v13, v6, v3, 2
	v_add_co_ci_u32_e64 v7, null, 0, v3, s0
	v_lshlrev_b32_e32 v1, 3, v2
	v_cmp_eq_u32_e64 s0, 0, v2
	v_mov_b64_e32 v[2:3], 0
	s_ashr_i32 s11, s10, 31
	v_lshlrev_b32_e32 v14, 2, v7
	v_and_b32_e32 v15, 0xf8, v4
	s_add_nc_u64 s[14:15], s[20:21], s[14:15]
	s_lshl_b64 s[18:19], s[24:25], 3
	s_mul_u64 s[20:21], s[24:25], s[10:11]
	s_lshl_b64 s[22:23], s[12:13], 3
	s_mul_u64 s[24:25], s[30:31], s[10:11]
	s_lshl_b64 s[4:5], s[4:5], 3
	s_lshl_b64 s[12:13], s[20:21], 3
	s_add_nc_u64 s[6:7], s[6:7], s[22:23]
	s_lshl_b64 s[20:21], s[30:31], 3
	s_lshl_b64 s[22:23], s[28:29], 3
	;; [unrolled: 1-line block ×3, first 2 shown]
	s_branch .LBB255_3
.LBB255_2:                              ;   in Loop: Header=BB255_3 Depth=1
	s_wait_xcnt 0x0
	s_or_b32 exec_lo, exec_lo, s2
	s_add_co_i32 s16, s16, 0x10000
	s_delay_alu instid0(SALU_CYCLE_1)
	s_cmp_lt_u32 s16, s3
	s_cbranch_scc0 .LBB255_17
.LBB255_3:                              ; =>This Loop Header: Depth=1
                                        ;     Child Loop BB255_5 Depth 2
	s_wait_dscnt 0x0
	v_mov_b64_e32 v[4:5], 0
	s_mov_b32 s11, exec_lo
	v_cmpx_gt_i32_e64 s26, v0
	s_cbranch_execz .LBB255_7
; %bb.4:                                ;   in Loop: Header=BB255_3 Depth=1
	s_mul_u64 s[28:29], s[4:5], s[16:17]
	s_mul_u64 s[30:31], s[22:23], s[16:17]
	s_add_nc_u64 s[28:29], s[14:15], s[28:29]
	s_add_nc_u64 s[30:31], s[6:7], s[30:31]
	v_mad_nc_u64_u32 v[6:7], s18, v0, s[28:29]
	v_mad_nc_u64_u32 v[8:9], s20, v0, s[30:31]
	s_mov_b32 s27, 0
	s_mov_b32 s28, 0
	s_delay_alu instid0(VALU_DEP_2) | instskip(NEXT) | instid1(VALU_DEP_2)
	v_mad_u32 v4, s19, v0, v7
	v_mad_u32 v5, s21, v0, v9
	v_ashrrev_i32_e32 v9, 31, v0
	s_delay_alu instid0(VALU_DEP_1) | instskip(NEXT) | instid1(VALU_DEP_3)
	v_mad_u32 v7, s18, v9, v4
	v_mad_u32 v9, s20, v9, v5
	v_mov_b64_e32 v[4:5], 0
.LBB255_5:                              ;   Parent Loop BB255_3 Depth=1
                                        ; =>  This Inner Loop Header: Depth=2
	global_load_b64 v[18:19], v[8:9], off
	global_load_b64 v[20:21], v[6:7], off
	v_add_nc_u32_e32 v0, s10, v0
	s_add_co_i32 s29, s28, 1
	s_cmp_gt_u32 s28, 30
	s_wait_xcnt 0x0
	v_add_nc_u64_e32 v[6:7], s[12:13], v[6:7]
	s_cselect_b32 s28, -1, 0
	v_cmp_le_i32_e64 s2, s26, v0
	v_add_nc_u64_e32 v[8:9], s[24:25], v[8:9]
	s_or_b32 s2, s28, s2
	s_mov_b32 s28, s29
	s_and_b32 s2, exec_lo, s2
	s_delay_alu instid0(SALU_CYCLE_1)
	s_or_b32 s27, s2, s27
	s_wait_loadcnt 0x0
	v_fmac_f64_e32 v[4:5], v[18:19], v[20:21]
	s_and_not1_b32 exec_lo, exec_lo, s27
	s_cbranch_execnz .LBB255_5
; %bb.6:                                ;   in Loop: Header=BB255_3 Depth=1
	s_or_b32 exec_lo, exec_lo, s27
.LBB255_7:                              ;   in Loop: Header=BB255_3 Depth=1
	s_delay_alu instid0(SALU_CYCLE_1)
	s_or_b32 exec_lo, exec_lo, s11
	s_and_saveexec_b32 s2, vcc_lo
; %bb.8:                                ;   in Loop: Header=BB255_3 Depth=1
	ds_store_b64 v1, v[2:3]
; %bb.9:                                ;   in Loop: Header=BB255_3 Depth=1
	s_or_b32 exec_lo, exec_lo, s2
	ds_bpermute_b32 v6, v10, v4
	ds_bpermute_b32 v7, v10, v5
	s_wait_dscnt 0x0
	s_barrier_signal -1
	s_barrier_wait -1
	v_add_f64_e32 v[4:5], v[4:5], v[6:7]
	ds_bpermute_b32 v6, v11, v4
	ds_bpermute_b32 v7, v11, v5
	s_wait_dscnt 0x0
	v_add_f64_e32 v[4:5], v[4:5], v[6:7]
	ds_bpermute_b32 v6, v12, v4
	ds_bpermute_b32 v7, v12, v5
	s_wait_dscnt 0x0
	;; [unrolled: 4-line block ×3, first 2 shown]
	v_add_f64_e32 v[4:5], v[4:5], v[6:7]
	ds_bpermute_b32 v6, v14, v4
	ds_bpermute_b32 v7, v14, v5
	s_and_saveexec_b32 s2, s0
	s_cbranch_execz .LBB255_11
; %bb.10:                               ;   in Loop: Header=BB255_3 Depth=1
	s_wait_dscnt 0x0
	v_add_f64_e32 v[4:5], v[4:5], v[6:7]
	ds_store_b64 v15, v[4:5]
.LBB255_11:                             ;   in Loop: Header=BB255_3 Depth=1
	s_or_b32 exec_lo, exec_lo, s2
	v_mov_b64_e32 v[4:5], 0
	s_wait_dscnt 0x0
	s_barrier_signal -1
	s_barrier_wait -1
	s_and_saveexec_b32 s2, vcc_lo
	s_cbranch_execnz .LBB255_14
; %bb.12:                               ;   in Loop: Header=BB255_3 Depth=1
	s_or_b32 exec_lo, exec_lo, s2
	s_and_saveexec_b32 s2, vcc_lo
	s_cbranch_execnz .LBB255_15
.LBB255_13:                             ;   in Loop: Header=BB255_3 Depth=1
	s_or_b32 exec_lo, exec_lo, s2
	s_and_saveexec_b32 s2, s1
	s_cbranch_execz .LBB255_2
	s_branch .LBB255_16
.LBB255_14:                             ;   in Loop: Header=BB255_3 Depth=1
	ds_load_b64 v[4:5], v1
	s_or_b32 exec_lo, exec_lo, s2
	s_and_saveexec_b32 s2, vcc_lo
	s_cbranch_execz .LBB255_13
.LBB255_15:                             ;   in Loop: Header=BB255_3 Depth=1
	s_wait_dscnt 0x0
	ds_bpermute_b32 v6, v10, v4
	ds_bpermute_b32 v7, v10, v5
	s_wait_dscnt 0x0
	v_add_f64_e32 v[4:5], v[4:5], v[6:7]
	ds_bpermute_b32 v6, v11, v4
	ds_bpermute_b32 v7, v11, v5
	s_wait_dscnt 0x0
	v_add_f64_e32 v[4:5], v[4:5], v[6:7]
	ds_bpermute_b32 v6, v12, v4
	ds_bpermute_b32 v7, v12, v5
	s_wait_dscnt 0x0
	v_add_f64_e32 v[4:5], v[4:5], v[6:7]
	ds_bpermute_b32 v6, v13, v4
	ds_bpermute_b32 v7, v13, v5
	s_wait_dscnt 0x0
	v_add_f64_e32 v[4:5], v[4:5], v[6:7]
	ds_bpermute_b32 v6, v14, v4
	ds_bpermute_b32 v7, v14, v5
	s_wait_dscnt 0x0
	v_add_f64_e32 v[4:5], v[4:5], v[6:7]
	s_or_b32 exec_lo, exec_lo, s2
	s_and_saveexec_b32 s2, s1
	s_cbranch_execz .LBB255_2
.LBB255_16:                             ;   in Loop: Header=BB255_3 Depth=1
	s_lshl_b64 s[28:29], s[16:17], 3
	s_delay_alu instid0(SALU_CYCLE_1)
	s_add_nc_u64 s[28:29], s[8:9], s[28:29]
	s_wait_dscnt 0x0
	global_store_b64 v16, v[4:5], s[28:29]
	s_branch .LBB255_2
.LBB255_17:
	s_endpgm
	.section	.rodata,"a",@progbits
	.p2align	6, 0x0
	.amdhsa_kernel _ZL18rocblas_dot_kernelIiLb1ELi1024ELi32ELb1EdPKddEviT5_lT_lS2_lS3_liPT6_PT4_
		.amdhsa_group_segment_fixed_size 256
		.amdhsa_private_segment_fixed_size 0
		.amdhsa_kernarg_size 352
		.amdhsa_user_sgpr_count 2
		.amdhsa_user_sgpr_dispatch_ptr 0
		.amdhsa_user_sgpr_queue_ptr 0
		.amdhsa_user_sgpr_kernarg_segment_ptr 1
		.amdhsa_user_sgpr_dispatch_id 0
		.amdhsa_user_sgpr_kernarg_preload_length 0
		.amdhsa_user_sgpr_kernarg_preload_offset 0
		.amdhsa_user_sgpr_private_segment_size 0
		.amdhsa_wavefront_size32 1
		.amdhsa_uses_dynamic_stack 0
		.amdhsa_enable_private_segment 0
		.amdhsa_system_sgpr_workgroup_id_x 1
		.amdhsa_system_sgpr_workgroup_id_y 0
		.amdhsa_system_sgpr_workgroup_id_z 1
		.amdhsa_system_sgpr_workgroup_info 0
		.amdhsa_system_vgpr_workitem_id 0
		.amdhsa_next_free_vgpr 22
		.amdhsa_next_free_sgpr 32
		.amdhsa_named_barrier_count 0
		.amdhsa_reserve_vcc 1
		.amdhsa_float_round_mode_32 0
		.amdhsa_float_round_mode_16_64 0
		.amdhsa_float_denorm_mode_32 3
		.amdhsa_float_denorm_mode_16_64 3
		.amdhsa_fp16_overflow 0
		.amdhsa_memory_ordered 1
		.amdhsa_forward_progress 1
		.amdhsa_inst_pref_size 9
		.amdhsa_round_robin_scheduling 0
		.amdhsa_exception_fp_ieee_invalid_op 0
		.amdhsa_exception_fp_denorm_src 0
		.amdhsa_exception_fp_ieee_div_zero 0
		.amdhsa_exception_fp_ieee_overflow 0
		.amdhsa_exception_fp_ieee_underflow 0
		.amdhsa_exception_fp_ieee_inexact 0
		.amdhsa_exception_int_div_zero 0
	.end_amdhsa_kernel
	.section	.text._ZL18rocblas_dot_kernelIiLb1ELi1024ELi32ELb1EdPKddEviT5_lT_lS2_lS3_liPT6_PT4_,"axG",@progbits,_ZL18rocblas_dot_kernelIiLb1ELi1024ELi32ELb1EdPKddEviT5_lT_lS2_lS3_liPT6_PT4_,comdat
.Lfunc_end255:
	.size	_ZL18rocblas_dot_kernelIiLb1ELi1024ELi32ELb1EdPKddEviT5_lT_lS2_lS3_liPT6_PT4_, .Lfunc_end255-_ZL18rocblas_dot_kernelIiLb1ELi1024ELi32ELb1EdPKddEviT5_lT_lS2_lS3_liPT6_PT4_
                                        ; -- End function
	.set _ZL18rocblas_dot_kernelIiLb1ELi1024ELi32ELb1EdPKddEviT5_lT_lS2_lS3_liPT6_PT4_.num_vgpr, 22
	.set _ZL18rocblas_dot_kernelIiLb1ELi1024ELi32ELb1EdPKddEviT5_lT_lS2_lS3_liPT6_PT4_.num_agpr, 0
	.set _ZL18rocblas_dot_kernelIiLb1ELi1024ELi32ELb1EdPKddEviT5_lT_lS2_lS3_liPT6_PT4_.numbered_sgpr, 32
	.set _ZL18rocblas_dot_kernelIiLb1ELi1024ELi32ELb1EdPKddEviT5_lT_lS2_lS3_liPT6_PT4_.num_named_barrier, 0
	.set _ZL18rocblas_dot_kernelIiLb1ELi1024ELi32ELb1EdPKddEviT5_lT_lS2_lS3_liPT6_PT4_.private_seg_size, 0
	.set _ZL18rocblas_dot_kernelIiLb1ELi1024ELi32ELb1EdPKddEviT5_lT_lS2_lS3_liPT6_PT4_.uses_vcc, 1
	.set _ZL18rocblas_dot_kernelIiLb1ELi1024ELi32ELb1EdPKddEviT5_lT_lS2_lS3_liPT6_PT4_.uses_flat_scratch, 0
	.set _ZL18rocblas_dot_kernelIiLb1ELi1024ELi32ELb1EdPKddEviT5_lT_lS2_lS3_liPT6_PT4_.has_dyn_sized_stack, 0
	.set _ZL18rocblas_dot_kernelIiLb1ELi1024ELi32ELb1EdPKddEviT5_lT_lS2_lS3_liPT6_PT4_.has_recursion, 0
	.set _ZL18rocblas_dot_kernelIiLb1ELi1024ELi32ELb1EdPKddEviT5_lT_lS2_lS3_liPT6_PT4_.has_indirect_call, 0
	.section	.AMDGPU.csdata,"",@progbits
; Kernel info:
; codeLenInByte = 1028
; TotalNumSgprs: 34
; NumVgprs: 22
; ScratchSize: 0
; MemoryBound: 0
; FloatMode: 240
; IeeeMode: 1
; LDSByteSize: 256 bytes/workgroup (compile time only)
; SGPRBlocks: 0
; VGPRBlocks: 1
; NumSGPRsForWavesPerEU: 34
; NumVGPRsForWavesPerEU: 22
; NamedBarCnt: 0
; Occupancy: 16
; WaveLimiterHint : 0
; COMPUTE_PGM_RSRC2:SCRATCH_EN: 0
; COMPUTE_PGM_RSRC2:USER_SGPR: 2
; COMPUTE_PGM_RSRC2:TRAP_HANDLER: 0
; COMPUTE_PGM_RSRC2:TGID_X_EN: 1
; COMPUTE_PGM_RSRC2:TGID_Y_EN: 0
; COMPUTE_PGM_RSRC2:TGID_Z_EN: 1
; COMPUTE_PGM_RSRC2:TIDIG_COMP_CNT: 0
	.section	.text._ZL24rocblas_dot_kernel_magsqIiLb1ELi1024ELi32ELb1EdPKddEviT5_lT_liPT6_PT4_,"axG",@progbits,_ZL24rocblas_dot_kernel_magsqIiLb1ELi1024ELi32ELb1EdPKddEviT5_lT_liPT6_PT4_,comdat
	.globl	_ZL24rocblas_dot_kernel_magsqIiLb1ELi1024ELi32ELb1EdPKddEviT5_lT_liPT6_PT4_ ; -- Begin function _ZL24rocblas_dot_kernel_magsqIiLb1ELi1024ELi32ELb1EdPKddEviT5_lT_liPT6_PT4_
	.p2align	8
	.type	_ZL24rocblas_dot_kernel_magsqIiLb1ELi1024ELi32ELb1EdPKddEviT5_lT_liPT6_PT4_,@function
_ZL24rocblas_dot_kernel_magsqIiLb1ELi1024ELi32ELb1EdPKddEviT5_lT_liPT6_PT4_: ; @_ZL24rocblas_dot_kernel_magsqIiLb1ELi1024ELi32ELb1EdPKddEviT5_lT_liPT6_PT4_
; %bb.0:
	s_load_b32 s3, s[0:1], 0x28
	s_bfe_u32 s2, ttmp6, 0x40014
	s_lshr_b32 s4, ttmp7, 16
	s_add_co_i32 s2, s2, 1
	s_bfe_u32 s5, ttmp6, 0x40008
	s_mul_i32 s2, s4, s2
	s_getreg_b32 s6, hwreg(HW_REG_IB_STS2, 6, 4)
	s_add_co_i32 s5, s5, s2
	s_cmp_eq_u32 s6, 0
	s_mov_b32 s9, 0
	s_cselect_b32 s8, s4, s5
	s_wait_kmcnt 0x0
	s_cmp_ge_u32 s8, s3
	s_cbranch_scc1 .LBB256_17
; %bb.1:
	v_mbcnt_lo_u32_b32 v3, -1, 0
	s_clause 0x4
	s_load_b32 s16, s[0:1], 0x18
	s_load_b96 s[4:6], s[0:1], 0x38
	s_load_b128 s[12:15], s[0:1], 0x8
	s_load_b64 s[20:21], s[0:1], 0x20
	s_load_b32 s18, s[0:1], 0x0
	v_and_b32_e32 v2, 31, v0
	s_wait_xcnt 0x0
	v_cmp_eq_u32_e64 s1, 0, v0
	v_cmp_gt_u32_e64 s0, 24, v3
	v_lshl_or_b32 v8, v3, 2, 64
	v_mov_b32_e32 v14, 0
	v_cmp_gt_u32_e32 vcc_lo, 32, v0
	s_delay_alu instid0(VALU_DEP_4) | instskip(SKIP_1) | instid1(VALU_DEP_2)
	v_cndmask_b32_e64 v4, 0, 8, s0
	v_cmp_gt_u32_e64 s0, 28, v3
	v_add_lshl_u32 v9, v4, v3, 2
	s_delay_alu instid0(VALU_DEP_2)
	v_cndmask_b32_e64 v5, 0, 4, s0
	v_cmp_gt_u32_e64 s0, 30, v3
	v_lshrrev_b32_e32 v4, 2, v0
	s_wait_kmcnt 0x0
	s_ashr_i32 s17, s16, 31
	s_lshl_b32 s6, s6, 10
	v_cndmask_b32_e64 v6, 0, 2, s0
	v_cmp_ne_u32_e64 s0, 31, v3
	v_add_lshl_u32 v10, v5, v3, 2
	s_lshl_b64 s[10:11], s[14:15], 3
	s_ashr_i32 s7, s6, 31
	v_add_lshl_u32 v11, v6, v3, 2
	v_add_co_ci_u32_e64 v7, null, 0, v3, s0
	v_lshlrev_b32_e32 v1, 3, v2
	v_cmp_eq_u32_e64 s0, 0, v2
	v_mov_b64_e32 v[2:3], 0
	s_delay_alu instid0(VALU_DEP_4)
	v_lshlrev_b32_e32 v12, 2, v7
	v_and_b32_e32 v13, 0xf8, v4
	s_add_nc_u64 s[10:11], s[12:13], s[10:11]
	s_lshl_b64 s[12:13], s[16:17], 3
	s_mul_u64 s[16:17], s[16:17], s[6:7]
	s_lshl_b64 s[14:15], s[20:21], 3
	s_lshl_b64 s[16:17], s[16:17], 3
	s_branch .LBB256_3
.LBB256_2:                              ;   in Loop: Header=BB256_3 Depth=1
	s_wait_xcnt 0x0
	s_or_b32 exec_lo, exec_lo, s2
	s_add_co_i32 s8, s8, 0x10000
	s_delay_alu instid0(SALU_CYCLE_1)
	s_cmp_lt_u32 s8, s3
	s_cbranch_scc0 .LBB256_17
.LBB256_3:                              ; =>This Loop Header: Depth=1
                                        ;     Child Loop BB256_5 Depth 2
	s_wait_dscnt 0x0
	v_mov_b64_e32 v[4:5], 0
	s_mov_b32 s7, exec_lo
	v_cmpx_gt_i32_e64 s18, v0
	s_cbranch_execz .LBB256_7
; %bb.4:                                ;   in Loop: Header=BB256_3 Depth=1
	s_mul_u64 s[20:21], s[14:15], s[8:9]
	v_ashrrev_i32_e32 v5, 31, v0
	s_add_nc_u64 s[20:21], s[10:11], s[20:21]
	s_mov_b32 s19, 0
	v_mad_nc_u64_u32 v[6:7], s12, v0, s[20:21]
	s_mov_b32 s20, 0
	s_delay_alu instid0(VALU_DEP_1) | instskip(NEXT) | instid1(VALU_DEP_1)
	v_mad_u32 v4, s13, v0, v7
	v_mad_u32 v7, s12, v5, v4
	v_mov_b64_e32 v[4:5], 0
.LBB256_5:                              ;   Parent Loop BB256_3 Depth=1
                                        ; =>  This Inner Loop Header: Depth=2
	global_load_b64 v[16:17], v[6:7], off
	v_add_nc_u32_e32 v0, s6, v0
	s_add_co_i32 s21, s20, 1
	s_cmp_gt_u32 s20, 30
	s_wait_xcnt 0x0
	v_add_nc_u64_e32 v[6:7], s[16:17], v[6:7]
	s_cselect_b32 s20, -1, 0
	v_cmp_le_i32_e64 s2, s18, v0
	s_or_b32 s2, s20, s2
	s_mov_b32 s20, s21
	s_and_b32 s2, exec_lo, s2
	s_delay_alu instid0(SALU_CYCLE_1)
	s_or_b32 s19, s2, s19
	s_wait_loadcnt 0x0
	v_fmac_f64_e32 v[4:5], v[16:17], v[16:17]
	s_and_not1_b32 exec_lo, exec_lo, s19
	s_cbranch_execnz .LBB256_5
; %bb.6:                                ;   in Loop: Header=BB256_3 Depth=1
	s_or_b32 exec_lo, exec_lo, s19
.LBB256_7:                              ;   in Loop: Header=BB256_3 Depth=1
	s_delay_alu instid0(SALU_CYCLE_1)
	s_or_b32 exec_lo, exec_lo, s7
	s_and_saveexec_b32 s2, vcc_lo
; %bb.8:                                ;   in Loop: Header=BB256_3 Depth=1
	ds_store_b64 v1, v[2:3]
; %bb.9:                                ;   in Loop: Header=BB256_3 Depth=1
	s_or_b32 exec_lo, exec_lo, s2
	ds_bpermute_b32 v6, v8, v4
	ds_bpermute_b32 v7, v8, v5
	s_wait_dscnt 0x0
	s_barrier_signal -1
	s_barrier_wait -1
	v_add_f64_e32 v[4:5], v[4:5], v[6:7]
	ds_bpermute_b32 v6, v9, v4
	ds_bpermute_b32 v7, v9, v5
	s_wait_dscnt 0x0
	v_add_f64_e32 v[4:5], v[4:5], v[6:7]
	ds_bpermute_b32 v6, v10, v4
	ds_bpermute_b32 v7, v10, v5
	s_wait_dscnt 0x0
	;; [unrolled: 4-line block ×3, first 2 shown]
	v_add_f64_e32 v[4:5], v[4:5], v[6:7]
	ds_bpermute_b32 v6, v12, v4
	ds_bpermute_b32 v7, v12, v5
	s_and_saveexec_b32 s2, s0
	s_cbranch_execz .LBB256_11
; %bb.10:                               ;   in Loop: Header=BB256_3 Depth=1
	s_wait_dscnt 0x0
	v_add_f64_e32 v[4:5], v[4:5], v[6:7]
	ds_store_b64 v13, v[4:5]
.LBB256_11:                             ;   in Loop: Header=BB256_3 Depth=1
	s_or_b32 exec_lo, exec_lo, s2
	v_mov_b64_e32 v[4:5], 0
	s_wait_dscnt 0x0
	s_barrier_signal -1
	s_barrier_wait -1
	s_and_saveexec_b32 s2, vcc_lo
	s_cbranch_execnz .LBB256_14
; %bb.12:                               ;   in Loop: Header=BB256_3 Depth=1
	s_or_b32 exec_lo, exec_lo, s2
	s_and_saveexec_b32 s2, vcc_lo
	s_cbranch_execnz .LBB256_15
.LBB256_13:                             ;   in Loop: Header=BB256_3 Depth=1
	s_or_b32 exec_lo, exec_lo, s2
	s_and_saveexec_b32 s2, s1
	s_cbranch_execz .LBB256_2
	s_branch .LBB256_16
.LBB256_14:                             ;   in Loop: Header=BB256_3 Depth=1
	ds_load_b64 v[4:5], v1
	s_or_b32 exec_lo, exec_lo, s2
	s_and_saveexec_b32 s2, vcc_lo
	s_cbranch_execz .LBB256_13
.LBB256_15:                             ;   in Loop: Header=BB256_3 Depth=1
	s_wait_dscnt 0x0
	ds_bpermute_b32 v6, v8, v4
	ds_bpermute_b32 v7, v8, v5
	s_wait_dscnt 0x0
	v_add_f64_e32 v[4:5], v[4:5], v[6:7]
	ds_bpermute_b32 v6, v9, v4
	ds_bpermute_b32 v7, v9, v5
	s_wait_dscnt 0x0
	v_add_f64_e32 v[4:5], v[4:5], v[6:7]
	;; [unrolled: 4-line block ×5, first 2 shown]
	s_or_b32 exec_lo, exec_lo, s2
	s_and_saveexec_b32 s2, s1
	s_cbranch_execz .LBB256_2
.LBB256_16:                             ;   in Loop: Header=BB256_3 Depth=1
	s_lshl_b64 s[20:21], s[8:9], 3
	s_delay_alu instid0(SALU_CYCLE_1)
	s_add_nc_u64 s[20:21], s[4:5], s[20:21]
	s_wait_dscnt 0x0
	global_store_b64 v14, v[4:5], s[20:21]
	s_branch .LBB256_2
.LBB256_17:
	s_endpgm
	.section	.rodata,"a",@progbits
	.p2align	6, 0x0
	.amdhsa_kernel _ZL24rocblas_dot_kernel_magsqIiLb1ELi1024ELi32ELb1EdPKddEviT5_lT_liPT6_PT4_
		.amdhsa_group_segment_fixed_size 256
		.amdhsa_private_segment_fixed_size 0
		.amdhsa_kernarg_size 320
		.amdhsa_user_sgpr_count 2
		.amdhsa_user_sgpr_dispatch_ptr 0
		.amdhsa_user_sgpr_queue_ptr 0
		.amdhsa_user_sgpr_kernarg_segment_ptr 1
		.amdhsa_user_sgpr_dispatch_id 0
		.amdhsa_user_sgpr_kernarg_preload_length 0
		.amdhsa_user_sgpr_kernarg_preload_offset 0
		.amdhsa_user_sgpr_private_segment_size 0
		.amdhsa_wavefront_size32 1
		.amdhsa_uses_dynamic_stack 0
		.amdhsa_enable_private_segment 0
		.amdhsa_system_sgpr_workgroup_id_x 1
		.amdhsa_system_sgpr_workgroup_id_y 0
		.amdhsa_system_sgpr_workgroup_id_z 1
		.amdhsa_system_sgpr_workgroup_info 0
		.amdhsa_system_vgpr_workitem_id 0
		.amdhsa_next_free_vgpr 18
		.amdhsa_next_free_sgpr 22
		.amdhsa_named_barrier_count 0
		.amdhsa_reserve_vcc 1
		.amdhsa_float_round_mode_32 0
		.amdhsa_float_round_mode_16_64 0
		.amdhsa_float_denorm_mode_32 3
		.amdhsa_float_denorm_mode_16_64 3
		.amdhsa_fp16_overflow 0
		.amdhsa_memory_ordered 1
		.amdhsa_forward_progress 1
		.amdhsa_inst_pref_size 8
		.amdhsa_round_robin_scheduling 0
		.amdhsa_exception_fp_ieee_invalid_op 0
		.amdhsa_exception_fp_denorm_src 0
		.amdhsa_exception_fp_ieee_div_zero 0
		.amdhsa_exception_fp_ieee_overflow 0
		.amdhsa_exception_fp_ieee_underflow 0
		.amdhsa_exception_fp_ieee_inexact 0
		.amdhsa_exception_int_div_zero 0
	.end_amdhsa_kernel
	.section	.text._ZL24rocblas_dot_kernel_magsqIiLb1ELi1024ELi32ELb1EdPKddEviT5_lT_liPT6_PT4_,"axG",@progbits,_ZL24rocblas_dot_kernel_magsqIiLb1ELi1024ELi32ELb1EdPKddEviT5_lT_liPT6_PT4_,comdat
.Lfunc_end256:
	.size	_ZL24rocblas_dot_kernel_magsqIiLb1ELi1024ELi32ELb1EdPKddEviT5_lT_liPT6_PT4_, .Lfunc_end256-_ZL24rocblas_dot_kernel_magsqIiLb1ELi1024ELi32ELb1EdPKddEviT5_lT_liPT6_PT4_
                                        ; -- End function
	.set _ZL24rocblas_dot_kernel_magsqIiLb1ELi1024ELi32ELb1EdPKddEviT5_lT_liPT6_PT4_.num_vgpr, 18
	.set _ZL24rocblas_dot_kernel_magsqIiLb1ELi1024ELi32ELb1EdPKddEviT5_lT_liPT6_PT4_.num_agpr, 0
	.set _ZL24rocblas_dot_kernel_magsqIiLb1ELi1024ELi32ELb1EdPKddEviT5_lT_liPT6_PT4_.numbered_sgpr, 22
	.set _ZL24rocblas_dot_kernel_magsqIiLb1ELi1024ELi32ELb1EdPKddEviT5_lT_liPT6_PT4_.num_named_barrier, 0
	.set _ZL24rocblas_dot_kernel_magsqIiLb1ELi1024ELi32ELb1EdPKddEviT5_lT_liPT6_PT4_.private_seg_size, 0
	.set _ZL24rocblas_dot_kernel_magsqIiLb1ELi1024ELi32ELb1EdPKddEviT5_lT_liPT6_PT4_.uses_vcc, 1
	.set _ZL24rocblas_dot_kernel_magsqIiLb1ELi1024ELi32ELb1EdPKddEviT5_lT_liPT6_PT4_.uses_flat_scratch, 0
	.set _ZL24rocblas_dot_kernel_magsqIiLb1ELi1024ELi32ELb1EdPKddEviT5_lT_liPT6_PT4_.has_dyn_sized_stack, 0
	.set _ZL24rocblas_dot_kernel_magsqIiLb1ELi1024ELi32ELb1EdPKddEviT5_lT_liPT6_PT4_.has_recursion, 0
	.set _ZL24rocblas_dot_kernel_magsqIiLb1ELi1024ELi32ELb1EdPKddEviT5_lT_liPT6_PT4_.has_indirect_call, 0
	.section	.AMDGPU.csdata,"",@progbits
; Kernel info:
; codeLenInByte = 932
; TotalNumSgprs: 24
; NumVgprs: 18
; ScratchSize: 0
; MemoryBound: 0
; FloatMode: 240
; IeeeMode: 1
; LDSByteSize: 256 bytes/workgroup (compile time only)
; SGPRBlocks: 0
; VGPRBlocks: 1
; NumSGPRsForWavesPerEU: 24
; NumVGPRsForWavesPerEU: 18
; NamedBarCnt: 0
; Occupancy: 16
; WaveLimiterHint : 0
; COMPUTE_PGM_RSRC2:SCRATCH_EN: 0
; COMPUTE_PGM_RSRC2:USER_SGPR: 2
; COMPUTE_PGM_RSRC2:TRAP_HANDLER: 0
; COMPUTE_PGM_RSRC2:TGID_X_EN: 1
; COMPUTE_PGM_RSRC2:TGID_Y_EN: 0
; COMPUTE_PGM_RSRC2:TGID_Z_EN: 1
; COMPUTE_PGM_RSRC2:TIDIG_COMP_CNT: 0
	.section	.text._ZL38rocblas_dot_kernel_gfx942_float_doubleIiLi1024EdPKddEviT2_lT_lS2_lS3_lPT3_PT1_,"axG",@progbits,_ZL38rocblas_dot_kernel_gfx942_float_doubleIiLi1024EdPKddEviT2_lT_lS2_lS3_lPT3_PT1_,comdat
	.globl	_ZL38rocblas_dot_kernel_gfx942_float_doubleIiLi1024EdPKddEviT2_lT_lS2_lS3_lPT3_PT1_ ; -- Begin function _ZL38rocblas_dot_kernel_gfx942_float_doubleIiLi1024EdPKddEviT2_lT_lS2_lS3_lPT3_PT1_
	.p2align	8
	.type	_ZL38rocblas_dot_kernel_gfx942_float_doubleIiLi1024EdPKddEviT2_lT_lS2_lS3_lPT3_PT1_,@function
_ZL38rocblas_dot_kernel_gfx942_float_doubleIiLi1024EdPKddEviT2_lT_lS2_lS3_lPT3_PT1_: ; @_ZL38rocblas_dot_kernel_gfx942_float_doubleIiLi1024EdPKddEviT2_lT_lS2_lS3_lPT3_PT1_
; %bb.0:
	s_endpgm
	.section	.rodata,"a",@progbits
	.p2align	6, 0x0
	.amdhsa_kernel _ZL38rocblas_dot_kernel_gfx942_float_doubleIiLi1024EdPKddEviT2_lT_lS2_lS3_lPT3_PT1_
		.amdhsa_group_segment_fixed_size 0
		.amdhsa_private_segment_fixed_size 0
		.amdhsa_kernarg_size 88
		.amdhsa_user_sgpr_count 2
		.amdhsa_user_sgpr_dispatch_ptr 0
		.amdhsa_user_sgpr_queue_ptr 0
		.amdhsa_user_sgpr_kernarg_segment_ptr 1
		.amdhsa_user_sgpr_dispatch_id 0
		.amdhsa_user_sgpr_kernarg_preload_length 0
		.amdhsa_user_sgpr_kernarg_preload_offset 0
		.amdhsa_user_sgpr_private_segment_size 0
		.amdhsa_wavefront_size32 1
		.amdhsa_uses_dynamic_stack 0
		.amdhsa_enable_private_segment 0
		.amdhsa_system_sgpr_workgroup_id_x 1
		.amdhsa_system_sgpr_workgroup_id_y 0
		.amdhsa_system_sgpr_workgroup_id_z 0
		.amdhsa_system_sgpr_workgroup_info 0
		.amdhsa_system_vgpr_workitem_id 0
		.amdhsa_next_free_vgpr 1
		.amdhsa_next_free_sgpr 1
		.amdhsa_named_barrier_count 0
		.amdhsa_reserve_vcc 0
		.amdhsa_float_round_mode_32 0
		.amdhsa_float_round_mode_16_64 0
		.amdhsa_float_denorm_mode_32 3
		.amdhsa_float_denorm_mode_16_64 3
		.amdhsa_fp16_overflow 0
		.amdhsa_memory_ordered 1
		.amdhsa_forward_progress 1
		.amdhsa_inst_pref_size 1
		.amdhsa_round_robin_scheduling 0
		.amdhsa_exception_fp_ieee_invalid_op 0
		.amdhsa_exception_fp_denorm_src 0
		.amdhsa_exception_fp_ieee_div_zero 0
		.amdhsa_exception_fp_ieee_overflow 0
		.amdhsa_exception_fp_ieee_underflow 0
		.amdhsa_exception_fp_ieee_inexact 0
		.amdhsa_exception_int_div_zero 0
	.end_amdhsa_kernel
	.section	.text._ZL38rocblas_dot_kernel_gfx942_float_doubleIiLi1024EdPKddEviT2_lT_lS2_lS3_lPT3_PT1_,"axG",@progbits,_ZL38rocblas_dot_kernel_gfx942_float_doubleIiLi1024EdPKddEviT2_lT_lS2_lS3_lPT3_PT1_,comdat
.Lfunc_end257:
	.size	_ZL38rocblas_dot_kernel_gfx942_float_doubleIiLi1024EdPKddEviT2_lT_lS2_lS3_lPT3_PT1_, .Lfunc_end257-_ZL38rocblas_dot_kernel_gfx942_float_doubleIiLi1024EdPKddEviT2_lT_lS2_lS3_lPT3_PT1_
                                        ; -- End function
	.set _ZL38rocblas_dot_kernel_gfx942_float_doubleIiLi1024EdPKddEviT2_lT_lS2_lS3_lPT3_PT1_.num_vgpr, 0
	.set _ZL38rocblas_dot_kernel_gfx942_float_doubleIiLi1024EdPKddEviT2_lT_lS2_lS3_lPT3_PT1_.num_agpr, 0
	.set _ZL38rocblas_dot_kernel_gfx942_float_doubleIiLi1024EdPKddEviT2_lT_lS2_lS3_lPT3_PT1_.numbered_sgpr, 0
	.set _ZL38rocblas_dot_kernel_gfx942_float_doubleIiLi1024EdPKddEviT2_lT_lS2_lS3_lPT3_PT1_.num_named_barrier, 0
	.set _ZL38rocblas_dot_kernel_gfx942_float_doubleIiLi1024EdPKddEviT2_lT_lS2_lS3_lPT3_PT1_.private_seg_size, 0
	.set _ZL38rocblas_dot_kernel_gfx942_float_doubleIiLi1024EdPKddEviT2_lT_lS2_lS3_lPT3_PT1_.uses_vcc, 0
	.set _ZL38rocblas_dot_kernel_gfx942_float_doubleIiLi1024EdPKddEviT2_lT_lS2_lS3_lPT3_PT1_.uses_flat_scratch, 0
	.set _ZL38rocblas_dot_kernel_gfx942_float_doubleIiLi1024EdPKddEviT2_lT_lS2_lS3_lPT3_PT1_.has_dyn_sized_stack, 0
	.set _ZL38rocblas_dot_kernel_gfx942_float_doubleIiLi1024EdPKddEviT2_lT_lS2_lS3_lPT3_PT1_.has_recursion, 0
	.set _ZL38rocblas_dot_kernel_gfx942_float_doubleIiLi1024EdPKddEviT2_lT_lS2_lS3_lPT3_PT1_.has_indirect_call, 0
	.section	.AMDGPU.csdata,"",@progbits
; Kernel info:
; codeLenInByte = 4
; TotalNumSgprs: 0
; NumVgprs: 0
; ScratchSize: 0
; MemoryBound: 0
; FloatMode: 240
; IeeeMode: 1
; LDSByteSize: 0 bytes/workgroup (compile time only)
; SGPRBlocks: 0
; VGPRBlocks: 0
; NumSGPRsForWavesPerEU: 1
; NumVGPRsForWavesPerEU: 1
; NamedBarCnt: 0
; Occupancy: 16
; WaveLimiterHint : 0
; COMPUTE_PGM_RSRC2:SCRATCH_EN: 0
; COMPUTE_PGM_RSRC2:USER_SGPR: 2
; COMPUTE_PGM_RSRC2:TRAP_HANDLER: 0
; COMPUTE_PGM_RSRC2:TGID_X_EN: 1
; COMPUTE_PGM_RSRC2:TGID_Y_EN: 0
; COMPUTE_PGM_RSRC2:TGID_Z_EN: 0
; COMPUTE_PGM_RSRC2:TIDIG_COMP_CNT: 0
	.section	.text._ZL30rocblas_reduction_kernel_part2ILi1024ELi4E25rocblas_finalize_identityddEviPT2_PT3_,"axG",@progbits,_ZL30rocblas_reduction_kernel_part2ILi1024ELi4E25rocblas_finalize_identityddEviPT2_PT3_,comdat
	.globl	_ZL30rocblas_reduction_kernel_part2ILi1024ELi4E25rocblas_finalize_identityddEviPT2_PT3_ ; -- Begin function _ZL30rocblas_reduction_kernel_part2ILi1024ELi4E25rocblas_finalize_identityddEviPT2_PT3_
	.p2align	8
	.type	_ZL30rocblas_reduction_kernel_part2ILi1024ELi4E25rocblas_finalize_identityddEviPT2_PT3_,@function
_ZL30rocblas_reduction_kernel_part2ILi1024ELi4E25rocblas_finalize_identityddEviPT2_PT3_: ; @_ZL30rocblas_reduction_kernel_part2ILi1024ELi4E25rocblas_finalize_identityddEviPT2_PT3_
; %bb.0:
	s_clause 0x1
	s_load_b32 s6, s[0:1], 0x0
	s_load_b64 s[8:9], s[0:1], 0x8
	s_bfe_u32 s2, ttmp6, 0x4000c
	s_and_b32 s3, ttmp6, 15
	s_add_co_i32 s2, s2, 1
	s_getreg_b32 s4, hwreg(HW_REG_IB_STS2, 6, 4)
	s_mul_i32 s2, ttmp9, s2
	v_mov_b64_e32 v[2:3], 0
	s_add_co_i32 s3, s3, s2
	v_lshlrev_b32_e32 v1, 2, v0
	s_wait_kmcnt 0x0
	s_ashr_i32 s7, s6, 31
	s_cmp_eq_u32 s4, 0
	s_mov_b32 s4, exec_lo
	s_cselect_b32 s2, ttmp9, s3
	s_lshr_b32 s3, s7, 30
	s_delay_alu instid0(SALU_CYCLE_1) | instskip(NEXT) | instid1(SALU_CYCLE_1)
	s_add_co_i32 s3, s6, s3
	s_and_b32 s12, s3, -4
	s_mov_b32 s3, 0
	s_delay_alu instid0(SALU_CYCLE_1)
	s_mul_u64 s[10:11], s[6:7], s[2:3]
	v_cmpx_gt_i32_e64 s12, v1
	s_cbranch_execz .LBB258_4
; %bb.1:
	v_dual_mov_b32 v3, 0 :: v_dual_lshlrev_b32 v2, 5, v0
	s_lshl_b64 s[14:15], s[10:11], 3
	s_mov_b32 s5, s3
	s_add_nc_u64 s[14:15], s[8:9], s[14:15]
	s_delay_alu instid0(VALU_DEP_1) | instid1(SALU_CYCLE_1)
	v_add_nc_u64_e32 v[2:3], s[14:15], v[2:3]
	s_delay_alu instid0(VALU_DEP_1)
	v_add_nc_u64_e32 v[4:5], 16, v[2:3]
	v_mov_b64_e32 v[2:3], 0
.LBB258_2:                              ; =>This Inner Loop Header: Depth=1
	s_clause 0x1
	global_load_b128 v[6:9], v[4:5], off offset:-16
	global_load_b128 v[10:13], v[4:5], off
	v_add_nc_u32_e32 v1, 0x1000, v1
	s_wait_xcnt 0x0
	v_add_nc_u64_e32 v[4:5], 0x8000, v[4:5]
	s_delay_alu instid0(VALU_DEP_2) | instskip(SKIP_3) | instid1(VALU_DEP_1)
	v_cmp_le_i32_e32 vcc_lo, s12, v1
	s_or_b32 s5, vcc_lo, s5
	s_wait_loadcnt 0x1
	v_add_f64_e32 v[2:3], v[2:3], v[6:7]
	v_add_f64_e32 v[2:3], v[2:3], v[8:9]
	s_wait_loadcnt 0x0
	s_delay_alu instid0(VALU_DEP_1) | instskip(NEXT) | instid1(VALU_DEP_1)
	v_add_f64_e32 v[2:3], v[2:3], v[10:11]
	v_add_f64_e32 v[2:3], v[2:3], v[12:13]
	s_and_not1_b32 exec_lo, exec_lo, s5
	s_cbranch_execnz .LBB258_2
; %bb.3:
	s_or_b32 exec_lo, exec_lo, s5
.LBB258_4:
	s_delay_alu instid0(SALU_CYCLE_1) | instskip(SKIP_3) | instid1(SALU_CYCLE_1)
	s_or_b32 exec_lo, exec_lo, s4
	s_load_b64 s[4:5], s[0:1], 0x10
	s_wait_xcnt 0x0
	s_sub_co_i32 s0, s6, s12
	v_cmp_gt_u32_e32 vcc_lo, s0, v0
	s_and_saveexec_b32 s0, vcc_lo
	s_cbranch_execz .LBB258_6
; %bb.5:
	v_xad_u32 v1, v0, -1, s6
	s_lshl_b64 s[6:7], s[10:11], 3
	s_delay_alu instid0(SALU_CYCLE_1)
	s_add_nc_u64 s[6:7], s[8:9], s[6:7]
	global_load_b64 v[4:5], v1, s[6:7] scale_offset
	s_wait_loadcnt 0x0
	v_add_f64_e32 v[2:3], v[2:3], v[4:5]
.LBB258_6:
	s_or_b32 exec_lo, exec_lo, s0
	v_and_b32_e32 v11, 31, v0
	v_cmp_gt_u32_e32 vcc_lo, 32, v0
	s_delay_alu instid0(VALU_DEP_2)
	v_lshlrev_b32_e32 v1, 3, v11
	s_and_saveexec_b32 s0, vcc_lo
; %bb.7:
	v_mov_b64_e32 v[4:5], 0
	ds_store_b64 v1, v[4:5]
; %bb.8:
	s_or_b32 exec_lo, exec_lo, s0
	v_mbcnt_lo_u32_b32 v10, -1, 0
	s_mov_b32 s1, exec_lo
	s_wait_dscnt 0x0
	s_barrier_signal -1
	s_barrier_wait -1
	v_lshl_or_b32 v6, v10, 2, 64
	v_cmp_gt_u32_e64 s0, 24, v10
	ds_bpermute_b32 v4, v6, v2
	ds_bpermute_b32 v5, v6, v3
	s_wait_dscnt 0x0
	v_add_f64_e32 v[2:3], v[2:3], v[4:5]
	v_cndmask_b32_e64 v4, 0, 8, s0
	v_cmp_gt_u32_e64 s0, 28, v10
	s_delay_alu instid0(VALU_DEP_2)
	v_add_lshl_u32 v7, v4, v10, 2
	ds_bpermute_b32 v4, v7, v2
	ds_bpermute_b32 v5, v7, v3
	s_wait_dscnt 0x0
	v_add_f64_e32 v[2:3], v[2:3], v[4:5]
	v_cndmask_b32_e64 v4, 0, 4, s0
	v_cmp_gt_u32_e64 s0, 30, v10
	s_delay_alu instid0(VALU_DEP_2)
	v_add_lshl_u32 v8, v4, v10, 2
	ds_bpermute_b32 v4, v8, v2
	ds_bpermute_b32 v5, v8, v3
	s_wait_dscnt 0x0
	v_add_f64_e32 v[2:3], v[2:3], v[4:5]
	v_cndmask_b32_e64 v4, 0, 2, s0
	v_cmp_ne_u32_e64 s0, 31, v10
	s_delay_alu instid0(VALU_DEP_2)
	v_add_lshl_u32 v9, v4, v10, 2
	ds_bpermute_b32 v4, v9, v2
	ds_bpermute_b32 v5, v9, v3
	s_wait_dscnt 0x0
	v_add_f64_e32 v[2:3], v[2:3], v[4:5]
	v_add_co_ci_u32_e64 v4, null, 0, v10, s0
	s_delay_alu instid0(VALU_DEP_1)
	v_lshlrev_b32_e32 v10, 2, v4
	ds_bpermute_b32 v4, v10, v2
	ds_bpermute_b32 v5, v10, v3
	v_cmpx_eq_u32_e32 0, v11
	s_cbranch_execz .LBB258_10
; %bb.9:
	s_wait_dscnt 0x0
	v_add_f64_e32 v[2:3], v[2:3], v[4:5]
	v_lshrrev_b32_e32 v4, 2, v0
	s_delay_alu instid0(VALU_DEP_1)
	v_and_b32_e32 v4, 0xf8, v4
	ds_store_b64 v4, v[2:3]
.LBB258_10:
	s_or_b32 exec_lo, exec_lo, s1
	v_mov_b64_e32 v[2:3], 0
	s_wait_dscnt 0x0
	s_barrier_signal -1
	s_barrier_wait -1
	s_and_saveexec_b32 s0, vcc_lo
; %bb.11:
	ds_load_b64 v[2:3], v1
; %bb.12:
	s_or_b32 exec_lo, exec_lo, s0
	s_and_saveexec_b32 s0, vcc_lo
	s_cbranch_execz .LBB258_14
; %bb.13:
	s_wait_dscnt 0x0
	ds_bpermute_b32 v4, v6, v2
	ds_bpermute_b32 v5, v6, v3
	s_wait_dscnt 0x0
	v_add_f64_e32 v[2:3], v[2:3], v[4:5]
	ds_bpermute_b32 v4, v7, v2
	ds_bpermute_b32 v5, v7, v3
	s_wait_dscnt 0x0
	v_add_f64_e32 v[2:3], v[2:3], v[4:5]
	;; [unrolled: 4-line block ×5, first 2 shown]
.LBB258_14:
	s_or_b32 exec_lo, exec_lo, s0
	s_delay_alu instid0(SALU_CYCLE_1)
	s_mov_b32 s0, exec_lo
	v_cmpx_eq_u32_e32 0, v0
	s_cbranch_execz .LBB258_16
; %bb.15:
	v_mov_b32_e32 v0, 0
	s_lshl_b64 s[0:1], s[2:3], 3
	s_wait_kmcnt 0x0
	s_add_nc_u64 s[0:1], s[4:5], s[0:1]
	s_wait_dscnt 0x0
	global_store_b64 v0, v[2:3], s[0:1]
.LBB258_16:
	s_endpgm
	.section	.rodata,"a",@progbits
	.p2align	6, 0x0
	.amdhsa_kernel _ZL30rocblas_reduction_kernel_part2ILi1024ELi4E25rocblas_finalize_identityddEviPT2_PT3_
		.amdhsa_group_segment_fixed_size 256
		.amdhsa_private_segment_fixed_size 0
		.amdhsa_kernarg_size 24
		.amdhsa_user_sgpr_count 2
		.amdhsa_user_sgpr_dispatch_ptr 0
		.amdhsa_user_sgpr_queue_ptr 0
		.amdhsa_user_sgpr_kernarg_segment_ptr 1
		.amdhsa_user_sgpr_dispatch_id 0
		.amdhsa_user_sgpr_kernarg_preload_length 0
		.amdhsa_user_sgpr_kernarg_preload_offset 0
		.amdhsa_user_sgpr_private_segment_size 0
		.amdhsa_wavefront_size32 1
		.amdhsa_uses_dynamic_stack 0
		.amdhsa_enable_private_segment 0
		.amdhsa_system_sgpr_workgroup_id_x 1
		.amdhsa_system_sgpr_workgroup_id_y 0
		.amdhsa_system_sgpr_workgroup_id_z 0
		.amdhsa_system_sgpr_workgroup_info 0
		.amdhsa_system_vgpr_workitem_id 0
		.amdhsa_next_free_vgpr 14
		.amdhsa_next_free_sgpr 16
		.amdhsa_named_barrier_count 0
		.amdhsa_reserve_vcc 1
		.amdhsa_float_round_mode_32 0
		.amdhsa_float_round_mode_16_64 0
		.amdhsa_float_denorm_mode_32 3
		.amdhsa_float_denorm_mode_16_64 3
		.amdhsa_fp16_overflow 0
		.amdhsa_memory_ordered 1
		.amdhsa_forward_progress 1
		.amdhsa_inst_pref_size 7
		.amdhsa_round_robin_scheduling 0
		.amdhsa_exception_fp_ieee_invalid_op 0
		.amdhsa_exception_fp_denorm_src 0
		.amdhsa_exception_fp_ieee_div_zero 0
		.amdhsa_exception_fp_ieee_overflow 0
		.amdhsa_exception_fp_ieee_underflow 0
		.amdhsa_exception_fp_ieee_inexact 0
		.amdhsa_exception_int_div_zero 0
	.end_amdhsa_kernel
	.section	.text._ZL30rocblas_reduction_kernel_part2ILi1024ELi4E25rocblas_finalize_identityddEviPT2_PT3_,"axG",@progbits,_ZL30rocblas_reduction_kernel_part2ILi1024ELi4E25rocblas_finalize_identityddEviPT2_PT3_,comdat
.Lfunc_end258:
	.size	_ZL30rocblas_reduction_kernel_part2ILi1024ELi4E25rocblas_finalize_identityddEviPT2_PT3_, .Lfunc_end258-_ZL30rocblas_reduction_kernel_part2ILi1024ELi4E25rocblas_finalize_identityddEviPT2_PT3_
                                        ; -- End function
	.set _ZL30rocblas_reduction_kernel_part2ILi1024ELi4E25rocblas_finalize_identityddEviPT2_PT3_.num_vgpr, 14
	.set _ZL30rocblas_reduction_kernel_part2ILi1024ELi4E25rocblas_finalize_identityddEviPT2_PT3_.num_agpr, 0
	.set _ZL30rocblas_reduction_kernel_part2ILi1024ELi4E25rocblas_finalize_identityddEviPT2_PT3_.numbered_sgpr, 16
	.set _ZL30rocblas_reduction_kernel_part2ILi1024ELi4E25rocblas_finalize_identityddEviPT2_PT3_.num_named_barrier, 0
	.set _ZL30rocblas_reduction_kernel_part2ILi1024ELi4E25rocblas_finalize_identityddEviPT2_PT3_.private_seg_size, 0
	.set _ZL30rocblas_reduction_kernel_part2ILi1024ELi4E25rocblas_finalize_identityddEviPT2_PT3_.uses_vcc, 1
	.set _ZL30rocblas_reduction_kernel_part2ILi1024ELi4E25rocblas_finalize_identityddEviPT2_PT3_.uses_flat_scratch, 0
	.set _ZL30rocblas_reduction_kernel_part2ILi1024ELi4E25rocblas_finalize_identityddEviPT2_PT3_.has_dyn_sized_stack, 0
	.set _ZL30rocblas_reduction_kernel_part2ILi1024ELi4E25rocblas_finalize_identityddEviPT2_PT3_.has_recursion, 0
	.set _ZL30rocblas_reduction_kernel_part2ILi1024ELi4E25rocblas_finalize_identityddEviPT2_PT3_.has_indirect_call, 0
	.section	.AMDGPU.csdata,"",@progbits
; Kernel info:
; codeLenInByte = 888
; TotalNumSgprs: 18
; NumVgprs: 14
; ScratchSize: 0
; MemoryBound: 0
; FloatMode: 240
; IeeeMode: 1
; LDSByteSize: 256 bytes/workgroup (compile time only)
; SGPRBlocks: 0
; VGPRBlocks: 0
; NumSGPRsForWavesPerEU: 18
; NumVGPRsForWavesPerEU: 14
; NamedBarCnt: 0
; Occupancy: 16
; WaveLimiterHint : 0
; COMPUTE_PGM_RSRC2:SCRATCH_EN: 0
; COMPUTE_PGM_RSRC2:USER_SGPR: 2
; COMPUTE_PGM_RSRC2:TRAP_HANDLER: 0
; COMPUTE_PGM_RSRC2:TGID_X_EN: 1
; COMPUTE_PGM_RSRC2:TGID_Y_EN: 0
; COMPUTE_PGM_RSRC2:TGID_Z_EN: 0
; COMPUTE_PGM_RSRC2:TIDIG_COMP_CNT: 0
	.section	.text._ZL23rocblas_dot_kernel_inc1ILb0ELi512ELi2ELb1EdPKddEviT4_llS2_lliPT5_PT3_,"axG",@progbits,_ZL23rocblas_dot_kernel_inc1ILb0ELi512ELi2ELb1EdPKddEviT4_llS2_lliPT5_PT3_,comdat
	.globl	_ZL23rocblas_dot_kernel_inc1ILb0ELi512ELi2ELb1EdPKddEviT4_llS2_lliPT5_PT3_ ; -- Begin function _ZL23rocblas_dot_kernel_inc1ILb0ELi512ELi2ELb1EdPKddEviT4_llS2_lliPT5_PT3_
	.p2align	8
	.type	_ZL23rocblas_dot_kernel_inc1ILb0ELi512ELi2ELb1EdPKddEviT4_llS2_lliPT5_PT3_,@function
_ZL23rocblas_dot_kernel_inc1ILb0ELi512ELi2ELb1EdPKddEviT4_llS2_lliPT5_PT3_: ; @_ZL23rocblas_dot_kernel_inc1ILb0ELi512ELi2ELb1EdPKddEviT4_llS2_lliPT5_PT3_
; %bb.0:
	s_load_b32 s28, s[0:1], 0x38
	s_bfe_u32 s2, ttmp6, 0x40014
	s_lshr_b32 s3, ttmp7, 16
	s_add_co_i32 s2, s2, 1
	s_bfe_u32 s5, ttmp6, 0x40008
	s_mul_i32 s4, s3, s2
	s_getreg_b32 s2, hwreg(HW_REG_IB_STS2, 6, 4)
	s_add_co_i32 s5, s5, s4
	s_cmp_eq_u32 s2, 0
	s_mov_b32 s17, 0
	s_cselect_b32 s16, s3, s5
	s_wait_kmcnt 0x0
	s_cmp_ge_u32 s16, s28
	s_cbranch_scc1 .LBB259_20
; %bb.1:
	v_mbcnt_lo_u32_b32 v3, -1, 0
	s_clause 0x6
	s_load_b128 s[4:7], s[0:1], 0x10
	s_load_b128 s[8:11], s[0:1], 0x28
	s_load_b64 s[20:21], s[0:1], 0x8
	s_load_b64 s[22:23], s[0:1], 0x20
	s_load_b32 s18, s[0:1], 0x50
	s_load_b128 s[12:15], s[0:1], 0x40
	s_load_b32 s29, s[0:1], 0x0
	s_wait_xcnt 0x0
	s_bfe_u32 s0, ttmp6, 0x4000c
	s_and_b32 s1, ttmp6, 15
	s_add_co_i32 s3, s0, 1
	v_cmp_gt_u32_e32 vcc_lo, 24, v3
	s_mul_i32 s3, ttmp9, s3
	v_and_b32_e32 v1, 31, v0
	s_add_co_i32 s1, s1, s3
	v_cmp_gt_u32_e64 s0, 32, v0
	v_cndmask_b32_e64 v4, 0, 8, vcc_lo
	v_cmp_gt_u32_e32 vcc_lo, 28, v3
	v_cmp_eq_u32_e64 s3, 0, v0
	v_lshl_or_b32 v9, v3, 2, 64
	v_mov_b32_e32 v15, 0
	s_wait_kmcnt 0x0
	s_lshl_b64 s[4:5], s[4:5], 3
	v_cndmask_b32_e64 v5, 0, 4, vcc_lo
	v_cmp_gt_u32_e32 vcc_lo, 30, v3
	s_lshl_b64 s[8:9], s[8:9], 3
	s_cmp_eq_u32 s2, 0
	v_add_lshl_u32 v10, v4, v3, 2
	v_lshrrev_b32_e32 v4, 2, v0
	v_cndmask_b32_e64 v6, 0, 2, vcc_lo
	v_cmp_ne_u32_e32 vcc_lo, 31, v3
	s_add_nc_u64 s[8:9], s[22:23], s[8:9]
	s_cselect_b32 s22, ttmp9, s1
	s_cmp_lg_u32 s18, 1
	v_lshl_or_b32 v2, s22, 9, v0
	v_add_co_ci_u32_e64 v7, null, 0, v3, vcc_lo
	v_lshlrev_b32_e32 v8, 3, v1
	v_cmp_eq_u32_e64 s1, 0, v1
	v_cmp_gt_u32_e64 s2, 16, v0
	v_mov_b64_e32 v[0:1], 0
	s_add_nc_u64 s[4:5], s[20:21], s[4:5]
	s_cselect_b32 s30, -1, 0
	s_lshl_b32 s20, s18, 9
	s_mov_b32 s23, s17
	v_add_lshl_u32 v11, v5, v3, 2
	v_add_lshl_u32 v12, v6, v3, 2
	v_lshlrev_b32_e32 v13, 2, v7
	v_and_b32_e32 v14, 0x78, v4
	s_lshl_b64 s[22:23], s[22:23], 3
	s_ashr_i32 s21, s20, 31
	s_mov_b32 s19, s17
	s_add_nc_u64 s[12:13], s[12:13], s[22:23]
	s_lshl_b64 s[22:23], s[20:21], 3
	s_branch .LBB259_3
.LBB259_2:                              ;   in Loop: Header=BB259_3 Depth=1
	s_wait_xcnt 0x0
	s_or_b32 exec_lo, exec_lo, s21
	s_add_co_i32 s16, s16, 0x10000
	s_delay_alu instid0(SALU_CYCLE_1)
	s_cmp_lt_u32 s16, s28
	s_cbranch_scc0 .LBB259_20
.LBB259_3:                              ; =>This Inner Loop Header: Depth=1
	s_wait_dscnt 0x0
	v_mov_b64_e32 v[4:5], 0
	s_mov_b32 s21, exec_lo
	v_cmpx_gt_i32_e64 s29, v2
	s_cbranch_execz .LBB259_7
; %bb.4:                                ;   in Loop: Header=BB259_3 Depth=1
	s_mul_u64 s[24:25], s[10:11], s[16:17]
	s_mul_u64 s[26:27], s[6:7], s[16:17]
	s_lshl_b64 s[24:25], s[24:25], 3
	s_lshl_b64 s[34:35], s[26:27], 3
	s_add_nc_u64 s[26:27], s[8:9], s[24:25]
	s_add_nc_u64 s[24:25], s[4:5], s[34:35]
	s_clause 0x1
	global_load_b64 v[4:5], v2, s[26:27] scale_offset
	global_load_b64 v[6:7], v2, s[24:25] scale_offset
	s_mov_b32 s31, exec_lo
	s_wait_loadcnt 0x0
	v_fma_f64 v[4:5], v[4:5], v[6:7], 0
	v_add_nc_u32_e32 v6, s20, v2
	s_wait_xcnt 0x0
	s_delay_alu instid0(VALU_DEP_1)
	v_cmpx_gt_i32_e64 s29, v6
	s_cbranch_execz .LBB259_6
; %bb.5:                                ;   in Loop: Header=BB259_3 Depth=1
	v_ashrrev_i32_e32 v3, 31, v2
	v_add_nc_u32_e32 v6, s20, v6
	s_delay_alu instid0(VALU_DEP_2) | instskip(NEXT) | instid1(VALU_DEP_1)
	v_lshlrev_b64_e32 v[2:3], 3, v[2:3]
	v_add_nc_u64_e32 v[16:17], s[26:27], v[2:3]
	v_add_nc_u64_e32 v[2:3], s[24:25], v[2:3]
	s_delay_alu instid0(VALU_DEP_2) | instskip(NEXT) | instid1(VALU_DEP_2)
	v_add_nc_u64_e32 v[16:17], s[22:23], v[16:17]
	v_add_nc_u64_e32 v[2:3], s[22:23], v[2:3]
	global_load_b64 v[18:19], v[16:17], off
	global_load_b64 v[20:21], v[2:3], off
	s_wait_loadcnt 0x0
	v_fmac_f64_e32 v[4:5], v[18:19], v[20:21]
.LBB259_6:                              ;   in Loop: Header=BB259_3 Depth=1
	s_wait_xcnt 0x0
	s_or_b32 exec_lo, exec_lo, s31
	v_mov_b32_e32 v2, v6
.LBB259_7:                              ;   in Loop: Header=BB259_3 Depth=1
	s_or_b32 exec_lo, exec_lo, s21
	s_and_saveexec_b32 s21, s0
; %bb.8:                                ;   in Loop: Header=BB259_3 Depth=1
	ds_store_b64 v8, v[0:1]
; %bb.9:                                ;   in Loop: Header=BB259_3 Depth=1
	s_or_b32 exec_lo, exec_lo, s21
	ds_bpermute_b32 v6, v9, v4
	ds_bpermute_b32 v7, v9, v5
	s_wait_dscnt 0x0
	s_barrier_signal -1
	s_barrier_wait -1
	v_add_f64_e32 v[4:5], v[4:5], v[6:7]
	ds_bpermute_b32 v6, v10, v4
	ds_bpermute_b32 v7, v10, v5
	s_wait_dscnt 0x0
	v_add_f64_e32 v[4:5], v[4:5], v[6:7]
	ds_bpermute_b32 v6, v11, v4
	ds_bpermute_b32 v7, v11, v5
	s_wait_dscnt 0x0
	;; [unrolled: 4-line block ×3, first 2 shown]
	v_add_f64_e32 v[4:5], v[4:5], v[6:7]
	ds_bpermute_b32 v6, v13, v4
	ds_bpermute_b32 v7, v13, v5
	s_and_saveexec_b32 s21, s1
	s_cbranch_execz .LBB259_11
; %bb.10:                               ;   in Loop: Header=BB259_3 Depth=1
	s_wait_dscnt 0x0
	v_add_f64_e32 v[4:5], v[4:5], v[6:7]
	ds_store_b64 v14, v[4:5]
.LBB259_11:                             ;   in Loop: Header=BB259_3 Depth=1
	s_or_b32 exec_lo, exec_lo, s21
	v_mov_b64_e32 v[4:5], 0
	s_wait_dscnt 0x0
	s_barrier_signal -1
	s_barrier_wait -1
	s_and_saveexec_b32 s21, s2
	s_cbranch_execnz .LBB259_14
; %bb.12:                               ;   in Loop: Header=BB259_3 Depth=1
	s_or_b32 exec_lo, exec_lo, s21
	s_and_saveexec_b32 s21, s0
	s_cbranch_execnz .LBB259_15
.LBB259_13:                             ;   in Loop: Header=BB259_3 Depth=1
	s_or_b32 exec_lo, exec_lo, s21
	s_and_saveexec_b32 s21, s3
	s_cbranch_execz .LBB259_2
	s_branch .LBB259_16
.LBB259_14:                             ;   in Loop: Header=BB259_3 Depth=1
	ds_load_b64 v[4:5], v8
	s_or_b32 exec_lo, exec_lo, s21
	s_and_saveexec_b32 s21, s0
	s_cbranch_execz .LBB259_13
.LBB259_15:                             ;   in Loop: Header=BB259_3 Depth=1
	s_wait_dscnt 0x0
	ds_bpermute_b32 v6, v10, v4
	ds_bpermute_b32 v7, v10, v5
	s_wait_dscnt 0x0
	v_add_f64_e32 v[4:5], v[4:5], v[6:7]
	ds_bpermute_b32 v6, v11, v4
	ds_bpermute_b32 v7, v11, v5
	s_wait_dscnt 0x0
	v_add_f64_e32 v[4:5], v[4:5], v[6:7]
	;; [unrolled: 4-line block ×4, first 2 shown]
	s_or_b32 exec_lo, exec_lo, s21
	s_and_saveexec_b32 s21, s3
	s_cbranch_execz .LBB259_2
.LBB259_16:                             ;   in Loop: Header=BB259_3 Depth=1
	s_and_b32 vcc_lo, exec_lo, s30
	s_mov_b32 s24, -1
	s_cbranch_vccz .LBB259_18
; %bb.17:                               ;   in Loop: Header=BB259_3 Depth=1
	s_mul_u64 s[24:25], s[18:19], s[16:17]
	s_delay_alu instid0(SALU_CYCLE_1) | instskip(NEXT) | instid1(SALU_CYCLE_1)
	s_lshl_b64 s[24:25], s[24:25], 3
	s_add_nc_u64 s[26:27], s[12:13], s[24:25]
	s_mov_b32 s24, 0
	s_wait_dscnt 0x0
	global_store_b64 v15, v[4:5], s[26:27]
.LBB259_18:                             ;   in Loop: Header=BB259_3 Depth=1
	s_and_not1_b32 vcc_lo, exec_lo, s24
	s_cbranch_vccnz .LBB259_2
; %bb.19:                               ;   in Loop: Header=BB259_3 Depth=1
	s_lshl_b64 s[24:25], s[16:17], 3
	s_delay_alu instid0(SALU_CYCLE_1)
	s_add_nc_u64 s[24:25], s[14:15], s[24:25]
	s_wait_dscnt 0x0
	global_store_b64 v15, v[4:5], s[24:25]
	s_branch .LBB259_2
.LBB259_20:
	s_endpgm
	.section	.rodata,"a",@progbits
	.p2align	6, 0x0
	.amdhsa_kernel _ZL23rocblas_dot_kernel_inc1ILb0ELi512ELi2ELb1EdPKddEviT4_llS2_lliPT5_PT3_
		.amdhsa_group_segment_fixed_size 256
		.amdhsa_private_segment_fixed_size 0
		.amdhsa_kernarg_size 336
		.amdhsa_user_sgpr_count 2
		.amdhsa_user_sgpr_dispatch_ptr 0
		.amdhsa_user_sgpr_queue_ptr 0
		.amdhsa_user_sgpr_kernarg_segment_ptr 1
		.amdhsa_user_sgpr_dispatch_id 0
		.amdhsa_user_sgpr_kernarg_preload_length 0
		.amdhsa_user_sgpr_kernarg_preload_offset 0
		.amdhsa_user_sgpr_private_segment_size 0
		.amdhsa_wavefront_size32 1
		.amdhsa_uses_dynamic_stack 0
		.amdhsa_enable_private_segment 0
		.amdhsa_system_sgpr_workgroup_id_x 1
		.amdhsa_system_sgpr_workgroup_id_y 0
		.amdhsa_system_sgpr_workgroup_id_z 1
		.amdhsa_system_sgpr_workgroup_info 0
		.amdhsa_system_vgpr_workitem_id 0
		.amdhsa_next_free_vgpr 22
		.amdhsa_next_free_sgpr 36
		.amdhsa_named_barrier_count 0
		.amdhsa_reserve_vcc 1
		.amdhsa_float_round_mode_32 0
		.amdhsa_float_round_mode_16_64 0
		.amdhsa_float_denorm_mode_32 3
		.amdhsa_float_denorm_mode_16_64 3
		.amdhsa_fp16_overflow 0
		.amdhsa_memory_ordered 1
		.amdhsa_forward_progress 1
		.amdhsa_inst_pref_size 9
		.amdhsa_round_robin_scheduling 0
		.amdhsa_exception_fp_ieee_invalid_op 0
		.amdhsa_exception_fp_denorm_src 0
		.amdhsa_exception_fp_ieee_div_zero 0
		.amdhsa_exception_fp_ieee_overflow 0
		.amdhsa_exception_fp_ieee_underflow 0
		.amdhsa_exception_fp_ieee_inexact 0
		.amdhsa_exception_int_div_zero 0
	.end_amdhsa_kernel
	.section	.text._ZL23rocblas_dot_kernel_inc1ILb0ELi512ELi2ELb1EdPKddEviT4_llS2_lliPT5_PT3_,"axG",@progbits,_ZL23rocblas_dot_kernel_inc1ILb0ELi512ELi2ELb1EdPKddEviT4_llS2_lliPT5_PT3_,comdat
.Lfunc_end259:
	.size	_ZL23rocblas_dot_kernel_inc1ILb0ELi512ELi2ELb1EdPKddEviT4_llS2_lliPT5_PT3_, .Lfunc_end259-_ZL23rocblas_dot_kernel_inc1ILb0ELi512ELi2ELb1EdPKddEviT4_llS2_lliPT5_PT3_
                                        ; -- End function
	.set _ZL23rocblas_dot_kernel_inc1ILb0ELi512ELi2ELb1EdPKddEviT4_llS2_lliPT5_PT3_.num_vgpr, 22
	.set _ZL23rocblas_dot_kernel_inc1ILb0ELi512ELi2ELb1EdPKddEviT4_llS2_lliPT5_PT3_.num_agpr, 0
	.set _ZL23rocblas_dot_kernel_inc1ILb0ELi512ELi2ELb1EdPKddEviT4_llS2_lliPT5_PT3_.numbered_sgpr, 36
	.set _ZL23rocblas_dot_kernel_inc1ILb0ELi512ELi2ELb1EdPKddEviT4_llS2_lliPT5_PT3_.num_named_barrier, 0
	.set _ZL23rocblas_dot_kernel_inc1ILb0ELi512ELi2ELb1EdPKddEviT4_llS2_lliPT5_PT3_.private_seg_size, 0
	.set _ZL23rocblas_dot_kernel_inc1ILb0ELi512ELi2ELb1EdPKddEviT4_llS2_lliPT5_PT3_.uses_vcc, 1
	.set _ZL23rocblas_dot_kernel_inc1ILb0ELi512ELi2ELb1EdPKddEviT4_llS2_lliPT5_PT3_.uses_flat_scratch, 0
	.set _ZL23rocblas_dot_kernel_inc1ILb0ELi512ELi2ELb1EdPKddEviT4_llS2_lliPT5_PT3_.has_dyn_sized_stack, 0
	.set _ZL23rocblas_dot_kernel_inc1ILb0ELi512ELi2ELb1EdPKddEviT4_llS2_lliPT5_PT3_.has_recursion, 0
	.set _ZL23rocblas_dot_kernel_inc1ILb0ELi512ELi2ELb1EdPKddEviT4_llS2_lliPT5_PT3_.has_indirect_call, 0
	.section	.AMDGPU.csdata,"",@progbits
; Kernel info:
; codeLenInByte = 1052
; TotalNumSgprs: 38
; NumVgprs: 22
; ScratchSize: 0
; MemoryBound: 0
; FloatMode: 240
; IeeeMode: 1
; LDSByteSize: 256 bytes/workgroup (compile time only)
; SGPRBlocks: 0
; VGPRBlocks: 1
; NumSGPRsForWavesPerEU: 38
; NumVGPRsForWavesPerEU: 22
; NamedBarCnt: 0
; Occupancy: 16
; WaveLimiterHint : 0
; COMPUTE_PGM_RSRC2:SCRATCH_EN: 0
; COMPUTE_PGM_RSRC2:USER_SGPR: 2
; COMPUTE_PGM_RSRC2:TRAP_HANDLER: 0
; COMPUTE_PGM_RSRC2:TGID_X_EN: 1
; COMPUTE_PGM_RSRC2:TGID_Y_EN: 0
; COMPUTE_PGM_RSRC2:TGID_Z_EN: 1
; COMPUTE_PGM_RSRC2:TIDIG_COMP_CNT: 0
	.section	.text._ZL18rocblas_dot_kernelIiLb0ELi512ELi2ELb1EdPKddEviT5_lT_lS2_lS3_liPT6_PT4_,"axG",@progbits,_ZL18rocblas_dot_kernelIiLb0ELi512ELi2ELb1EdPKddEviT5_lT_lS2_lS3_liPT6_PT4_,comdat
	.globl	_ZL18rocblas_dot_kernelIiLb0ELi512ELi2ELb1EdPKddEviT5_lT_lS2_lS3_liPT6_PT4_ ; -- Begin function _ZL18rocblas_dot_kernelIiLb0ELi512ELi2ELb1EdPKddEviT5_lT_lS2_lS3_liPT6_PT4_
	.p2align	8
	.type	_ZL18rocblas_dot_kernelIiLb0ELi512ELi2ELb1EdPKddEviT5_lT_lS2_lS3_liPT6_PT4_,@function
_ZL18rocblas_dot_kernelIiLb0ELi512ELi2ELb1EdPKddEviT5_lT_lS2_lS3_liPT6_PT4_: ; @_ZL18rocblas_dot_kernelIiLb0ELi512ELi2ELb1EdPKddEviT5_lT_lS2_lS3_liPT6_PT4_
; %bb.0:
	s_load_b32 s28, s[0:1], 0x48
	s_bfe_u32 s2, ttmp6, 0x40014
	s_lshr_b32 s3, ttmp7, 16
	s_add_co_i32 s2, s2, 1
	s_bfe_u32 s5, ttmp6, 0x40008
	s_mul_i32 s4, s3, s2
	s_getreg_b32 s2, hwreg(HW_REG_IB_STS2, 6, 4)
	s_add_co_i32 s5, s5, s4
	s_cmp_eq_u32 s2, 0
	s_mov_b32 s13, 0
	s_cselect_b32 s12, s3, s5
	s_wait_kmcnt 0x0
	s_cmp_ge_u32 s12, s28
	s_cbranch_scc1 .LBB260_20
; %bb.1:
	v_mbcnt_lo_u32_b32 v3, -1, 0
	s_clause 0x7
	s_load_b32 s14, s[0:1], 0x18
	s_load_b96 s[36:38], s[0:1], 0x30
	s_load_b128 s[24:27], s[0:1], 0x8
	s_load_b128 s[4:7], s[0:1], 0x20
	s_load_b32 s16, s[0:1], 0x60
	s_load_b32 s29, s[0:1], 0x0
	s_load_b128 s[8:11], s[0:1], 0x50
	s_load_b64 s[18:19], s[0:1], 0x40
	s_wait_xcnt 0x0
	s_bfe_u32 s0, ttmp6, 0x4000c
	s_and_b32 s1, ttmp6, 15
	s_add_co_i32 s0, s0, 1
	v_cmp_gt_u32_e32 vcc_lo, 24, v3
	s_mul_i32 s0, ttmp9, s0
	v_and_b32_e32 v1, 31, v0
	s_add_co_i32 s3, s1, s0
	v_lshl_or_b32 v9, v3, 2, 64
	v_cndmask_b32_e64 v4, 0, 8, vcc_lo
	v_cmp_gt_u32_e32 vcc_lo, 28, v3
	v_mov_b32_e32 v15, 0
	s_mov_b32 s17, s13
	s_wait_kmcnt 0x0
	s_ashr_i32 s15, s14, 31
	s_ashr_i32 s21, s38, 31
	v_cndmask_b32_e64 v5, 0, 4, vcc_lo
	v_cmp_gt_u32_e32 vcc_lo, 30, v3
	s_lshl_b64 s[0:1], s[26:27], 3
	s_lshl_b64 s[26:27], s[36:37], 3
	s_cmp_eq_u32 s2, 0
	v_add_lshl_u32 v10, v4, v3, 2
	v_cndmask_b32_e64 v6, 0, 2, vcc_lo
	v_cmp_ne_u32_e32 vcc_lo, 31, v3
	v_lshrrev_b32_e32 v4, 2, v0
	s_add_nc_u64 s[22:23], s[24:25], s[0:1]
	s_cselect_b32 s24, ttmp9, s3
	v_cmp_gt_u32_e64 s0, 32, v0
	v_add_co_ci_u32_e64 v7, null, 0, v3, vcc_lo
	v_lshl_or_b32 v2, s24, 9, v0
	v_lshlrev_b32_e32 v8, 3, v1
	v_cmp_eq_u32_e64 s1, 0, v1
	v_cmp_gt_u32_e64 s2, 16, v0
	v_cmp_eq_u32_e64 s3, 0, v0
	v_mov_b64_e32 v[0:1], 0
	s_cmp_lg_u32 s16, 1
	s_mov_b32 s25, s13
	v_add_lshl_u32 v11, v5, v3, 2
	v_add_lshl_u32 v12, v6, v3, 2
	v_lshlrev_b32_e32 v13, 2, v7
	v_and_b32_e32 v14, 0x78, v4
	s_cselect_b32 s30, -1, 0
	s_lshl_b64 s[24:25], s[24:25], 3
	s_mov_b32 s20, s38
	s_add_nc_u64 s[6:7], s[6:7], s[26:27]
	s_lshl_b32 s31, s16, 9
	s_add_nc_u64 s[8:9], s[8:9], s[24:25]
	s_branch .LBB260_3
.LBB260_2:                              ;   in Loop: Header=BB260_3 Depth=1
	s_wait_xcnt 0x0
	s_or_b32 exec_lo, exec_lo, s24
	s_add_co_i32 s12, s12, 0x10000
	s_delay_alu instid0(SALU_CYCLE_1)
	s_cmp_lt_u32 s12, s28
	s_cbranch_scc0 .LBB260_20
.LBB260_3:                              ; =>This Inner Loop Header: Depth=1
	s_wait_dscnt 0x0
	v_mov_b64_e32 v[4:5], 0
	s_mov_b32 s33, exec_lo
	v_cmpx_gt_i32_e64 s29, v2
	s_cbranch_execz .LBB260_7
; %bb.4:                                ;   in Loop: Header=BB260_3 Depth=1
	v_ashrrev_i32_e32 v3, 31, v2
	s_mul_u64 s[24:25], s[18:19], s[12:13]
	s_mul_u64 s[26:27], s[4:5], s[12:13]
	s_lshl_b64 s[24:25], s[24:25], 3
	s_lshl_b64 s[34:35], s[26:27], 3
	v_mul_u64_e32 v[4:5], s[20:21], v[2:3]
	v_mul_u64_e32 v[6:7], s[14:15], v[2:3]
	s_add_nc_u64 s[26:27], s[6:7], s[24:25]
	s_add_nc_u64 s[24:25], s[22:23], s[34:35]
	v_add_nc_u32_e32 v2, s31, v2
	s_mov_b32 s34, exec_lo
	s_delay_alu instid0(VALU_DEP_3) | instskip(NEXT) | instid1(VALU_DEP_3)
	v_lshl_add_u64 v[4:5], v[4:5], 3, s[26:27]
	v_lshl_add_u64 v[6:7], v[6:7], 3, s[24:25]
	global_load_b64 v[16:17], v[4:5], off
	global_load_b64 v[18:19], v[6:7], off
	s_wait_loadcnt 0x0
	s_wait_xcnt 0x1
	v_fma_f64 v[4:5], v[16:17], v[18:19], 0
	s_wait_xcnt 0x0
	v_cmpx_gt_i32_e64 s29, v2
	s_cbranch_execz .LBB260_6
; %bb.5:                                ;   in Loop: Header=BB260_3 Depth=1
	v_ashrrev_i32_e32 v3, 31, v2
	s_delay_alu instid0(VALU_DEP_1) | instskip(SKIP_2) | instid1(VALU_DEP_3)
	v_mul_u64_e32 v[6:7], s[20:21], v[2:3]
	v_mul_u64_e32 v[16:17], s[14:15], v[2:3]
	v_add_nc_u32_e32 v2, s31, v2
	v_lshl_add_u64 v[6:7], v[6:7], 3, s[26:27]
	s_delay_alu instid0(VALU_DEP_3)
	v_lshl_add_u64 v[16:17], v[16:17], 3, s[24:25]
	global_load_b64 v[18:19], v[6:7], off
	global_load_b64 v[20:21], v[16:17], off
	s_wait_loadcnt 0x0
	v_fmac_f64_e32 v[4:5], v[18:19], v[20:21]
.LBB260_6:                              ;   in Loop: Header=BB260_3 Depth=1
	s_wait_xcnt 0x0
	s_or_b32 exec_lo, exec_lo, s34
.LBB260_7:                              ;   in Loop: Header=BB260_3 Depth=1
	s_delay_alu instid0(SALU_CYCLE_1)
	s_or_b32 exec_lo, exec_lo, s33
	s_and_saveexec_b32 s24, s0
; %bb.8:                                ;   in Loop: Header=BB260_3 Depth=1
	ds_store_b64 v8, v[0:1]
; %bb.9:                                ;   in Loop: Header=BB260_3 Depth=1
	s_or_b32 exec_lo, exec_lo, s24
	ds_bpermute_b32 v6, v9, v4
	ds_bpermute_b32 v7, v9, v5
	s_wait_dscnt 0x0
	s_barrier_signal -1
	s_barrier_wait -1
	v_add_f64_e32 v[4:5], v[4:5], v[6:7]
	ds_bpermute_b32 v6, v10, v4
	ds_bpermute_b32 v7, v10, v5
	s_wait_dscnt 0x0
	v_add_f64_e32 v[4:5], v[4:5], v[6:7]
	ds_bpermute_b32 v6, v11, v4
	ds_bpermute_b32 v7, v11, v5
	s_wait_dscnt 0x0
	;; [unrolled: 4-line block ×3, first 2 shown]
	v_add_f64_e32 v[4:5], v[4:5], v[6:7]
	ds_bpermute_b32 v6, v13, v4
	ds_bpermute_b32 v7, v13, v5
	s_and_saveexec_b32 s24, s1
	s_cbranch_execz .LBB260_11
; %bb.10:                               ;   in Loop: Header=BB260_3 Depth=1
	s_wait_dscnt 0x0
	v_add_f64_e32 v[4:5], v[4:5], v[6:7]
	ds_store_b64 v14, v[4:5]
.LBB260_11:                             ;   in Loop: Header=BB260_3 Depth=1
	s_or_b32 exec_lo, exec_lo, s24
	v_mov_b64_e32 v[4:5], 0
	s_wait_dscnt 0x0
	s_barrier_signal -1
	s_barrier_wait -1
	s_and_saveexec_b32 s24, s2
	s_cbranch_execnz .LBB260_14
; %bb.12:                               ;   in Loop: Header=BB260_3 Depth=1
	s_or_b32 exec_lo, exec_lo, s24
	s_and_saveexec_b32 s24, s0
	s_cbranch_execnz .LBB260_15
.LBB260_13:                             ;   in Loop: Header=BB260_3 Depth=1
	s_or_b32 exec_lo, exec_lo, s24
	s_and_saveexec_b32 s24, s3
	s_cbranch_execz .LBB260_2
	s_branch .LBB260_16
.LBB260_14:                             ;   in Loop: Header=BB260_3 Depth=1
	ds_load_b64 v[4:5], v8
	s_or_b32 exec_lo, exec_lo, s24
	s_and_saveexec_b32 s24, s0
	s_cbranch_execz .LBB260_13
.LBB260_15:                             ;   in Loop: Header=BB260_3 Depth=1
	s_wait_dscnt 0x0
	ds_bpermute_b32 v6, v10, v4
	ds_bpermute_b32 v7, v10, v5
	s_wait_dscnt 0x0
	v_add_f64_e32 v[4:5], v[4:5], v[6:7]
	ds_bpermute_b32 v6, v11, v4
	ds_bpermute_b32 v7, v11, v5
	s_wait_dscnt 0x0
	v_add_f64_e32 v[4:5], v[4:5], v[6:7]
	;; [unrolled: 4-line block ×4, first 2 shown]
	s_or_b32 exec_lo, exec_lo, s24
	s_and_saveexec_b32 s24, s3
	s_cbranch_execz .LBB260_2
.LBB260_16:                             ;   in Loop: Header=BB260_3 Depth=1
	s_and_b32 vcc_lo, exec_lo, s30
	s_mov_b32 s25, -1
	s_cbranch_vccz .LBB260_18
; %bb.17:                               ;   in Loop: Header=BB260_3 Depth=1
	s_mul_u64 s[26:27], s[16:17], s[12:13]
	s_mov_b32 s25, 0
	s_lshl_b64 s[26:27], s[26:27], 3
	s_delay_alu instid0(SALU_CYCLE_1)
	s_add_nc_u64 s[26:27], s[8:9], s[26:27]
	s_wait_dscnt 0x0
	global_store_b64 v15, v[4:5], s[26:27]
.LBB260_18:                             ;   in Loop: Header=BB260_3 Depth=1
	s_and_not1_b32 vcc_lo, exec_lo, s25
	s_cbranch_vccnz .LBB260_2
; %bb.19:                               ;   in Loop: Header=BB260_3 Depth=1
	s_wait_xcnt 0x0
	s_lshl_b64 s[26:27], s[12:13], 3
	s_delay_alu instid0(SALU_CYCLE_1)
	s_add_nc_u64 s[26:27], s[10:11], s[26:27]
	s_wait_dscnt 0x0
	global_store_b64 v15, v[4:5], s[26:27]
	s_branch .LBB260_2
.LBB260_20:
	s_endpgm
	.section	.rodata,"a",@progbits
	.p2align	6, 0x0
	.amdhsa_kernel _ZL18rocblas_dot_kernelIiLb0ELi512ELi2ELb1EdPKddEviT5_lT_lS2_lS3_liPT6_PT4_
		.amdhsa_group_segment_fixed_size 256
		.amdhsa_private_segment_fixed_size 0
		.amdhsa_kernarg_size 352
		.amdhsa_user_sgpr_count 2
		.amdhsa_user_sgpr_dispatch_ptr 0
		.amdhsa_user_sgpr_queue_ptr 0
		.amdhsa_user_sgpr_kernarg_segment_ptr 1
		.amdhsa_user_sgpr_dispatch_id 0
		.amdhsa_user_sgpr_kernarg_preload_length 0
		.amdhsa_user_sgpr_kernarg_preload_offset 0
		.amdhsa_user_sgpr_private_segment_size 0
		.amdhsa_wavefront_size32 1
		.amdhsa_uses_dynamic_stack 0
		.amdhsa_enable_private_segment 0
		.amdhsa_system_sgpr_workgroup_id_x 1
		.amdhsa_system_sgpr_workgroup_id_y 0
		.amdhsa_system_sgpr_workgroup_id_z 1
		.amdhsa_system_sgpr_workgroup_info 0
		.amdhsa_system_vgpr_workitem_id 0
		.amdhsa_next_free_vgpr 22
		.amdhsa_next_free_sgpr 39
		.amdhsa_named_barrier_count 0
		.amdhsa_reserve_vcc 1
		.amdhsa_float_round_mode_32 0
		.amdhsa_float_round_mode_16_64 0
		.amdhsa_float_denorm_mode_32 3
		.amdhsa_float_denorm_mode_16_64 3
		.amdhsa_fp16_overflow 0
		.amdhsa_memory_ordered 1
		.amdhsa_forward_progress 1
		.amdhsa_inst_pref_size 9
		.amdhsa_round_robin_scheduling 0
		.amdhsa_exception_fp_ieee_invalid_op 0
		.amdhsa_exception_fp_denorm_src 0
		.amdhsa_exception_fp_ieee_div_zero 0
		.amdhsa_exception_fp_ieee_overflow 0
		.amdhsa_exception_fp_ieee_underflow 0
		.amdhsa_exception_fp_ieee_inexact 0
		.amdhsa_exception_int_div_zero 0
	.end_amdhsa_kernel
	.section	.text._ZL18rocblas_dot_kernelIiLb0ELi512ELi2ELb1EdPKddEviT5_lT_lS2_lS3_liPT6_PT4_,"axG",@progbits,_ZL18rocblas_dot_kernelIiLb0ELi512ELi2ELb1EdPKddEviT5_lT_lS2_lS3_liPT6_PT4_,comdat
.Lfunc_end260:
	.size	_ZL18rocblas_dot_kernelIiLb0ELi512ELi2ELb1EdPKddEviT5_lT_lS2_lS3_liPT6_PT4_, .Lfunc_end260-_ZL18rocblas_dot_kernelIiLb0ELi512ELi2ELb1EdPKddEviT5_lT_lS2_lS3_liPT6_PT4_
                                        ; -- End function
	.set _ZL18rocblas_dot_kernelIiLb0ELi512ELi2ELb1EdPKddEviT5_lT_lS2_lS3_liPT6_PT4_.num_vgpr, 22
	.set _ZL18rocblas_dot_kernelIiLb0ELi512ELi2ELb1EdPKddEviT5_lT_lS2_lS3_liPT6_PT4_.num_agpr, 0
	.set _ZL18rocblas_dot_kernelIiLb0ELi512ELi2ELb1EdPKddEviT5_lT_lS2_lS3_liPT6_PT4_.numbered_sgpr, 39
	.set _ZL18rocblas_dot_kernelIiLb0ELi512ELi2ELb1EdPKddEviT5_lT_lS2_lS3_liPT6_PT4_.num_named_barrier, 0
	.set _ZL18rocblas_dot_kernelIiLb0ELi512ELi2ELb1EdPKddEviT5_lT_lS2_lS3_liPT6_PT4_.private_seg_size, 0
	.set _ZL18rocblas_dot_kernelIiLb0ELi512ELi2ELb1EdPKddEviT5_lT_lS2_lS3_liPT6_PT4_.uses_vcc, 1
	.set _ZL18rocblas_dot_kernelIiLb0ELi512ELi2ELb1EdPKddEviT5_lT_lS2_lS3_liPT6_PT4_.uses_flat_scratch, 0
	.set _ZL18rocblas_dot_kernelIiLb0ELi512ELi2ELb1EdPKddEviT5_lT_lS2_lS3_liPT6_PT4_.has_dyn_sized_stack, 0
	.set _ZL18rocblas_dot_kernelIiLb0ELi512ELi2ELb1EdPKddEviT5_lT_lS2_lS3_liPT6_PT4_.has_recursion, 0
	.set _ZL18rocblas_dot_kernelIiLb0ELi512ELi2ELb1EdPKddEviT5_lT_lS2_lS3_liPT6_PT4_.has_indirect_call, 0
	.section	.AMDGPU.csdata,"",@progbits
; Kernel info:
; codeLenInByte = 1100
; TotalNumSgprs: 41
; NumVgprs: 22
; ScratchSize: 0
; MemoryBound: 0
; FloatMode: 240
; IeeeMode: 1
; LDSByteSize: 256 bytes/workgroup (compile time only)
; SGPRBlocks: 0
; VGPRBlocks: 1
; NumSGPRsForWavesPerEU: 41
; NumVGPRsForWavesPerEU: 22
; NamedBarCnt: 0
; Occupancy: 16
; WaveLimiterHint : 0
; COMPUTE_PGM_RSRC2:SCRATCH_EN: 0
; COMPUTE_PGM_RSRC2:USER_SGPR: 2
; COMPUTE_PGM_RSRC2:TRAP_HANDLER: 0
; COMPUTE_PGM_RSRC2:TGID_X_EN: 1
; COMPUTE_PGM_RSRC2:TGID_Y_EN: 0
; COMPUTE_PGM_RSRC2:TGID_Z_EN: 1
; COMPUTE_PGM_RSRC2:TIDIG_COMP_CNT: 0
	.section	.text._ZL24rocblas_dot_kernel_magsqIiLb0ELi512ELi2ELb1EdPKddEviT5_lT_liPT6_PT4_,"axG",@progbits,_ZL24rocblas_dot_kernel_magsqIiLb0ELi512ELi2ELb1EdPKddEviT5_lT_liPT6_PT4_,comdat
	.globl	_ZL24rocblas_dot_kernel_magsqIiLb0ELi512ELi2ELb1EdPKddEviT5_lT_liPT6_PT4_ ; -- Begin function _ZL24rocblas_dot_kernel_magsqIiLb0ELi512ELi2ELb1EdPKddEviT5_lT_liPT6_PT4_
	.p2align	8
	.type	_ZL24rocblas_dot_kernel_magsqIiLb0ELi512ELi2ELb1EdPKddEviT5_lT_liPT6_PT4_,@function
_ZL24rocblas_dot_kernel_magsqIiLb0ELi512ELi2ELb1EdPKddEviT5_lT_liPT6_PT4_: ; @_ZL24rocblas_dot_kernel_magsqIiLb0ELi512ELi2ELb1EdPKddEviT5_lT_liPT6_PT4_
; %bb.0:
	s_load_b32 s20, s[0:1], 0x28
	s_bfe_u32 s2, ttmp6, 0x40014
	s_lshr_b32 s3, ttmp7, 16
	s_add_co_i32 s2, s2, 1
	s_bfe_u32 s5, ttmp6, 0x40008
	s_mul_i32 s4, s3, s2
	s_getreg_b32 s2, hwreg(HW_REG_IB_STS2, 6, 4)
	s_add_co_i32 s5, s5, s4
	s_cmp_eq_u32 s2, 0
	s_mov_b32 s9, 0
	s_cselect_b32 s8, s3, s5
	s_wait_kmcnt 0x0
	s_cmp_ge_u32 s8, s20
	s_cbranch_scc1 .LBB261_20
; %bb.1:
	v_mbcnt_lo_u32_b32 v3, -1, 0
	s_clause 0x5
	s_load_b32 s10, s[0:1], 0x18
	s_load_b128 s[16:19], s[0:1], 0x8
	s_load_b32 s12, s[0:1], 0x40
	s_load_b128 s[4:7], s[0:1], 0x30
	s_load_b64 s[14:15], s[0:1], 0x20
	s_load_b32 s21, s[0:1], 0x0
	s_wait_xcnt 0x0
	s_bfe_u32 s0, ttmp6, 0x4000c
	s_and_b32 s1, ttmp6, 15
	s_add_co_i32 s3, s0, 1
	v_cmp_gt_u32_e32 vcc_lo, 24, v3
	s_mul_i32 s3, ttmp9, s3
	v_and_b32_e32 v1, 31, v0
	s_add_co_i32 s1, s1, s3
	v_cmp_gt_u32_e64 s0, 32, v0
	v_cndmask_b32_e64 v4, 0, 8, vcc_lo
	v_cmp_gt_u32_e32 vcc_lo, 28, v3
	v_cmp_eq_u32_e64 s3, 0, v0
	v_lshl_or_b32 v9, v3, 2, 64
	v_mov_b32_e32 v15, 0
	v_add_lshl_u32 v10, v4, v3, 2
	v_cndmask_b32_e64 v5, 0, 4, vcc_lo
	v_cmp_gt_u32_e32 vcc_lo, 30, v3
	s_wait_kmcnt 0x0
	s_ashr_i32 s11, s10, 31
	s_lshl_b64 s[18:19], s[18:19], 3
	s_cmp_eq_u32 s2, 0
	v_lshrrev_b32_e32 v4, 2, v0
	v_cndmask_b32_e64 v6, 0, 2, vcc_lo
	v_cmp_ne_u32_e32 vcc_lo, 31, v3
	s_add_nc_u64 s[16:17], s[16:17], s[18:19]
	s_cselect_b32 s18, ttmp9, s1
	v_cmp_eq_u32_e64 s1, 0, v1
	v_lshl_or_b32 v2, s18, 9, v0
	v_add_co_ci_u32_e64 v7, null, 0, v3, vcc_lo
	v_lshlrev_b32_e32 v8, 3, v1
	v_cmp_gt_u32_e64 s2, 16, v0
	v_mov_b64_e32 v[0:1], 0
	s_cmp_lg_u32 s12, 1
	s_mov_b32 s19, s9
	v_add_lshl_u32 v11, v5, v3, 2
	v_add_lshl_u32 v12, v6, v3, 2
	v_lshlrev_b32_e32 v13, 2, v7
	v_and_b32_e32 v14, 0x78, v4
	s_cselect_b32 s22, -1, 0
	s_lshl_b64 s[18:19], s[18:19], 3
	s_mov_b32 s13, s9
	s_lshl_b32 s23, s12, 9
	s_add_nc_u64 s[4:5], s[4:5], s[18:19]
	s_branch .LBB261_3
.LBB261_2:                              ;   in Loop: Header=BB261_3 Depth=1
	s_wait_xcnt 0x0
	s_or_b32 exec_lo, exec_lo, s18
	s_add_co_i32 s8, s8, 0x10000
	s_delay_alu instid0(SALU_CYCLE_1)
	s_cmp_lt_u32 s8, s20
	s_cbranch_scc0 .LBB261_20
.LBB261_3:                              ; =>This Inner Loop Header: Depth=1
	s_wait_dscnt 0x0
	v_mov_b64_e32 v[4:5], 0
	s_mov_b32 s24, exec_lo
	v_cmpx_gt_i32_e64 s21, v2
	s_cbranch_execz .LBB261_7
; %bb.4:                                ;   in Loop: Header=BB261_3 Depth=1
	v_ashrrev_i32_e32 v3, 31, v2
	s_mul_u64 s[18:19], s[14:15], s[8:9]
	s_mov_b32 s25, exec_lo
	s_lshl_b64 s[18:19], s[18:19], 3
	s_delay_alu instid0(SALU_CYCLE_1) | instskip(SKIP_2) | instid1(VALU_DEP_2)
	s_add_nc_u64 s[18:19], s[16:17], s[18:19]
	v_mul_u64_e32 v[4:5], s[10:11], v[2:3]
	v_add_nc_u32_e32 v2, s23, v2
	v_lshl_add_u64 v[4:5], v[4:5], 3, s[18:19]
	global_load_b64 v[4:5], v[4:5], off
	s_wait_loadcnt 0x0
	s_wait_xcnt 0x0
	v_mul_f64_e32 v[4:5], v[4:5], v[4:5]
	v_cmpx_gt_i32_e64 s21, v2
	s_cbranch_execz .LBB261_6
; %bb.5:                                ;   in Loop: Header=BB261_3 Depth=1
	v_ashrrev_i32_e32 v3, 31, v2
	s_delay_alu instid0(VALU_DEP_1) | instskip(SKIP_1) | instid1(VALU_DEP_2)
	v_mul_u64_e32 v[6:7], s[10:11], v[2:3]
	v_add_nc_u32_e32 v2, s23, v2
	v_lshl_add_u64 v[6:7], v[6:7], 3, s[18:19]
	global_load_b64 v[6:7], v[6:7], off
	s_wait_loadcnt 0x0
	v_fmac_f64_e32 v[4:5], v[6:7], v[6:7]
.LBB261_6:                              ;   in Loop: Header=BB261_3 Depth=1
	s_wait_xcnt 0x0
	s_or_b32 exec_lo, exec_lo, s25
.LBB261_7:                              ;   in Loop: Header=BB261_3 Depth=1
	s_delay_alu instid0(SALU_CYCLE_1)
	s_or_b32 exec_lo, exec_lo, s24
	s_and_saveexec_b32 s18, s0
; %bb.8:                                ;   in Loop: Header=BB261_3 Depth=1
	ds_store_b64 v8, v[0:1]
; %bb.9:                                ;   in Loop: Header=BB261_3 Depth=1
	s_or_b32 exec_lo, exec_lo, s18
	ds_bpermute_b32 v6, v9, v4
	ds_bpermute_b32 v7, v9, v5
	s_wait_dscnt 0x0
	s_barrier_signal -1
	s_barrier_wait -1
	v_add_f64_e32 v[4:5], v[4:5], v[6:7]
	ds_bpermute_b32 v6, v10, v4
	ds_bpermute_b32 v7, v10, v5
	s_wait_dscnt 0x0
	v_add_f64_e32 v[4:5], v[4:5], v[6:7]
	ds_bpermute_b32 v6, v11, v4
	ds_bpermute_b32 v7, v11, v5
	s_wait_dscnt 0x0
	;; [unrolled: 4-line block ×3, first 2 shown]
	v_add_f64_e32 v[4:5], v[4:5], v[6:7]
	ds_bpermute_b32 v6, v13, v4
	ds_bpermute_b32 v7, v13, v5
	s_and_saveexec_b32 s18, s1
	s_cbranch_execz .LBB261_11
; %bb.10:                               ;   in Loop: Header=BB261_3 Depth=1
	s_wait_dscnt 0x0
	v_add_f64_e32 v[4:5], v[4:5], v[6:7]
	ds_store_b64 v14, v[4:5]
.LBB261_11:                             ;   in Loop: Header=BB261_3 Depth=1
	s_or_b32 exec_lo, exec_lo, s18
	v_mov_b64_e32 v[4:5], 0
	s_wait_dscnt 0x0
	s_barrier_signal -1
	s_barrier_wait -1
	s_and_saveexec_b32 s18, s2
	s_cbranch_execnz .LBB261_14
; %bb.12:                               ;   in Loop: Header=BB261_3 Depth=1
	s_or_b32 exec_lo, exec_lo, s18
	s_and_saveexec_b32 s18, s0
	s_cbranch_execnz .LBB261_15
.LBB261_13:                             ;   in Loop: Header=BB261_3 Depth=1
	s_or_b32 exec_lo, exec_lo, s18
	s_and_saveexec_b32 s18, s3
	s_cbranch_execz .LBB261_2
	s_branch .LBB261_16
.LBB261_14:                             ;   in Loop: Header=BB261_3 Depth=1
	ds_load_b64 v[4:5], v8
	s_or_b32 exec_lo, exec_lo, s18
	s_and_saveexec_b32 s18, s0
	s_cbranch_execz .LBB261_13
.LBB261_15:                             ;   in Loop: Header=BB261_3 Depth=1
	s_wait_dscnt 0x0
	ds_bpermute_b32 v6, v10, v4
	ds_bpermute_b32 v7, v10, v5
	s_wait_dscnt 0x0
	v_add_f64_e32 v[4:5], v[4:5], v[6:7]
	ds_bpermute_b32 v6, v11, v4
	ds_bpermute_b32 v7, v11, v5
	s_wait_dscnt 0x0
	v_add_f64_e32 v[4:5], v[4:5], v[6:7]
	;; [unrolled: 4-line block ×4, first 2 shown]
	s_or_b32 exec_lo, exec_lo, s18
	s_and_saveexec_b32 s18, s3
	s_cbranch_execz .LBB261_2
.LBB261_16:                             ;   in Loop: Header=BB261_3 Depth=1
	s_and_b32 vcc_lo, exec_lo, s22
	s_mov_b32 s19, -1
	s_cbranch_vccz .LBB261_18
; %bb.17:                               ;   in Loop: Header=BB261_3 Depth=1
	s_mul_u64 s[24:25], s[12:13], s[8:9]
	s_mov_b32 s19, 0
	s_lshl_b64 s[24:25], s[24:25], 3
	s_delay_alu instid0(SALU_CYCLE_1)
	s_add_nc_u64 s[24:25], s[4:5], s[24:25]
	s_wait_dscnt 0x0
	global_store_b64 v15, v[4:5], s[24:25]
.LBB261_18:                             ;   in Loop: Header=BB261_3 Depth=1
	s_and_not1_b32 vcc_lo, exec_lo, s19
	s_cbranch_vccnz .LBB261_2
; %bb.19:                               ;   in Loop: Header=BB261_3 Depth=1
	s_wait_xcnt 0x0
	s_lshl_b64 s[24:25], s[8:9], 3
	s_delay_alu instid0(SALU_CYCLE_1)
	s_add_nc_u64 s[24:25], s[6:7], s[24:25]
	s_wait_dscnt 0x0
	global_store_b64 v15, v[4:5], s[24:25]
	s_branch .LBB261_2
.LBB261_20:
	s_endpgm
	.section	.rodata,"a",@progbits
	.p2align	6, 0x0
	.amdhsa_kernel _ZL24rocblas_dot_kernel_magsqIiLb0ELi512ELi2ELb1EdPKddEviT5_lT_liPT6_PT4_
		.amdhsa_group_segment_fixed_size 256
		.amdhsa_private_segment_fixed_size 0
		.amdhsa_kernarg_size 320
		.amdhsa_user_sgpr_count 2
		.amdhsa_user_sgpr_dispatch_ptr 0
		.amdhsa_user_sgpr_queue_ptr 0
		.amdhsa_user_sgpr_kernarg_segment_ptr 1
		.amdhsa_user_sgpr_dispatch_id 0
		.amdhsa_user_sgpr_kernarg_preload_length 0
		.amdhsa_user_sgpr_kernarg_preload_offset 0
		.amdhsa_user_sgpr_private_segment_size 0
		.amdhsa_wavefront_size32 1
		.amdhsa_uses_dynamic_stack 0
		.amdhsa_enable_private_segment 0
		.amdhsa_system_sgpr_workgroup_id_x 1
		.amdhsa_system_sgpr_workgroup_id_y 0
		.amdhsa_system_sgpr_workgroup_id_z 1
		.amdhsa_system_sgpr_workgroup_info 0
		.amdhsa_system_vgpr_workitem_id 0
		.amdhsa_next_free_vgpr 16
		.amdhsa_next_free_sgpr 26
		.amdhsa_named_barrier_count 0
		.amdhsa_reserve_vcc 1
		.amdhsa_float_round_mode_32 0
		.amdhsa_float_round_mode_16_64 0
		.amdhsa_float_denorm_mode_32 3
		.amdhsa_float_denorm_mode_16_64 3
		.amdhsa_fp16_overflow 0
		.amdhsa_memory_ordered 1
		.amdhsa_forward_progress 1
		.amdhsa_inst_pref_size 8
		.amdhsa_round_robin_scheduling 0
		.amdhsa_exception_fp_ieee_invalid_op 0
		.amdhsa_exception_fp_denorm_src 0
		.amdhsa_exception_fp_ieee_div_zero 0
		.amdhsa_exception_fp_ieee_overflow 0
		.amdhsa_exception_fp_ieee_underflow 0
		.amdhsa_exception_fp_ieee_inexact 0
		.amdhsa_exception_int_div_zero 0
	.end_amdhsa_kernel
	.section	.text._ZL24rocblas_dot_kernel_magsqIiLb0ELi512ELi2ELb1EdPKddEviT5_lT_liPT6_PT4_,"axG",@progbits,_ZL24rocblas_dot_kernel_magsqIiLb0ELi512ELi2ELb1EdPKddEviT5_lT_liPT6_PT4_,comdat
.Lfunc_end261:
	.size	_ZL24rocblas_dot_kernel_magsqIiLb0ELi512ELi2ELb1EdPKddEviT5_lT_liPT6_PT4_, .Lfunc_end261-_ZL24rocblas_dot_kernel_magsqIiLb0ELi512ELi2ELb1EdPKddEviT5_lT_liPT6_PT4_
                                        ; -- End function
	.set _ZL24rocblas_dot_kernel_magsqIiLb0ELi512ELi2ELb1EdPKddEviT5_lT_liPT6_PT4_.num_vgpr, 16
	.set _ZL24rocblas_dot_kernel_magsqIiLb0ELi512ELi2ELb1EdPKddEviT5_lT_liPT6_PT4_.num_agpr, 0
	.set _ZL24rocblas_dot_kernel_magsqIiLb0ELi512ELi2ELb1EdPKddEviT5_lT_liPT6_PT4_.numbered_sgpr, 26
	.set _ZL24rocblas_dot_kernel_magsqIiLb0ELi512ELi2ELb1EdPKddEviT5_lT_liPT6_PT4_.num_named_barrier, 0
	.set _ZL24rocblas_dot_kernel_magsqIiLb0ELi512ELi2ELb1EdPKddEviT5_lT_liPT6_PT4_.private_seg_size, 0
	.set _ZL24rocblas_dot_kernel_magsqIiLb0ELi512ELi2ELb1EdPKddEviT5_lT_liPT6_PT4_.uses_vcc, 1
	.set _ZL24rocblas_dot_kernel_magsqIiLb0ELi512ELi2ELb1EdPKddEviT5_lT_liPT6_PT4_.uses_flat_scratch, 0
	.set _ZL24rocblas_dot_kernel_magsqIiLb0ELi512ELi2ELb1EdPKddEviT5_lT_liPT6_PT4_.has_dyn_sized_stack, 0
	.set _ZL24rocblas_dot_kernel_magsqIiLb0ELi512ELi2ELb1EdPKddEviT5_lT_liPT6_PT4_.has_recursion, 0
	.set _ZL24rocblas_dot_kernel_magsqIiLb0ELi512ELi2ELb1EdPKddEviT5_lT_liPT6_PT4_.has_indirect_call, 0
	.section	.AMDGPU.csdata,"",@progbits
; Kernel info:
; codeLenInByte = 996
; TotalNumSgprs: 28
; NumVgprs: 16
; ScratchSize: 0
; MemoryBound: 0
; FloatMode: 240
; IeeeMode: 1
; LDSByteSize: 256 bytes/workgroup (compile time only)
; SGPRBlocks: 0
; VGPRBlocks: 0
; NumSGPRsForWavesPerEU: 28
; NumVGPRsForWavesPerEU: 16
; NamedBarCnt: 0
; Occupancy: 16
; WaveLimiterHint : 0
; COMPUTE_PGM_RSRC2:SCRATCH_EN: 0
; COMPUTE_PGM_RSRC2:USER_SGPR: 2
; COMPUTE_PGM_RSRC2:TRAP_HANDLER: 0
; COMPUTE_PGM_RSRC2:TGID_X_EN: 1
; COMPUTE_PGM_RSRC2:TGID_Y_EN: 0
; COMPUTE_PGM_RSRC2:TGID_Z_EN: 1
; COMPUTE_PGM_RSRC2:TIDIG_COMP_CNT: 0
	.section	.text._ZL30rocblas_reduction_kernel_part2ILi512ELi2E25rocblas_finalize_identityddEviPT2_PT3_,"axG",@progbits,_ZL30rocblas_reduction_kernel_part2ILi512ELi2E25rocblas_finalize_identityddEviPT2_PT3_,comdat
	.globl	_ZL30rocblas_reduction_kernel_part2ILi512ELi2E25rocblas_finalize_identityddEviPT2_PT3_ ; -- Begin function _ZL30rocblas_reduction_kernel_part2ILi512ELi2E25rocblas_finalize_identityddEviPT2_PT3_
	.p2align	8
	.type	_ZL30rocblas_reduction_kernel_part2ILi512ELi2E25rocblas_finalize_identityddEviPT2_PT3_,@function
_ZL30rocblas_reduction_kernel_part2ILi512ELi2E25rocblas_finalize_identityddEviPT2_PT3_: ; @_ZL30rocblas_reduction_kernel_part2ILi512ELi2E25rocblas_finalize_identityddEviPT2_PT3_
; %bb.0:
	s_clause 0x1
	s_load_b32 s6, s[0:1], 0x0
	s_load_b64 s[8:9], s[0:1], 0x8
	s_bfe_u32 s2, ttmp6, 0x4000c
	s_and_b32 s3, ttmp6, 15
	s_add_co_i32 s2, s2, 1
	s_getreg_b32 s4, hwreg(HW_REG_IB_STS2, 6, 4)
	s_mul_i32 s2, ttmp9, s2
	v_mov_b64_e32 v[2:3], 0
	s_add_co_i32 s3, s3, s2
	v_lshlrev_b32_e32 v1, 1, v0
	s_wait_kmcnt 0x0
	s_ashr_i32 s7, s6, 31
	s_cmp_eq_u32 s4, 0
	s_mov_b32 s4, exec_lo
	s_cselect_b32 s2, ttmp9, s3
	s_lshr_b32 s3, s6, 31
	s_delay_alu instid0(SALU_CYCLE_1) | instskip(NEXT) | instid1(SALU_CYCLE_1)
	s_add_co_i32 s3, s6, s3
	s_and_b32 s12, s3, -2
	s_mov_b32 s3, 0
	s_delay_alu instid0(SALU_CYCLE_1)
	s_mul_u64 s[10:11], s[6:7], s[2:3]
	v_cmpx_gt_i32_e64 s12, v1
	s_cbranch_execz .LBB262_4
; %bb.1:
	v_dual_mov_b32 v3, 0 :: v_dual_lshlrev_b32 v2, 4, v0
	s_lshl_b64 s[14:15], s[10:11], 3
	s_mov_b32 s5, s3
	s_add_nc_u64 s[14:15], s[8:9], s[14:15]
	s_delay_alu instid0(VALU_DEP_1) | instid1(SALU_CYCLE_1)
	v_add_nc_u64_e32 v[2:3], s[14:15], v[2:3]
	s_delay_alu instid0(VALU_DEP_1)
	v_add_nc_u64_e32 v[4:5], 8, v[2:3]
	v_mov_b64_e32 v[2:3], 0
.LBB262_2:                              ; =>This Inner Loop Header: Depth=1
	global_load_b128 v[6:9], v[4:5], off offset:-8
	v_add_nc_u32_e32 v1, 0x400, v1
	s_wait_xcnt 0x0
	v_add_nc_u64_e32 v[4:5], 0x2000, v[4:5]
	s_delay_alu instid0(VALU_DEP_2) | instskip(SKIP_3) | instid1(VALU_DEP_1)
	v_cmp_le_i32_e32 vcc_lo, s12, v1
	s_or_b32 s5, vcc_lo, s5
	s_wait_loadcnt 0x0
	v_add_f64_e32 v[2:3], v[2:3], v[6:7]
	v_add_f64_e32 v[2:3], v[2:3], v[8:9]
	s_and_not1_b32 exec_lo, exec_lo, s5
	s_cbranch_execnz .LBB262_2
; %bb.3:
	s_or_b32 exec_lo, exec_lo, s5
.LBB262_4:
	s_delay_alu instid0(SALU_CYCLE_1) | instskip(SKIP_3) | instid1(SALU_CYCLE_1)
	s_or_b32 exec_lo, exec_lo, s4
	s_load_b64 s[4:5], s[0:1], 0x10
	s_wait_xcnt 0x0
	s_sub_co_i32 s0, s6, s12
	v_cmp_gt_u32_e32 vcc_lo, s0, v0
	s_and_saveexec_b32 s0, vcc_lo
	s_cbranch_execz .LBB262_6
; %bb.5:
	v_xad_u32 v1, v0, -1, s6
	s_lshl_b64 s[6:7], s[10:11], 3
	s_delay_alu instid0(SALU_CYCLE_1)
	s_add_nc_u64 s[6:7], s[8:9], s[6:7]
	global_load_b64 v[4:5], v1, s[6:7] scale_offset
	s_wait_loadcnt 0x0
	v_add_f64_e32 v[2:3], v[2:3], v[4:5]
.LBB262_6:
	s_or_b32 exec_lo, exec_lo, s0
	v_and_b32_e32 v10, 31, v0
	v_cmp_gt_u32_e32 vcc_lo, 32, v0
	s_delay_alu instid0(VALU_DEP_2)
	v_lshlrev_b32_e32 v1, 3, v10
	s_and_saveexec_b32 s0, vcc_lo
; %bb.7:
	v_mov_b64_e32 v[4:5], 0
	ds_store_b64 v1, v[4:5]
; %bb.8:
	s_or_b32 exec_lo, exec_lo, s0
	v_mbcnt_lo_u32_b32 v9, -1, 0
	s_mov_b32 s1, exec_lo
	s_wait_dscnt 0x0
	s_barrier_signal -1
	s_barrier_wait -1
	v_lshl_or_b32 v5, v9, 2, 64
	v_cmp_gt_u32_e64 s0, 24, v9
	ds_bpermute_b32 v4, v5, v2
	ds_bpermute_b32 v5, v5, v3
	s_wait_dscnt 0x0
	v_add_f64_e32 v[2:3], v[2:3], v[4:5]
	v_cndmask_b32_e64 v4, 0, 8, s0
	v_cmp_gt_u32_e64 s0, 28, v9
	s_delay_alu instid0(VALU_DEP_2)
	v_add_lshl_u32 v6, v4, v9, 2
	ds_bpermute_b32 v4, v6, v2
	ds_bpermute_b32 v5, v6, v3
	s_wait_dscnt 0x0
	v_add_f64_e32 v[2:3], v[2:3], v[4:5]
	v_cndmask_b32_e64 v4, 0, 4, s0
	v_cmp_gt_u32_e64 s0, 30, v9
	s_delay_alu instid0(VALU_DEP_2)
	v_add_lshl_u32 v7, v4, v9, 2
	ds_bpermute_b32 v4, v7, v2
	ds_bpermute_b32 v5, v7, v3
	s_wait_dscnt 0x0
	v_add_f64_e32 v[2:3], v[2:3], v[4:5]
	v_cndmask_b32_e64 v4, 0, 2, s0
	v_cmp_ne_u32_e64 s0, 31, v9
	s_delay_alu instid0(VALU_DEP_2)
	v_add_lshl_u32 v8, v4, v9, 2
	ds_bpermute_b32 v4, v8, v2
	ds_bpermute_b32 v5, v8, v3
	s_wait_dscnt 0x0
	v_add_f64_e32 v[2:3], v[2:3], v[4:5]
	v_add_co_ci_u32_e64 v4, null, 0, v9, s0
	s_delay_alu instid0(VALU_DEP_1)
	v_lshlrev_b32_e32 v9, 2, v4
	ds_bpermute_b32 v4, v9, v2
	ds_bpermute_b32 v5, v9, v3
	v_cmpx_eq_u32_e32 0, v10
	s_cbranch_execz .LBB262_10
; %bb.9:
	s_wait_dscnt 0x0
	v_add_f64_e32 v[2:3], v[2:3], v[4:5]
	v_lshrrev_b32_e32 v4, 2, v0
	s_delay_alu instid0(VALU_DEP_1)
	v_and_b32_e32 v4, 0x78, v4
	ds_store_b64 v4, v[2:3]
.LBB262_10:
	s_or_b32 exec_lo, exec_lo, s1
	v_mov_b64_e32 v[2:3], 0
	s_mov_b32 s1, exec_lo
	s_wait_dscnt 0x0
	s_barrier_signal -1
	s_barrier_wait -1
	v_cmpx_gt_u32_e32 16, v0
; %bb.11:
	ds_load_b64 v[2:3], v1
; %bb.12:
	s_or_b32 exec_lo, exec_lo, s1
	s_and_saveexec_b32 s0, vcc_lo
	s_cbranch_execz .LBB262_14
; %bb.13:
	s_wait_dscnt 0x0
	ds_bpermute_b32 v4, v6, v2
	ds_bpermute_b32 v5, v6, v3
	s_wait_dscnt 0x0
	v_add_f64_e32 v[2:3], v[2:3], v[4:5]
	ds_bpermute_b32 v4, v7, v2
	ds_bpermute_b32 v5, v7, v3
	s_wait_dscnt 0x0
	v_add_f64_e32 v[2:3], v[2:3], v[4:5]
	;; [unrolled: 4-line block ×4, first 2 shown]
.LBB262_14:
	s_or_b32 exec_lo, exec_lo, s0
	s_delay_alu instid0(SALU_CYCLE_1)
	s_mov_b32 s0, exec_lo
	v_cmpx_eq_u32_e32 0, v0
	s_cbranch_execz .LBB262_16
; %bb.15:
	v_mov_b32_e32 v0, 0
	s_lshl_b64 s[0:1], s[2:3], 3
	s_wait_kmcnt 0x0
	s_add_nc_u64 s[0:1], s[4:5], s[0:1]
	s_wait_dscnt 0x0
	global_store_b64 v0, v[2:3], s[0:1]
.LBB262_16:
	s_endpgm
	.section	.rodata,"a",@progbits
	.p2align	6, 0x0
	.amdhsa_kernel _ZL30rocblas_reduction_kernel_part2ILi512ELi2E25rocblas_finalize_identityddEviPT2_PT3_
		.amdhsa_group_segment_fixed_size 256
		.amdhsa_private_segment_fixed_size 0
		.amdhsa_kernarg_size 24
		.amdhsa_user_sgpr_count 2
		.amdhsa_user_sgpr_dispatch_ptr 0
		.amdhsa_user_sgpr_queue_ptr 0
		.amdhsa_user_sgpr_kernarg_segment_ptr 1
		.amdhsa_user_sgpr_dispatch_id 0
		.amdhsa_user_sgpr_kernarg_preload_length 0
		.amdhsa_user_sgpr_kernarg_preload_offset 0
		.amdhsa_user_sgpr_private_segment_size 0
		.amdhsa_wavefront_size32 1
		.amdhsa_uses_dynamic_stack 0
		.amdhsa_enable_private_segment 0
		.amdhsa_system_sgpr_workgroup_id_x 1
		.amdhsa_system_sgpr_workgroup_id_y 0
		.amdhsa_system_sgpr_workgroup_id_z 0
		.amdhsa_system_sgpr_workgroup_info 0
		.amdhsa_system_vgpr_workitem_id 0
		.amdhsa_next_free_vgpr 11
		.amdhsa_next_free_sgpr 16
		.amdhsa_named_barrier_count 0
		.amdhsa_reserve_vcc 1
		.amdhsa_float_round_mode_32 0
		.amdhsa_float_round_mode_16_64 0
		.amdhsa_float_denorm_mode_32 3
		.amdhsa_float_denorm_mode_16_64 3
		.amdhsa_fp16_overflow 0
		.amdhsa_memory_ordered 1
		.amdhsa_forward_progress 1
		.amdhsa_inst_pref_size 7
		.amdhsa_round_robin_scheduling 0
		.amdhsa_exception_fp_ieee_invalid_op 0
		.amdhsa_exception_fp_denorm_src 0
		.amdhsa_exception_fp_ieee_div_zero 0
		.amdhsa_exception_fp_ieee_overflow 0
		.amdhsa_exception_fp_ieee_underflow 0
		.amdhsa_exception_fp_ieee_inexact 0
		.amdhsa_exception_int_div_zero 0
	.end_amdhsa_kernel
	.section	.text._ZL30rocblas_reduction_kernel_part2ILi512ELi2E25rocblas_finalize_identityddEviPT2_PT3_,"axG",@progbits,_ZL30rocblas_reduction_kernel_part2ILi512ELi2E25rocblas_finalize_identityddEviPT2_PT3_,comdat
.Lfunc_end262:
	.size	_ZL30rocblas_reduction_kernel_part2ILi512ELi2E25rocblas_finalize_identityddEviPT2_PT3_, .Lfunc_end262-_ZL30rocblas_reduction_kernel_part2ILi512ELi2E25rocblas_finalize_identityddEviPT2_PT3_
                                        ; -- End function
	.set _ZL30rocblas_reduction_kernel_part2ILi512ELi2E25rocblas_finalize_identityddEviPT2_PT3_.num_vgpr, 11
	.set _ZL30rocblas_reduction_kernel_part2ILi512ELi2E25rocblas_finalize_identityddEviPT2_PT3_.num_agpr, 0
	.set _ZL30rocblas_reduction_kernel_part2ILi512ELi2E25rocblas_finalize_identityddEviPT2_PT3_.numbered_sgpr, 16
	.set _ZL30rocblas_reduction_kernel_part2ILi512ELi2E25rocblas_finalize_identityddEviPT2_PT3_.num_named_barrier, 0
	.set _ZL30rocblas_reduction_kernel_part2ILi512ELi2E25rocblas_finalize_identityddEviPT2_PT3_.private_seg_size, 0
	.set _ZL30rocblas_reduction_kernel_part2ILi512ELi2E25rocblas_finalize_identityddEviPT2_PT3_.uses_vcc, 1
	.set _ZL30rocblas_reduction_kernel_part2ILi512ELi2E25rocblas_finalize_identityddEviPT2_PT3_.uses_flat_scratch, 0
	.set _ZL30rocblas_reduction_kernel_part2ILi512ELi2E25rocblas_finalize_identityddEviPT2_PT3_.has_dyn_sized_stack, 0
	.set _ZL30rocblas_reduction_kernel_part2ILi512ELi2E25rocblas_finalize_identityddEviPT2_PT3_.has_recursion, 0
	.set _ZL30rocblas_reduction_kernel_part2ILi512ELi2E25rocblas_finalize_identityddEviPT2_PT3_.has_indirect_call, 0
	.section	.AMDGPU.csdata,"",@progbits
; Kernel info:
; codeLenInByte = 836
; TotalNumSgprs: 18
; NumVgprs: 11
; ScratchSize: 0
; MemoryBound: 0
; FloatMode: 240
; IeeeMode: 1
; LDSByteSize: 256 bytes/workgroup (compile time only)
; SGPRBlocks: 0
; VGPRBlocks: 0
; NumSGPRsForWavesPerEU: 18
; NumVGPRsForWavesPerEU: 11
; NamedBarCnt: 0
; Occupancy: 16
; WaveLimiterHint : 0
; COMPUTE_PGM_RSRC2:SCRATCH_EN: 0
; COMPUTE_PGM_RSRC2:USER_SGPR: 2
; COMPUTE_PGM_RSRC2:TRAP_HANDLER: 0
; COMPUTE_PGM_RSRC2:TGID_X_EN: 1
; COMPUTE_PGM_RSRC2:TGID_Y_EN: 0
; COMPUTE_PGM_RSRC2:TGID_Z_EN: 0
; COMPUTE_PGM_RSRC2:TIDIG_COMP_CNT: 0
	.section	.text._ZL28rocblas_dot_batched_4_kernelIiLi32ELi4ELb1EddPKPKdEviT5_lT_lS4_lS5_liPT4_,"axG",@progbits,_ZL28rocblas_dot_batched_4_kernelIiLi32ELi4ELb1EddPKPKdEviT5_lT_lS4_lS5_liPT4_,comdat
	.globl	_ZL28rocblas_dot_batched_4_kernelIiLi32ELi4ELb1EddPKPKdEviT5_lT_lS4_lS5_liPT4_ ; -- Begin function _ZL28rocblas_dot_batched_4_kernelIiLi32ELi4ELb1EddPKPKdEviT5_lT_lS4_lS5_liPT4_
	.p2align	8
	.type	_ZL28rocblas_dot_batched_4_kernelIiLi32ELi4ELb1EddPKPKdEviT5_lT_lS4_lS5_liPT4_,@function
_ZL28rocblas_dot_batched_4_kernelIiLi32ELi4ELb1EddPKPKdEviT5_lT_lS4_lS5_liPT4_: ; @_ZL28rocblas_dot_batched_4_kernelIiLi32ELi4ELb1EddPKPKdEviT5_lT_lS4_lS5_liPT4_
; %bb.0:
	s_load_b32 s2, s[0:1], 0x48
	s_bfe_u32 s3, ttmp6, 0x4000c
	s_and_b32 s4, ttmp6, 15
	s_add_co_i32 s3, s3, 1
	v_bfe_u32 v1, v0, 10, 10
	s_mul_i32 s3, ttmp9, s3
	s_delay_alu instid0(SALU_CYCLE_1) | instskip(SKIP_1) | instid1(SALU_CYCLE_1)
	s_add_co_i32 s4, s4, s3
	s_getreg_b32 s3, hwreg(HW_REG_IB_STS2, 6, 4)
	s_cmp_eq_u32 s3, 0
	s_cselect_b32 s3, ttmp9, s4
	s_delay_alu instid0(SALU_CYCLE_1) | instskip(SKIP_1) | instid1(VALU_DEP_1)
	v_lshl_add_u32 v2, s3, 2, v1
	s_wait_kmcnt 0x0
	v_cmp_gt_u32_e32 vcc_lo, s2, v2
	s_and_saveexec_b32 s2, vcc_lo
	s_cbranch_execz .LBB263_7
; %bb.1:
	s_load_b32 s6, s[0:1], 0x0
	v_mov_b64_e32 v[4:5], 0
	v_and_b32_e32 v0, 0x3ff, v0
	v_mov_b32_e32 v3, 0
	s_mov_b32 s7, exec_lo
	s_wait_kmcnt 0x0
	s_delay_alu instid0(VALU_DEP_2)
	v_cmpx_gt_i32_e64 s6, v0
	s_cbranch_execz .LBB263_5
; %bb.2:
	s_clause 0x1
	s_load_b128 s[8:11], s[0:1], 0x8
	s_load_b128 s[12:15], s[0:1], 0x28
	v_lshlrev_b64_e32 v[4:5], 3, v[2:3]
	s_clause 0x1
	s_load_b32 s2, s[0:1], 0x18
	s_load_b32 s4, s[0:1], 0x38
	v_mov_b32_e32 v1, v3
	s_wait_kmcnt 0x0
	s_delay_alu instid0(VALU_DEP_2)
	v_add_nc_u64_e32 v[6:7], s[8:9], v[4:5]
	v_add_nc_u64_e32 v[4:5], s[12:13], v[4:5]
	s_ashr_i32 s3, s2, 31
	s_ashr_i32 s5, s4, 31
	s_lshl_b64 s[8:9], s[10:11], 3
	s_lshl_b64 s[10:11], s[14:15], 3
	global_load_b64 v[8:9], v[6:7], off
	global_load_b64 v[10:11], v[4:5], off
	s_wait_xcnt 0x0
	v_mul_u64_e32 v[4:5], s[2:3], v[0:1]
	v_mul_u64_e32 v[6:7], s[4:5], v[0:1]
	v_mov_b32_e32 v1, v0
	s_lshl_b64 s[2:3], s[2:3], 8
	s_lshl_b64 s[4:5], s[4:5], 8
	s_delay_alu instid0(VALU_DEP_3) | instskip(NEXT) | instid1(VALU_DEP_3)
	v_lshl_add_u64 v[4:5], v[4:5], 3, s[8:9]
	v_lshl_add_u64 v[12:13], v[6:7], 3, s[10:11]
	s_mov_b32 s8, 0
	s_wait_loadcnt 0x1
	s_delay_alu instid0(VALU_DEP_2)
	v_add_nc_u64_e32 v[6:7], v[8:9], v[4:5]
	s_wait_loadcnt 0x0
	v_add_nc_u64_e32 v[8:9], v[10:11], v[12:13]
	v_mov_b64_e32 v[4:5], 0
.LBB263_3:                              ; =>This Inner Loop Header: Depth=1
	flat_load_b64 v[10:11], v[6:7]
	flat_load_b64 v[12:13], v[8:9]
	v_add_nc_u32_e32 v1, 32, v1
	s_wait_xcnt 0x1
	v_add_nc_u64_e32 v[6:7], s[2:3], v[6:7]
	s_wait_xcnt 0x0
	v_add_nc_u64_e32 v[8:9], s[4:5], v[8:9]
	v_cmp_le_i32_e32 vcc_lo, s6, v1
	s_or_b32 s8, vcc_lo, s8
	s_wait_loadcnt_dscnt 0x0
	v_fmac_f64_e32 v[4:5], v[10:11], v[12:13]
	s_and_not1_b32 exec_lo, exec_lo, s8
	s_cbranch_execnz .LBB263_3
; %bb.4:
	s_or_b32 exec_lo, exec_lo, s8
.LBB263_5:
	s_delay_alu instid0(SALU_CYCLE_1) | instskip(SKIP_4) | instid1(VALU_DEP_1)
	s_or_b32 exec_lo, exec_lo, s7
	v_mbcnt_lo_u32_b32 v1, -1, 0
	s_load_b64 s[0:1], s[0:1], 0x50
	s_barrier_signal -1
	s_barrier_wait -1
	v_lshl_or_b32 v7, v1, 2, 64
	v_cmp_gt_u32_e32 vcc_lo, 24, v1
	ds_bpermute_b32 v6, v7, v4
	ds_bpermute_b32 v7, v7, v5
	s_wait_dscnt 0x0
	v_add_f64_e32 v[4:5], v[4:5], v[6:7]
	v_cndmask_b32_e64 v6, 0, 8, vcc_lo
	v_cmp_gt_u32_e32 vcc_lo, 28, v1
	s_delay_alu instid0(VALU_DEP_2)
	v_add_lshl_u32 v7, v6, v1, 2
	ds_bpermute_b32 v6, v7, v4
	ds_bpermute_b32 v7, v7, v5
	s_wait_dscnt 0x0
	v_add_f64_e32 v[4:5], v[4:5], v[6:7]
	v_cndmask_b32_e64 v6, 0, 4, vcc_lo
	v_cmp_gt_u32_e32 vcc_lo, 30, v1
	s_delay_alu instid0(VALU_DEP_2)
	v_add_lshl_u32 v7, v6, v1, 2
	ds_bpermute_b32 v6, v7, v4
	ds_bpermute_b32 v7, v7, v5
	s_wait_dscnt 0x0
	v_add_f64_e32 v[4:5], v[4:5], v[6:7]
	v_cndmask_b32_e64 v6, 0, 2, vcc_lo
	v_cmp_ne_u32_e32 vcc_lo, 31, v1
	s_delay_alu instid0(VALU_DEP_2) | instskip(SKIP_2) | instid1(VALU_DEP_2)
	v_add_lshl_u32 v7, v6, v1, 2
	v_add_co_ci_u32_e64 v1, null, 0, v1, vcc_lo
	v_cmp_eq_u32_e32 vcc_lo, 0, v0
	v_lshlrev_b32_e32 v1, 2, v1
	ds_bpermute_b32 v6, v7, v4
	ds_bpermute_b32 v7, v7, v5
	s_wait_dscnt 0x0
	v_add_f64_e32 v[4:5], v[4:5], v[6:7]
	ds_bpermute_b32 v6, v1, v4
	ds_bpermute_b32 v7, v1, v5
	s_and_b32 exec_lo, exec_lo, vcc_lo
	s_cbranch_execz .LBB263_7
; %bb.6:
	s_wait_dscnt 0x0
	v_add_f64_e32 v[0:1], v[4:5], v[6:7]
	s_wait_kmcnt 0x0
	v_lshl_add_u64 v[2:3], v[2:3], 3, s[0:1]
	global_store_b64 v[2:3], v[0:1], off
.LBB263_7:
	s_endpgm
	.section	.rodata,"a",@progbits
	.p2align	6, 0x0
	.amdhsa_kernel _ZL28rocblas_dot_batched_4_kernelIiLi32ELi4ELb1EddPKPKdEviT5_lT_lS4_lS5_liPT4_
		.amdhsa_group_segment_fixed_size 0
		.amdhsa_private_segment_fixed_size 0
		.amdhsa_kernarg_size 88
		.amdhsa_user_sgpr_count 2
		.amdhsa_user_sgpr_dispatch_ptr 0
		.amdhsa_user_sgpr_queue_ptr 0
		.amdhsa_user_sgpr_kernarg_segment_ptr 1
		.amdhsa_user_sgpr_dispatch_id 0
		.amdhsa_user_sgpr_kernarg_preload_length 0
		.amdhsa_user_sgpr_kernarg_preload_offset 0
		.amdhsa_user_sgpr_private_segment_size 0
		.amdhsa_wavefront_size32 1
		.amdhsa_uses_dynamic_stack 0
		.amdhsa_enable_private_segment 0
		.amdhsa_system_sgpr_workgroup_id_x 1
		.amdhsa_system_sgpr_workgroup_id_y 0
		.amdhsa_system_sgpr_workgroup_id_z 0
		.amdhsa_system_sgpr_workgroup_info 0
		.amdhsa_system_vgpr_workitem_id 1
		.amdhsa_next_free_vgpr 14
		.amdhsa_next_free_sgpr 16
		.amdhsa_named_barrier_count 0
		.amdhsa_reserve_vcc 1
		.amdhsa_float_round_mode_32 0
		.amdhsa_float_round_mode_16_64 0
		.amdhsa_float_denorm_mode_32 3
		.amdhsa_float_denorm_mode_16_64 3
		.amdhsa_fp16_overflow 0
		.amdhsa_memory_ordered 1
		.amdhsa_forward_progress 1
		.amdhsa_inst_pref_size 6
		.amdhsa_round_robin_scheduling 0
		.amdhsa_exception_fp_ieee_invalid_op 0
		.amdhsa_exception_fp_denorm_src 0
		.amdhsa_exception_fp_ieee_div_zero 0
		.amdhsa_exception_fp_ieee_overflow 0
		.amdhsa_exception_fp_ieee_underflow 0
		.amdhsa_exception_fp_ieee_inexact 0
		.amdhsa_exception_int_div_zero 0
	.end_amdhsa_kernel
	.section	.text._ZL28rocblas_dot_batched_4_kernelIiLi32ELi4ELb1EddPKPKdEviT5_lT_lS4_lS5_liPT4_,"axG",@progbits,_ZL28rocblas_dot_batched_4_kernelIiLi32ELi4ELb1EddPKPKdEviT5_lT_lS4_lS5_liPT4_,comdat
.Lfunc_end263:
	.size	_ZL28rocblas_dot_batched_4_kernelIiLi32ELi4ELb1EddPKPKdEviT5_lT_lS4_lS5_liPT4_, .Lfunc_end263-_ZL28rocblas_dot_batched_4_kernelIiLi32ELi4ELb1EddPKPKdEviT5_lT_lS4_lS5_liPT4_
                                        ; -- End function
	.set _ZL28rocblas_dot_batched_4_kernelIiLi32ELi4ELb1EddPKPKdEviT5_lT_lS4_lS5_liPT4_.num_vgpr, 14
	.set _ZL28rocblas_dot_batched_4_kernelIiLi32ELi4ELb1EddPKPKdEviT5_lT_lS4_lS5_liPT4_.num_agpr, 0
	.set _ZL28rocblas_dot_batched_4_kernelIiLi32ELi4ELb1EddPKPKdEviT5_lT_lS4_lS5_liPT4_.numbered_sgpr, 16
	.set _ZL28rocblas_dot_batched_4_kernelIiLi32ELi4ELb1EddPKPKdEviT5_lT_lS4_lS5_liPT4_.num_named_barrier, 0
	.set _ZL28rocblas_dot_batched_4_kernelIiLi32ELi4ELb1EddPKPKdEviT5_lT_lS4_lS5_liPT4_.private_seg_size, 0
	.set _ZL28rocblas_dot_batched_4_kernelIiLi32ELi4ELb1EddPKPKdEviT5_lT_lS4_lS5_liPT4_.uses_vcc, 1
	.set _ZL28rocblas_dot_batched_4_kernelIiLi32ELi4ELb1EddPKPKdEviT5_lT_lS4_lS5_liPT4_.uses_flat_scratch, 0
	.set _ZL28rocblas_dot_batched_4_kernelIiLi32ELi4ELb1EddPKPKdEviT5_lT_lS4_lS5_liPT4_.has_dyn_sized_stack, 0
	.set _ZL28rocblas_dot_batched_4_kernelIiLi32ELi4ELb1EddPKPKdEviT5_lT_lS4_lS5_liPT4_.has_recursion, 0
	.set _ZL28rocblas_dot_batched_4_kernelIiLi32ELi4ELb1EddPKPKdEviT5_lT_lS4_lS5_liPT4_.has_indirect_call, 0
	.section	.AMDGPU.csdata,"",@progbits
; Kernel info:
; codeLenInByte = 668
; TotalNumSgprs: 18
; NumVgprs: 14
; ScratchSize: 0
; MemoryBound: 0
; FloatMode: 240
; IeeeMode: 1
; LDSByteSize: 0 bytes/workgroup (compile time only)
; SGPRBlocks: 0
; VGPRBlocks: 0
; NumSGPRsForWavesPerEU: 18
; NumVGPRsForWavesPerEU: 14
; NamedBarCnt: 0
; Occupancy: 16
; WaveLimiterHint : 0
; COMPUTE_PGM_RSRC2:SCRATCH_EN: 0
; COMPUTE_PGM_RSRC2:USER_SGPR: 2
; COMPUTE_PGM_RSRC2:TRAP_HANDLER: 0
; COMPUTE_PGM_RSRC2:TGID_X_EN: 1
; COMPUTE_PGM_RSRC2:TGID_Y_EN: 0
; COMPUTE_PGM_RSRC2:TGID_Z_EN: 0
; COMPUTE_PGM_RSRC2:TIDIG_COMP_CNT: 1
	.section	.text._ZL28rocblas_dot_batched_4_kernelIiLi64ELi4ELb1EddPKPKdEviT5_lT_lS4_lS5_liPT4_,"axG",@progbits,_ZL28rocblas_dot_batched_4_kernelIiLi64ELi4ELb1EddPKPKdEviT5_lT_lS4_lS5_liPT4_,comdat
	.globl	_ZL28rocblas_dot_batched_4_kernelIiLi64ELi4ELb1EddPKPKdEviT5_lT_lS4_lS5_liPT4_ ; -- Begin function _ZL28rocblas_dot_batched_4_kernelIiLi64ELi4ELb1EddPKPKdEviT5_lT_lS4_lS5_liPT4_
	.p2align	8
	.type	_ZL28rocblas_dot_batched_4_kernelIiLi64ELi4ELb1EddPKPKdEviT5_lT_lS4_lS5_liPT4_,@function
_ZL28rocblas_dot_batched_4_kernelIiLi64ELi4ELb1EddPKPKdEviT5_lT_lS4_lS5_liPT4_: ; @_ZL28rocblas_dot_batched_4_kernelIiLi64ELi4ELb1EddPKPKdEviT5_lT_lS4_lS5_liPT4_
; %bb.0:
	s_load_b32 s2, s[0:1], 0x48
	s_bfe_u32 s3, ttmp6, 0x4000c
	s_and_b32 s4, ttmp6, 15
	s_add_co_i32 s3, s3, 1
	v_bfe_u32 v1, v0, 10, 10
	s_mul_i32 s3, ttmp9, s3
	s_delay_alu instid0(SALU_CYCLE_1) | instskip(SKIP_1) | instid1(SALU_CYCLE_1)
	s_add_co_i32 s4, s4, s3
	s_getreg_b32 s3, hwreg(HW_REG_IB_STS2, 6, 4)
	s_cmp_eq_u32 s3, 0
	s_cselect_b32 s3, ttmp9, s4
	s_delay_alu instid0(SALU_CYCLE_1) | instskip(SKIP_1) | instid1(VALU_DEP_1)
	v_lshl_add_u32 v2, s3, 2, v1
	s_wait_kmcnt 0x0
	v_cmp_gt_u32_e32 vcc_lo, s2, v2
	s_and_saveexec_b32 s2, vcc_lo
	s_cbranch_execz .LBB264_7
; %bb.1:
	s_load_b32 s6, s[0:1], 0x0
	v_mov_b64_e32 v[4:5], 0
	v_and_b32_e32 v0, 0x3ff, v0
	v_mov_b32_e32 v3, 0
	s_mov_b32 s7, exec_lo
	s_wait_kmcnt 0x0
	s_delay_alu instid0(VALU_DEP_2)
	v_cmpx_gt_i32_e64 s6, v0
	s_cbranch_execz .LBB264_5
; %bb.2:
	s_clause 0x1
	s_load_b128 s[8:11], s[0:1], 0x8
	s_load_b128 s[12:15], s[0:1], 0x28
	v_lshlrev_b64_e32 v[4:5], 3, v[2:3]
	s_clause 0x1
	s_load_b32 s2, s[0:1], 0x18
	s_load_b32 s4, s[0:1], 0x38
	v_mov_b32_e32 v1, v3
	s_wait_kmcnt 0x0
	s_delay_alu instid0(VALU_DEP_2)
	v_add_nc_u64_e32 v[6:7], s[8:9], v[4:5]
	v_add_nc_u64_e32 v[4:5], s[12:13], v[4:5]
	s_ashr_i32 s3, s2, 31
	s_ashr_i32 s5, s4, 31
	s_lshl_b64 s[8:9], s[10:11], 3
	s_lshl_b64 s[10:11], s[14:15], 3
	global_load_b64 v[8:9], v[6:7], off
	global_load_b64 v[10:11], v[4:5], off
	s_wait_xcnt 0x0
	v_mul_u64_e32 v[4:5], s[2:3], v[0:1]
	v_mul_u64_e32 v[6:7], s[4:5], v[0:1]
	v_mov_b32_e32 v1, v0
	s_lshl_b64 s[2:3], s[2:3], 9
	s_lshl_b64 s[4:5], s[4:5], 9
	s_delay_alu instid0(VALU_DEP_3) | instskip(NEXT) | instid1(VALU_DEP_3)
	v_lshl_add_u64 v[4:5], v[4:5], 3, s[8:9]
	v_lshl_add_u64 v[12:13], v[6:7], 3, s[10:11]
	s_mov_b32 s8, 0
	s_wait_loadcnt 0x1
	s_delay_alu instid0(VALU_DEP_2)
	v_add_nc_u64_e32 v[6:7], v[8:9], v[4:5]
	s_wait_loadcnt 0x0
	v_add_nc_u64_e32 v[8:9], v[10:11], v[12:13]
	v_mov_b64_e32 v[4:5], 0
.LBB264_3:                              ; =>This Inner Loop Header: Depth=1
	flat_load_b64 v[10:11], v[6:7]
	flat_load_b64 v[12:13], v[8:9]
	v_add_nc_u32_e32 v1, 64, v1
	s_wait_xcnt 0x1
	v_add_nc_u64_e32 v[6:7], s[2:3], v[6:7]
	s_wait_xcnt 0x0
	v_add_nc_u64_e32 v[8:9], s[4:5], v[8:9]
	v_cmp_le_i32_e32 vcc_lo, s6, v1
	s_or_b32 s8, vcc_lo, s8
	s_wait_loadcnt_dscnt 0x0
	v_fmac_f64_e32 v[4:5], v[10:11], v[12:13]
	s_and_not1_b32 exec_lo, exec_lo, s8
	s_cbranch_execnz .LBB264_3
; %bb.4:
	s_or_b32 exec_lo, exec_lo, s8
.LBB264_5:
	s_delay_alu instid0(SALU_CYCLE_1) | instskip(SKIP_4) | instid1(VALU_DEP_1)
	s_or_b32 exec_lo, exec_lo, s7
	v_mbcnt_lo_u32_b32 v1, -1, 0
	s_load_b64 s[0:1], s[0:1], 0x50
	s_barrier_signal -1
	s_barrier_wait -1
	v_lshlrev_b32_e32 v8, 2, v1
	v_cmp_gt_u32_e32 vcc_lo, 24, v1
	ds_bpermute_b32 v6, v8, v4
	ds_bpermute_b32 v7, v8, v5
	s_wait_dscnt 0x0
	v_dual_add_f64 v[4:5], v[4:5], v[6:7] :: v_dual_bitop2_b32 v7, 64, v8 bitop3:0x54
	ds_bpermute_b32 v6, v7, v4
	ds_bpermute_b32 v7, v7, v5
	s_wait_dscnt 0x0
	v_add_f64_e32 v[4:5], v[4:5], v[6:7]
	v_cndmask_b32_e64 v6, 0, 8, vcc_lo
	v_cmp_gt_u32_e32 vcc_lo, 28, v1
	s_delay_alu instid0(VALU_DEP_2)
	v_add_lshl_u32 v7, v6, v1, 2
	ds_bpermute_b32 v6, v7, v4
	ds_bpermute_b32 v7, v7, v5
	s_wait_dscnt 0x0
	v_add_f64_e32 v[4:5], v[4:5], v[6:7]
	v_cndmask_b32_e64 v6, 0, 4, vcc_lo
	v_cmp_gt_u32_e32 vcc_lo, 30, v1
	s_delay_alu instid0(VALU_DEP_2)
	v_add_lshl_u32 v7, v6, v1, 2
	ds_bpermute_b32 v6, v7, v4
	ds_bpermute_b32 v7, v7, v5
	s_wait_dscnt 0x0
	v_add_f64_e32 v[4:5], v[4:5], v[6:7]
	v_cndmask_b32_e64 v6, 0, 2, vcc_lo
	v_cmp_ne_u32_e32 vcc_lo, 31, v1
	s_delay_alu instid0(VALU_DEP_2) | instskip(SKIP_2) | instid1(VALU_DEP_2)
	v_add_lshl_u32 v7, v6, v1, 2
	v_add_co_ci_u32_e64 v1, null, 0, v1, vcc_lo
	v_cmp_eq_u32_e32 vcc_lo, 0, v0
	v_lshlrev_b32_e32 v1, 2, v1
	ds_bpermute_b32 v6, v7, v4
	ds_bpermute_b32 v7, v7, v5
	s_wait_dscnt 0x0
	v_add_f64_e32 v[4:5], v[4:5], v[6:7]
	ds_bpermute_b32 v6, v1, v4
	ds_bpermute_b32 v7, v1, v5
	s_and_b32 exec_lo, exec_lo, vcc_lo
	s_cbranch_execz .LBB264_7
; %bb.6:
	s_wait_dscnt 0x0
	v_add_f64_e32 v[0:1], v[4:5], v[6:7]
	s_wait_kmcnt 0x0
	v_lshl_add_u64 v[2:3], v[2:3], 3, s[0:1]
	global_store_b64 v[2:3], v[0:1], off
.LBB264_7:
	s_endpgm
	.section	.rodata,"a",@progbits
	.p2align	6, 0x0
	.amdhsa_kernel _ZL28rocblas_dot_batched_4_kernelIiLi64ELi4ELb1EddPKPKdEviT5_lT_lS4_lS5_liPT4_
		.amdhsa_group_segment_fixed_size 0
		.amdhsa_private_segment_fixed_size 0
		.amdhsa_kernarg_size 88
		.amdhsa_user_sgpr_count 2
		.amdhsa_user_sgpr_dispatch_ptr 0
		.amdhsa_user_sgpr_queue_ptr 0
		.amdhsa_user_sgpr_kernarg_segment_ptr 1
		.amdhsa_user_sgpr_dispatch_id 0
		.amdhsa_user_sgpr_kernarg_preload_length 0
		.amdhsa_user_sgpr_kernarg_preload_offset 0
		.amdhsa_user_sgpr_private_segment_size 0
		.amdhsa_wavefront_size32 1
		.amdhsa_uses_dynamic_stack 0
		.amdhsa_enable_private_segment 0
		.amdhsa_system_sgpr_workgroup_id_x 1
		.amdhsa_system_sgpr_workgroup_id_y 0
		.amdhsa_system_sgpr_workgroup_id_z 0
		.amdhsa_system_sgpr_workgroup_info 0
		.amdhsa_system_vgpr_workitem_id 1
		.amdhsa_next_free_vgpr 14
		.amdhsa_next_free_sgpr 16
		.amdhsa_named_barrier_count 0
		.amdhsa_reserve_vcc 1
		.amdhsa_float_round_mode_32 0
		.amdhsa_float_round_mode_16_64 0
		.amdhsa_float_denorm_mode_32 3
		.amdhsa_float_denorm_mode_16_64 3
		.amdhsa_fp16_overflow 0
		.amdhsa_memory_ordered 1
		.amdhsa_forward_progress 1
		.amdhsa_inst_pref_size 6
		.amdhsa_round_robin_scheduling 0
		.amdhsa_exception_fp_ieee_invalid_op 0
		.amdhsa_exception_fp_denorm_src 0
		.amdhsa_exception_fp_ieee_div_zero 0
		.amdhsa_exception_fp_ieee_overflow 0
		.amdhsa_exception_fp_ieee_underflow 0
		.amdhsa_exception_fp_ieee_inexact 0
		.amdhsa_exception_int_div_zero 0
	.end_amdhsa_kernel
	.section	.text._ZL28rocblas_dot_batched_4_kernelIiLi64ELi4ELb1EddPKPKdEviT5_lT_lS4_lS5_liPT4_,"axG",@progbits,_ZL28rocblas_dot_batched_4_kernelIiLi64ELi4ELb1EddPKPKdEviT5_lT_lS4_lS5_liPT4_,comdat
.Lfunc_end264:
	.size	_ZL28rocblas_dot_batched_4_kernelIiLi64ELi4ELb1EddPKPKdEviT5_lT_lS4_lS5_liPT4_, .Lfunc_end264-_ZL28rocblas_dot_batched_4_kernelIiLi64ELi4ELb1EddPKPKdEviT5_lT_lS4_lS5_liPT4_
                                        ; -- End function
	.set _ZL28rocblas_dot_batched_4_kernelIiLi64ELi4ELb1EddPKPKdEviT5_lT_lS4_lS5_liPT4_.num_vgpr, 14
	.set _ZL28rocblas_dot_batched_4_kernelIiLi64ELi4ELb1EddPKPKdEviT5_lT_lS4_lS5_liPT4_.num_agpr, 0
	.set _ZL28rocblas_dot_batched_4_kernelIiLi64ELi4ELb1EddPKPKdEviT5_lT_lS4_lS5_liPT4_.numbered_sgpr, 16
	.set _ZL28rocblas_dot_batched_4_kernelIiLi64ELi4ELb1EddPKPKdEviT5_lT_lS4_lS5_liPT4_.num_named_barrier, 0
	.set _ZL28rocblas_dot_batched_4_kernelIiLi64ELi4ELb1EddPKPKdEviT5_lT_lS4_lS5_liPT4_.private_seg_size, 0
	.set _ZL28rocblas_dot_batched_4_kernelIiLi64ELi4ELb1EddPKPKdEviT5_lT_lS4_lS5_liPT4_.uses_vcc, 1
	.set _ZL28rocblas_dot_batched_4_kernelIiLi64ELi4ELb1EddPKPKdEviT5_lT_lS4_lS5_liPT4_.uses_flat_scratch, 0
	.set _ZL28rocblas_dot_batched_4_kernelIiLi64ELi4ELb1EddPKPKdEviT5_lT_lS4_lS5_liPT4_.has_dyn_sized_stack, 0
	.set _ZL28rocblas_dot_batched_4_kernelIiLi64ELi4ELb1EddPKPKdEviT5_lT_lS4_lS5_liPT4_.has_recursion, 0
	.set _ZL28rocblas_dot_batched_4_kernelIiLi64ELi4ELb1EddPKPKdEviT5_lT_lS4_lS5_liPT4_.has_indirect_call, 0
	.section	.AMDGPU.csdata,"",@progbits
; Kernel info:
; codeLenInByte = 696
; TotalNumSgprs: 18
; NumVgprs: 14
; ScratchSize: 0
; MemoryBound: 0
; FloatMode: 240
; IeeeMode: 1
; LDSByteSize: 0 bytes/workgroup (compile time only)
; SGPRBlocks: 0
; VGPRBlocks: 0
; NumSGPRsForWavesPerEU: 18
; NumVGPRsForWavesPerEU: 14
; NamedBarCnt: 0
; Occupancy: 16
; WaveLimiterHint : 0
; COMPUTE_PGM_RSRC2:SCRATCH_EN: 0
; COMPUTE_PGM_RSRC2:USER_SGPR: 2
; COMPUTE_PGM_RSRC2:TRAP_HANDLER: 0
; COMPUTE_PGM_RSRC2:TGID_X_EN: 1
; COMPUTE_PGM_RSRC2:TGID_Y_EN: 0
; COMPUTE_PGM_RSRC2:TGID_Z_EN: 0
; COMPUTE_PGM_RSRC2:TIDIG_COMP_CNT: 1
	.section	.text._ZL26rocblas_dot_kernel_inc1by2ILb1ELi1024ELi32ELb1EdPKPKddEviT4_llS4_lliPT5_PT3_,"axG",@progbits,_ZL26rocblas_dot_kernel_inc1by2ILb1ELi1024ELi32ELb1EdPKPKddEviT4_llS4_lliPT5_PT3_,comdat
	.globl	_ZL26rocblas_dot_kernel_inc1by2ILb1ELi1024ELi32ELb1EdPKPKddEviT4_llS4_lliPT5_PT3_ ; -- Begin function _ZL26rocblas_dot_kernel_inc1by2ILb1ELi1024ELi32ELb1EdPKPKddEviT4_llS4_lliPT5_PT3_
	.p2align	8
	.type	_ZL26rocblas_dot_kernel_inc1by2ILb1ELi1024ELi32ELb1EdPKPKddEviT4_llS4_lliPT5_PT3_,@function
_ZL26rocblas_dot_kernel_inc1by2ILb1ELi1024ELi32ELb1EdPKPKddEviT4_llS4_lliPT5_PT3_: ; @_ZL26rocblas_dot_kernel_inc1by2ILb1ELi1024ELi32ELb1EdPKPKddEviT4_llS4_lliPT5_PT3_
; %bb.0:
	s_load_b32 s3, s[0:1], 0x38
	s_bfe_u32 s2, ttmp6, 0x40014
	s_lshr_b32 s4, ttmp7, 16
	s_add_co_i32 s2, s2, 1
	s_bfe_u32 s5, ttmp6, 0x40008
	s_mul_i32 s2, s4, s2
	s_getreg_b32 s6, hwreg(HW_REG_IB_STS2, 6, 4)
	s_add_co_i32 s5, s5, s2
	s_cmp_eq_u32 s6, 0
	s_mov_b32 s13, 0
	s_cselect_b32 s12, s4, s5
	s_wait_kmcnt 0x0
	s_cmp_ge_u32 s12, s3
	s_cbranch_scc1 .LBB265_17
; %bb.1:
	v_mbcnt_lo_u32_b32 v2, -1, 0
	s_clause 0x3
	s_load_b64 s[14:15], s[0:1], 0x48
	s_load_b128 s[4:7], s[0:1], 0x20
	s_load_b128 s[8:11], s[0:1], 0x8
	s_load_b32 s16, s[0:1], 0x0
	v_and_b32_e32 v1, 31, v0
	s_wait_xcnt 0x0
	v_cmp_eq_u32_e64 s1, 0, v0
	v_cmp_gt_u32_e64 s0, 24, v2
	v_lshl_or_b32 v11, v2, 2, 64
	v_mov_b32_e32 v17, 0
	v_cmp_gt_u32_e32 vcc_lo, 32, v0
	s_delay_alu instid0(VALU_DEP_4) | instskip(SKIP_1) | instid1(VALU_DEP_2)
	v_cndmask_b32_e64 v3, 0, 8, s0
	v_cmp_gt_u32_e64 s0, 28, v2
	v_add_lshl_u32 v12, v3, v2, 2
	s_delay_alu instid0(VALU_DEP_2)
	v_cndmask_b32_e64 v4, 0, 4, s0
	v_cmp_gt_u32_e64 s0, 30, v2
	v_lshrrev_b32_e32 v3, 2, v0
	s_wait_kmcnt 0x0
	s_lshl_b64 s[10:11], s[10:11], 3
	v_cndmask_b32_e64 v5, 0, 2, s0
	v_cmp_ne_u32_e64 s0, 31, v2
	v_add_lshl_u32 v13, v4, v2, 2
	v_and_b32_e32 v16, 0xf8, v3
	s_lshl_b64 s[6:7], s[6:7], 3
	v_add_lshl_u32 v14, v5, v2, 2
	v_add_co_ci_u32_e64 v6, null, 0, v2, s0
	v_mov_b64_e32 v[2:3], 0
	v_lshlrev_b32_e32 v10, 3, v1
	v_cmp_eq_u32_e64 s0, 0, v1
	s_delay_alu instid0(VALU_DEP_4)
	v_lshlrev_b32_e32 v15, 2, v6
	s_branch .LBB265_3
.LBB265_2:                              ;   in Loop: Header=BB265_3 Depth=1
	s_wait_xcnt 0x0
	s_or_b32 exec_lo, exec_lo, s2
	s_add_co_i32 s12, s12, 0x10000
	s_delay_alu instid0(SALU_CYCLE_1)
	s_cmp_lt_u32 s12, s3
	s_cbranch_scc0 .LBB265_17
.LBB265_3:                              ; =>This Loop Header: Depth=1
                                        ;     Child Loop BB265_5 Depth 2
	s_wait_dscnt 0x0
	v_mov_b64_e32 v[4:5], 0
	s_mov_b32 s17, exec_lo
	v_cmpx_gt_i32_e64 s16, v0
	s_cbranch_execz .LBB265_7
; %bb.4:                                ;   in Loop: Header=BB265_3 Depth=1
	s_lshl_b64 s[18:19], s[12:13], 3
	v_ashrrev_i32_e32 v1, 31, v0
	s_add_nc_u64 s[20:21], s[8:9], s[18:19]
	s_add_nc_u64 s[18:19], s[4:5], s[18:19]
	s_load_b64 s[22:23], s[20:21], 0x0
	s_load_b64 s[24:25], s[18:19], 0x0
	v_lshlrev_b64_e32 v[4:5], 3, v[0:1]
	s_wait_kmcnt 0x0
	s_wait_xcnt 0x0
	s_add_nc_u64 s[18:19], s[22:23], s[10:11]
	s_add_nc_u64 s[20:21], s[24:25], s[6:7]
	s_delay_alu instid0(VALU_DEP_1)
	v_add_nc_u64_e32 v[6:7], s[18:19], v[4:5]
	v_add_nc_u64_e32 v[8:9], s[20:21], v[4:5]
	v_mov_b64_e32 v[4:5], 0
	s_mov_b32 s18, 0
	s_mov_b32 s19, 0
.LBB265_5:                              ;   Parent Loop BB265_3 Depth=1
                                        ; =>  This Inner Loop Header: Depth=2
	flat_load_b64 v[18:19], v[8:9]
	flat_load_b64 v[20:21], v[6:7]
	v_add_nc_u32_e32 v0, 0x400, v0
	s_add_co_i32 s20, s19, 1
	s_cmp_gt_u32 s19, 30
	s_wait_xcnt 0x0
	v_add_nc_u64_e32 v[6:7], 0x2000, v[6:7]
	s_cselect_b32 s19, -1, 0
	v_cmp_le_i32_e64 s2, s16, v0
	v_add_nc_u64_e32 v[8:9], 0x2000, v[8:9]
	s_or_b32 s2, s19, s2
	s_mov_b32 s19, s20
	s_and_b32 s2, exec_lo, s2
	s_delay_alu instid0(SALU_CYCLE_1)
	s_or_b32 s18, s2, s18
	s_wait_loadcnt_dscnt 0x0
	v_fmac_f64_e32 v[4:5], v[18:19], v[20:21]
	s_and_not1_b32 exec_lo, exec_lo, s18
	s_cbranch_execnz .LBB265_5
; %bb.6:                                ;   in Loop: Header=BB265_3 Depth=1
	s_or_b32 exec_lo, exec_lo, s18
.LBB265_7:                              ;   in Loop: Header=BB265_3 Depth=1
	s_delay_alu instid0(SALU_CYCLE_1)
	s_or_b32 exec_lo, exec_lo, s17
	s_and_saveexec_b32 s2, vcc_lo
; %bb.8:                                ;   in Loop: Header=BB265_3 Depth=1
	ds_store_b64 v10, v[2:3]
; %bb.9:                                ;   in Loop: Header=BB265_3 Depth=1
	s_or_b32 exec_lo, exec_lo, s2
	ds_bpermute_b32 v6, v11, v4
	ds_bpermute_b32 v7, v11, v5
	s_wait_dscnt 0x0
	s_barrier_signal -1
	s_barrier_wait -1
	v_add_f64_e32 v[4:5], v[4:5], v[6:7]
	ds_bpermute_b32 v6, v12, v4
	ds_bpermute_b32 v7, v12, v5
	s_wait_dscnt 0x0
	v_add_f64_e32 v[4:5], v[4:5], v[6:7]
	ds_bpermute_b32 v6, v13, v4
	ds_bpermute_b32 v7, v13, v5
	s_wait_dscnt 0x0
	;; [unrolled: 4-line block ×3, first 2 shown]
	v_add_f64_e32 v[4:5], v[4:5], v[6:7]
	ds_bpermute_b32 v6, v15, v4
	ds_bpermute_b32 v7, v15, v5
	s_and_saveexec_b32 s2, s0
	s_cbranch_execz .LBB265_11
; %bb.10:                               ;   in Loop: Header=BB265_3 Depth=1
	s_wait_dscnt 0x0
	v_add_f64_e32 v[4:5], v[4:5], v[6:7]
	ds_store_b64 v16, v[4:5]
.LBB265_11:                             ;   in Loop: Header=BB265_3 Depth=1
	s_or_b32 exec_lo, exec_lo, s2
	v_mov_b64_e32 v[4:5], 0
	s_wait_dscnt 0x0
	s_barrier_signal -1
	s_barrier_wait -1
	s_and_saveexec_b32 s2, vcc_lo
	s_cbranch_execnz .LBB265_14
; %bb.12:                               ;   in Loop: Header=BB265_3 Depth=1
	s_or_b32 exec_lo, exec_lo, s2
	s_and_saveexec_b32 s2, vcc_lo
	s_cbranch_execnz .LBB265_15
.LBB265_13:                             ;   in Loop: Header=BB265_3 Depth=1
	s_or_b32 exec_lo, exec_lo, s2
	s_and_saveexec_b32 s2, s1
	s_cbranch_execz .LBB265_2
	s_branch .LBB265_16
.LBB265_14:                             ;   in Loop: Header=BB265_3 Depth=1
	ds_load_b64 v[4:5], v10
	s_or_b32 exec_lo, exec_lo, s2
	s_and_saveexec_b32 s2, vcc_lo
	s_cbranch_execz .LBB265_13
.LBB265_15:                             ;   in Loop: Header=BB265_3 Depth=1
	s_wait_dscnt 0x0
	ds_bpermute_b32 v6, v11, v4
	ds_bpermute_b32 v7, v11, v5
	s_wait_dscnt 0x0
	v_add_f64_e32 v[4:5], v[4:5], v[6:7]
	ds_bpermute_b32 v6, v12, v4
	ds_bpermute_b32 v7, v12, v5
	s_wait_dscnt 0x0
	v_add_f64_e32 v[4:5], v[4:5], v[6:7]
	;; [unrolled: 4-line block ×5, first 2 shown]
	s_or_b32 exec_lo, exec_lo, s2
	s_and_saveexec_b32 s2, s1
	s_cbranch_execz .LBB265_2
.LBB265_16:                             ;   in Loop: Header=BB265_3 Depth=1
	s_lshl_b64 s[18:19], s[12:13], 3
	s_delay_alu instid0(SALU_CYCLE_1)
	s_add_nc_u64 s[18:19], s[14:15], s[18:19]
	s_wait_dscnt 0x0
	global_store_b64 v17, v[4:5], s[18:19]
	s_branch .LBB265_2
.LBB265_17:
	s_endpgm
	.section	.rodata,"a",@progbits
	.p2align	6, 0x0
	.amdhsa_kernel _ZL26rocblas_dot_kernel_inc1by2ILb1ELi1024ELi32ELb1EdPKPKddEviT4_llS4_lliPT5_PT3_
		.amdhsa_group_segment_fixed_size 256
		.amdhsa_private_segment_fixed_size 0
		.amdhsa_kernarg_size 80
		.amdhsa_user_sgpr_count 2
		.amdhsa_user_sgpr_dispatch_ptr 0
		.amdhsa_user_sgpr_queue_ptr 0
		.amdhsa_user_sgpr_kernarg_segment_ptr 1
		.amdhsa_user_sgpr_dispatch_id 0
		.amdhsa_user_sgpr_kernarg_preload_length 0
		.amdhsa_user_sgpr_kernarg_preload_offset 0
		.amdhsa_user_sgpr_private_segment_size 0
		.amdhsa_wavefront_size32 1
		.amdhsa_uses_dynamic_stack 0
		.amdhsa_enable_private_segment 0
		.amdhsa_system_sgpr_workgroup_id_x 1
		.amdhsa_system_sgpr_workgroup_id_y 0
		.amdhsa_system_sgpr_workgroup_id_z 1
		.amdhsa_system_sgpr_workgroup_info 0
		.amdhsa_system_vgpr_workitem_id 0
		.amdhsa_next_free_vgpr 22
		.amdhsa_next_free_sgpr 26
		.amdhsa_named_barrier_count 0
		.amdhsa_reserve_vcc 1
		.amdhsa_float_round_mode_32 0
		.amdhsa_float_round_mode_16_64 0
		.amdhsa_float_denorm_mode_32 3
		.amdhsa_float_denorm_mode_16_64 3
		.amdhsa_fp16_overflow 0
		.amdhsa_memory_ordered 1
		.amdhsa_forward_progress 1
		.amdhsa_inst_pref_size 8
		.amdhsa_round_robin_scheduling 0
		.amdhsa_exception_fp_ieee_invalid_op 0
		.amdhsa_exception_fp_denorm_src 0
		.amdhsa_exception_fp_ieee_div_zero 0
		.amdhsa_exception_fp_ieee_overflow 0
		.amdhsa_exception_fp_ieee_underflow 0
		.amdhsa_exception_fp_ieee_inexact 0
		.amdhsa_exception_int_div_zero 0
	.end_amdhsa_kernel
	.section	.text._ZL26rocblas_dot_kernel_inc1by2ILb1ELi1024ELi32ELb1EdPKPKddEviT4_llS4_lliPT5_PT3_,"axG",@progbits,_ZL26rocblas_dot_kernel_inc1by2ILb1ELi1024ELi32ELb1EdPKPKddEviT4_llS4_lliPT5_PT3_,comdat
.Lfunc_end265:
	.size	_ZL26rocblas_dot_kernel_inc1by2ILb1ELi1024ELi32ELb1EdPKPKddEviT4_llS4_lliPT5_PT3_, .Lfunc_end265-_ZL26rocblas_dot_kernel_inc1by2ILb1ELi1024ELi32ELb1EdPKPKddEviT4_llS4_lliPT5_PT3_
                                        ; -- End function
	.set _ZL26rocblas_dot_kernel_inc1by2ILb1ELi1024ELi32ELb1EdPKPKddEviT4_llS4_lliPT5_PT3_.num_vgpr, 22
	.set _ZL26rocblas_dot_kernel_inc1by2ILb1ELi1024ELi32ELb1EdPKPKddEviT4_llS4_lliPT5_PT3_.num_agpr, 0
	.set _ZL26rocblas_dot_kernel_inc1by2ILb1ELi1024ELi32ELb1EdPKPKddEviT4_llS4_lliPT5_PT3_.numbered_sgpr, 26
	.set _ZL26rocblas_dot_kernel_inc1by2ILb1ELi1024ELi32ELb1EdPKPKddEviT4_llS4_lliPT5_PT3_.num_named_barrier, 0
	.set _ZL26rocblas_dot_kernel_inc1by2ILb1ELi1024ELi32ELb1EdPKPKddEviT4_llS4_lliPT5_PT3_.private_seg_size, 0
	.set _ZL26rocblas_dot_kernel_inc1by2ILb1ELi1024ELi32ELb1EdPKPKddEviT4_llS4_lliPT5_PT3_.uses_vcc, 1
	.set _ZL26rocblas_dot_kernel_inc1by2ILb1ELi1024ELi32ELb1EdPKPKddEviT4_llS4_lliPT5_PT3_.uses_flat_scratch, 0
	.set _ZL26rocblas_dot_kernel_inc1by2ILb1ELi1024ELi32ELb1EdPKPKddEviT4_llS4_lliPT5_PT3_.has_dyn_sized_stack, 0
	.set _ZL26rocblas_dot_kernel_inc1by2ILb1ELi1024ELi32ELb1EdPKPKddEviT4_llS4_lliPT5_PT3_.has_recursion, 0
	.set _ZL26rocblas_dot_kernel_inc1by2ILb1ELi1024ELi32ELb1EdPKPKddEviT4_llS4_lliPT5_PT3_.has_indirect_call, 0
	.section	.AMDGPU.csdata,"",@progbits
; Kernel info:
; codeLenInByte = 948
; TotalNumSgprs: 28
; NumVgprs: 22
; ScratchSize: 0
; MemoryBound: 0
; FloatMode: 240
; IeeeMode: 1
; LDSByteSize: 256 bytes/workgroup (compile time only)
; SGPRBlocks: 0
; VGPRBlocks: 1
; NumSGPRsForWavesPerEU: 28
; NumVGPRsForWavesPerEU: 22
; NamedBarCnt: 0
; Occupancy: 16
; WaveLimiterHint : 0
; COMPUTE_PGM_RSRC2:SCRATCH_EN: 0
; COMPUTE_PGM_RSRC2:USER_SGPR: 2
; COMPUTE_PGM_RSRC2:TRAP_HANDLER: 0
; COMPUTE_PGM_RSRC2:TGID_X_EN: 1
; COMPUTE_PGM_RSRC2:TGID_Y_EN: 0
; COMPUTE_PGM_RSRC2:TGID_Z_EN: 1
; COMPUTE_PGM_RSRC2:TIDIG_COMP_CNT: 0
	.section	.text._ZL18rocblas_dot_kernelIiLb1ELi1024ELi32ELb1EdPKPKddEviT5_lT_lS4_lS5_liPT6_PT4_,"axG",@progbits,_ZL18rocblas_dot_kernelIiLb1ELi1024ELi32ELb1EdPKPKddEviT5_lT_lS4_lS5_liPT6_PT4_,comdat
	.globl	_ZL18rocblas_dot_kernelIiLb1ELi1024ELi32ELb1EdPKPKddEviT5_lT_lS4_lS5_liPT6_PT4_ ; -- Begin function _ZL18rocblas_dot_kernelIiLb1ELi1024ELi32ELb1EdPKPKddEviT5_lT_lS4_lS5_liPT6_PT4_
	.p2align	8
	.type	_ZL18rocblas_dot_kernelIiLb1ELi1024ELi32ELb1EdPKPKddEviT5_lT_lS4_lS5_liPT6_PT4_,@function
_ZL18rocblas_dot_kernelIiLb1ELi1024ELi32ELb1EdPKPKddEviT5_lT_lS4_lS5_liPT6_PT4_: ; @_ZL18rocblas_dot_kernelIiLb1ELi1024ELi32ELb1EdPKPKddEviT5_lT_lS4_lS5_liPT6_PT4_
; %bb.0:
	s_load_b32 s3, s[0:1], 0x48
	s_bfe_u32 s2, ttmp6, 0x40014
	s_lshr_b32 s4, ttmp7, 16
	s_add_co_i32 s2, s2, 1
	s_bfe_u32 s5, ttmp6, 0x40008
	s_mul_i32 s2, s4, s2
	s_getreg_b32 s6, hwreg(HW_REG_IB_STS2, 6, 4)
	s_add_co_i32 s5, s5, s2
	s_cmp_eq_u32 s6, 0
	s_mov_b32 s17, 0
	s_cselect_b32 s16, s4, s5
	s_wait_kmcnt 0x0
	s_cmp_ge_u32 s16, s3
	s_cbranch_scc1 .LBB266_17
; %bb.1:
	v_mbcnt_lo_u32_b32 v3, -1, 0
	s_clause 0x5
	s_load_b32 s18, s[0:1], 0x18
	s_load_b32 s22, s[0:1], 0x38
	s_load_b96 s[12:14], s[0:1], 0x58
	s_load_b128 s[4:7], s[0:1], 0x28
	s_load_b128 s[8:11], s[0:1], 0x8
	s_load_b32 s26, s[0:1], 0x0
	v_and_b32_e32 v2, 31, v0
	s_wait_xcnt 0x0
	v_cmp_eq_u32_e64 s1, 0, v0
	v_cmp_gt_u32_e64 s0, 24, v3
	v_lshl_or_b32 v10, v3, 2, 64
	v_mov_b32_e32 v16, 0
	v_cmp_gt_u32_e32 vcc_lo, 32, v0
	s_delay_alu instid0(VALU_DEP_4) | instskip(SKIP_1) | instid1(VALU_DEP_2)
	v_cndmask_b32_e64 v4, 0, 8, s0
	v_cmp_gt_u32_e64 s0, 28, v3
	v_add_lshl_u32 v11, v4, v3, 2
	s_delay_alu instid0(VALU_DEP_2)
	v_cndmask_b32_e64 v5, 0, 4, s0
	v_cmp_gt_u32_e64 s0, 30, v3
	v_lshrrev_b32_e32 v4, 2, v0
	s_wait_kmcnt 0x0
	s_ashr_i32 s19, s18, 31
	s_lshl_b32 s14, s14, 10
	v_add_lshl_u32 v12, v5, v3, 2
	v_cndmask_b32_e64 v6, 0, 2, s0
	v_cmp_ne_u32_e64 s0, 31, v3
	s_ashr_i32 s23, s22, 31
	s_ashr_i32 s15, s14, 31
	v_and_b32_e32 v15, 0xf8, v4
	v_add_lshl_u32 v13, v6, v3, 2
	v_add_co_ci_u32_e64 v7, null, 0, v3, s0
	v_lshlrev_b32_e32 v1, 3, v2
	v_cmp_eq_u32_e64 s0, 0, v2
	v_mov_b64_e32 v[2:3], 0
	s_delay_alu instid0(VALU_DEP_4)
	v_lshlrev_b32_e32 v14, 2, v7
	s_mul_u64 s[20:21], s[18:19], s[14:15]
	s_mul_u64 s[24:25], s[22:23], s[14:15]
	s_lshl_b64 s[10:11], s[10:11], 3
	s_lshl_b64 s[18:19], s[18:19], 3
	;; [unrolled: 1-line block ×6, first 2 shown]
	s_branch .LBB266_3
.LBB266_2:                              ;   in Loop: Header=BB266_3 Depth=1
	s_wait_xcnt 0x0
	s_or_b32 exec_lo, exec_lo, s2
	s_add_co_i32 s16, s16, 0x10000
	s_delay_alu instid0(SALU_CYCLE_1)
	s_cmp_lt_u32 s16, s3
	s_cbranch_scc0 .LBB266_17
.LBB266_3:                              ; =>This Loop Header: Depth=1
                                        ;     Child Loop BB266_5 Depth 2
	s_wait_dscnt 0x0
	v_mov_b64_e32 v[4:5], 0
	s_mov_b32 s15, exec_lo
	v_cmpx_gt_i32_e64 s26, v0
	s_cbranch_execz .LBB266_7
; %bb.4:                                ;   in Loop: Header=BB266_3 Depth=1
	s_lshl_b64 s[28:29], s[16:17], 3
	s_mov_b32 s27, 0
	s_add_nc_u64 s[30:31], s[8:9], s[28:29]
	s_add_nc_u64 s[28:29], s[4:5], s[28:29]
	s_load_b64 s[34:35], s[30:31], 0x0
	s_load_b64 s[36:37], s[28:29], 0x0
	s_wait_kmcnt 0x0
	s_wait_xcnt 0x0
	s_add_nc_u64 s[28:29], s[34:35], s[10:11]
	s_add_nc_u64 s[30:31], s[36:37], s[6:7]
	v_mad_nc_u64_u32 v[6:7], s18, v0, s[28:29]
	v_mad_nc_u64_u32 v[8:9], s22, v0, s[30:31]
	s_mov_b32 s28, 0
	s_delay_alu instid0(VALU_DEP_2) | instskip(NEXT) | instid1(VALU_DEP_2)
	v_mad_u32 v4, s19, v0, v7
	v_mad_u32 v5, s23, v0, v9
	v_ashrrev_i32_e32 v9, 31, v0
	s_delay_alu instid0(VALU_DEP_1) | instskip(NEXT) | instid1(VALU_DEP_3)
	v_mad_u32 v7, s18, v9, v4
	v_mad_u32 v9, s22, v9, v5
	v_mov_b64_e32 v[4:5], 0
.LBB266_5:                              ;   Parent Loop BB266_3 Depth=1
                                        ; =>  This Inner Loop Header: Depth=2
	flat_load_b64 v[18:19], v[8:9]
	flat_load_b64 v[20:21], v[6:7]
	v_add_nc_u32_e32 v0, s14, v0
	s_add_co_i32 s29, s28, 1
	s_cmp_gt_u32 s28, 30
	s_wait_xcnt 0x0
	v_add_nc_u64_e32 v[6:7], s[20:21], v[6:7]
	s_cselect_b32 s28, -1, 0
	v_cmp_le_i32_e64 s2, s26, v0
	v_add_nc_u64_e32 v[8:9], s[24:25], v[8:9]
	s_or_b32 s2, s28, s2
	s_mov_b32 s28, s29
	s_and_b32 s2, exec_lo, s2
	s_delay_alu instid0(SALU_CYCLE_1)
	s_or_b32 s27, s2, s27
	s_wait_loadcnt_dscnt 0x0
	v_fmac_f64_e32 v[4:5], v[18:19], v[20:21]
	s_and_not1_b32 exec_lo, exec_lo, s27
	s_cbranch_execnz .LBB266_5
; %bb.6:                                ;   in Loop: Header=BB266_3 Depth=1
	s_or_b32 exec_lo, exec_lo, s27
.LBB266_7:                              ;   in Loop: Header=BB266_3 Depth=1
	s_delay_alu instid0(SALU_CYCLE_1)
	s_or_b32 exec_lo, exec_lo, s15
	s_and_saveexec_b32 s2, vcc_lo
; %bb.8:                                ;   in Loop: Header=BB266_3 Depth=1
	ds_store_b64 v1, v[2:3]
; %bb.9:                                ;   in Loop: Header=BB266_3 Depth=1
	s_or_b32 exec_lo, exec_lo, s2
	ds_bpermute_b32 v6, v10, v4
	ds_bpermute_b32 v7, v10, v5
	s_wait_dscnt 0x0
	s_barrier_signal -1
	s_barrier_wait -1
	v_add_f64_e32 v[4:5], v[4:5], v[6:7]
	ds_bpermute_b32 v6, v11, v4
	ds_bpermute_b32 v7, v11, v5
	s_wait_dscnt 0x0
	v_add_f64_e32 v[4:5], v[4:5], v[6:7]
	ds_bpermute_b32 v6, v12, v4
	ds_bpermute_b32 v7, v12, v5
	s_wait_dscnt 0x0
	;; [unrolled: 4-line block ×3, first 2 shown]
	v_add_f64_e32 v[4:5], v[4:5], v[6:7]
	ds_bpermute_b32 v6, v14, v4
	ds_bpermute_b32 v7, v14, v5
	s_and_saveexec_b32 s2, s0
	s_cbranch_execz .LBB266_11
; %bb.10:                               ;   in Loop: Header=BB266_3 Depth=1
	s_wait_dscnt 0x0
	v_add_f64_e32 v[4:5], v[4:5], v[6:7]
	ds_store_b64 v15, v[4:5]
.LBB266_11:                             ;   in Loop: Header=BB266_3 Depth=1
	s_or_b32 exec_lo, exec_lo, s2
	v_mov_b64_e32 v[4:5], 0
	s_wait_dscnt 0x0
	s_barrier_signal -1
	s_barrier_wait -1
	s_and_saveexec_b32 s2, vcc_lo
	s_cbranch_execnz .LBB266_14
; %bb.12:                               ;   in Loop: Header=BB266_3 Depth=1
	s_or_b32 exec_lo, exec_lo, s2
	s_and_saveexec_b32 s2, vcc_lo
	s_cbranch_execnz .LBB266_15
.LBB266_13:                             ;   in Loop: Header=BB266_3 Depth=1
	s_or_b32 exec_lo, exec_lo, s2
	s_and_saveexec_b32 s2, s1
	s_cbranch_execz .LBB266_2
	s_branch .LBB266_16
.LBB266_14:                             ;   in Loop: Header=BB266_3 Depth=1
	ds_load_b64 v[4:5], v1
	s_or_b32 exec_lo, exec_lo, s2
	s_and_saveexec_b32 s2, vcc_lo
	s_cbranch_execz .LBB266_13
.LBB266_15:                             ;   in Loop: Header=BB266_3 Depth=1
	s_wait_dscnt 0x0
	ds_bpermute_b32 v6, v10, v4
	ds_bpermute_b32 v7, v10, v5
	s_wait_dscnt 0x0
	v_add_f64_e32 v[4:5], v[4:5], v[6:7]
	ds_bpermute_b32 v6, v11, v4
	ds_bpermute_b32 v7, v11, v5
	s_wait_dscnt 0x0
	v_add_f64_e32 v[4:5], v[4:5], v[6:7]
	;; [unrolled: 4-line block ×5, first 2 shown]
	s_or_b32 exec_lo, exec_lo, s2
	s_and_saveexec_b32 s2, s1
	s_cbranch_execz .LBB266_2
.LBB266_16:                             ;   in Loop: Header=BB266_3 Depth=1
	s_lshl_b64 s[28:29], s[16:17], 3
	s_delay_alu instid0(SALU_CYCLE_1)
	s_add_nc_u64 s[28:29], s[12:13], s[28:29]
	s_wait_dscnt 0x0
	global_store_b64 v16, v[4:5], s[28:29]
	s_branch .LBB266_2
.LBB266_17:
	s_endpgm
	.section	.rodata,"a",@progbits
	.p2align	6, 0x0
	.amdhsa_kernel _ZL18rocblas_dot_kernelIiLb1ELi1024ELi32ELb1EdPKPKddEviT5_lT_lS4_lS5_liPT6_PT4_
		.amdhsa_group_segment_fixed_size 256
		.amdhsa_private_segment_fixed_size 0
		.amdhsa_kernarg_size 352
		.amdhsa_user_sgpr_count 2
		.amdhsa_user_sgpr_dispatch_ptr 0
		.amdhsa_user_sgpr_queue_ptr 0
		.amdhsa_user_sgpr_kernarg_segment_ptr 1
		.amdhsa_user_sgpr_dispatch_id 0
		.amdhsa_user_sgpr_kernarg_preload_length 0
		.amdhsa_user_sgpr_kernarg_preload_offset 0
		.amdhsa_user_sgpr_private_segment_size 0
		.amdhsa_wavefront_size32 1
		.amdhsa_uses_dynamic_stack 0
		.amdhsa_enable_private_segment 0
		.amdhsa_system_sgpr_workgroup_id_x 1
		.amdhsa_system_sgpr_workgroup_id_y 0
		.amdhsa_system_sgpr_workgroup_id_z 1
		.amdhsa_system_sgpr_workgroup_info 0
		.amdhsa_system_vgpr_workitem_id 0
		.amdhsa_next_free_vgpr 22
		.amdhsa_next_free_sgpr 38
		.amdhsa_named_barrier_count 0
		.amdhsa_reserve_vcc 1
		.amdhsa_float_round_mode_32 0
		.amdhsa_float_round_mode_16_64 0
		.amdhsa_float_denorm_mode_32 3
		.amdhsa_float_denorm_mode_16_64 3
		.amdhsa_fp16_overflow 0
		.amdhsa_memory_ordered 1
		.amdhsa_forward_progress 1
		.amdhsa_inst_pref_size 9
		.amdhsa_round_robin_scheduling 0
		.amdhsa_exception_fp_ieee_invalid_op 0
		.amdhsa_exception_fp_denorm_src 0
		.amdhsa_exception_fp_ieee_div_zero 0
		.amdhsa_exception_fp_ieee_overflow 0
		.amdhsa_exception_fp_ieee_underflow 0
		.amdhsa_exception_fp_ieee_inexact 0
		.amdhsa_exception_int_div_zero 0
	.end_amdhsa_kernel
	.section	.text._ZL18rocblas_dot_kernelIiLb1ELi1024ELi32ELb1EdPKPKddEviT5_lT_lS4_lS5_liPT6_PT4_,"axG",@progbits,_ZL18rocblas_dot_kernelIiLb1ELi1024ELi32ELb1EdPKPKddEviT5_lT_lS4_lS5_liPT6_PT4_,comdat
.Lfunc_end266:
	.size	_ZL18rocblas_dot_kernelIiLb1ELi1024ELi32ELb1EdPKPKddEviT5_lT_lS4_lS5_liPT6_PT4_, .Lfunc_end266-_ZL18rocblas_dot_kernelIiLb1ELi1024ELi32ELb1EdPKPKddEviT5_lT_lS4_lS5_liPT6_PT4_
                                        ; -- End function
	.set _ZL18rocblas_dot_kernelIiLb1ELi1024ELi32ELb1EdPKPKddEviT5_lT_lS4_lS5_liPT6_PT4_.num_vgpr, 22
	.set _ZL18rocblas_dot_kernelIiLb1ELi1024ELi32ELb1EdPKPKddEviT5_lT_lS4_lS5_liPT6_PT4_.num_agpr, 0
	.set _ZL18rocblas_dot_kernelIiLb1ELi1024ELi32ELb1EdPKPKddEviT5_lT_lS4_lS5_liPT6_PT4_.numbered_sgpr, 38
	.set _ZL18rocblas_dot_kernelIiLb1ELi1024ELi32ELb1EdPKPKddEviT5_lT_lS4_lS5_liPT6_PT4_.num_named_barrier, 0
	.set _ZL18rocblas_dot_kernelIiLb1ELi1024ELi32ELb1EdPKPKddEviT5_lT_lS4_lS5_liPT6_PT4_.private_seg_size, 0
	.set _ZL18rocblas_dot_kernelIiLb1ELi1024ELi32ELb1EdPKPKddEviT5_lT_lS4_lS5_liPT6_PT4_.uses_vcc, 1
	.set _ZL18rocblas_dot_kernelIiLb1ELi1024ELi32ELb1EdPKPKddEviT5_lT_lS4_lS5_liPT6_PT4_.uses_flat_scratch, 0
	.set _ZL18rocblas_dot_kernelIiLb1ELi1024ELi32ELb1EdPKPKddEviT5_lT_lS4_lS5_liPT6_PT4_.has_dyn_sized_stack, 0
	.set _ZL18rocblas_dot_kernelIiLb1ELi1024ELi32ELb1EdPKPKddEviT5_lT_lS4_lS5_liPT6_PT4_.has_recursion, 0
	.set _ZL18rocblas_dot_kernelIiLb1ELi1024ELi32ELb1EdPKPKddEviT5_lT_lS4_lS5_liPT6_PT4_.has_indirect_call, 0
	.section	.AMDGPU.csdata,"",@progbits
; Kernel info:
; codeLenInByte = 1032
; TotalNumSgprs: 40
; NumVgprs: 22
; ScratchSize: 0
; MemoryBound: 0
; FloatMode: 240
; IeeeMode: 1
; LDSByteSize: 256 bytes/workgroup (compile time only)
; SGPRBlocks: 0
; VGPRBlocks: 1
; NumSGPRsForWavesPerEU: 40
; NumVGPRsForWavesPerEU: 22
; NamedBarCnt: 0
; Occupancy: 16
; WaveLimiterHint : 0
; COMPUTE_PGM_RSRC2:SCRATCH_EN: 0
; COMPUTE_PGM_RSRC2:USER_SGPR: 2
; COMPUTE_PGM_RSRC2:TRAP_HANDLER: 0
; COMPUTE_PGM_RSRC2:TGID_X_EN: 1
; COMPUTE_PGM_RSRC2:TGID_Y_EN: 0
; COMPUTE_PGM_RSRC2:TGID_Z_EN: 1
; COMPUTE_PGM_RSRC2:TIDIG_COMP_CNT: 0
	.section	.text._ZL24rocblas_dot_kernel_magsqIiLb1ELi1024ELi32ELb1EdPKPKddEviT5_lT_liPT6_PT4_,"axG",@progbits,_ZL24rocblas_dot_kernel_magsqIiLb1ELi1024ELi32ELb1EdPKPKddEviT5_lT_liPT6_PT4_,comdat
	.globl	_ZL24rocblas_dot_kernel_magsqIiLb1ELi1024ELi32ELb1EdPKPKddEviT5_lT_liPT6_PT4_ ; -- Begin function _ZL24rocblas_dot_kernel_magsqIiLb1ELi1024ELi32ELb1EdPKPKddEviT5_lT_liPT6_PT4_
	.p2align	8
	.type	_ZL24rocblas_dot_kernel_magsqIiLb1ELi1024ELi32ELb1EdPKPKddEviT5_lT_liPT6_PT4_,@function
_ZL24rocblas_dot_kernel_magsqIiLb1ELi1024ELi32ELb1EdPKPKddEviT5_lT_liPT6_PT4_: ; @_ZL24rocblas_dot_kernel_magsqIiLb1ELi1024ELi32ELb1EdPKPKddEviT5_lT_liPT6_PT4_
; %bb.0:
	s_load_b32 s3, s[0:1], 0x28
	s_bfe_u32 s2, ttmp6, 0x40014
	s_lshr_b32 s4, ttmp7, 16
	s_add_co_i32 s2, s2, 1
	s_bfe_u32 s5, ttmp6, 0x40008
	s_mul_i32 s2, s4, s2
	s_getreg_b32 s6, hwreg(HW_REG_IB_STS2, 6, 4)
	s_add_co_i32 s5, s5, s2
	s_cmp_eq_u32 s6, 0
	s_mov_b32 s13, 0
	s_cselect_b32 s12, s4, s5
	s_wait_kmcnt 0x0
	s_cmp_ge_u32 s12, s3
	s_cbranch_scc1 .LBB267_17
; %bb.1:
	v_mbcnt_lo_u32_b32 v3, -1, 0
	s_clause 0x3
	s_load_b32 s14, s[0:1], 0x18
	s_load_b96 s[8:10], s[0:1], 0x38
	s_load_b128 s[4:7], s[0:1], 0x8
	s_load_b32 s18, s[0:1], 0x0
	v_and_b32_e32 v2, 31, v0
	s_wait_xcnt 0x0
	v_cmp_eq_u32_e64 s1, 0, v0
	v_cmp_gt_u32_e64 s0, 24, v3
	v_lshl_or_b32 v8, v3, 2, 64
	v_mov_b32_e32 v14, 0
	v_cmp_gt_u32_e32 vcc_lo, 32, v0
	s_delay_alu instid0(VALU_DEP_4) | instskip(SKIP_1) | instid1(VALU_DEP_2)
	v_cndmask_b32_e64 v4, 0, 8, s0
	v_cmp_gt_u32_e64 s0, 28, v3
	v_add_lshl_u32 v9, v4, v3, 2
	s_delay_alu instid0(VALU_DEP_2)
	v_cndmask_b32_e64 v5, 0, 4, s0
	v_cmp_gt_u32_e64 s0, 30, v3
	v_lshrrev_b32_e32 v4, 2, v0
	s_wait_kmcnt 0x0
	s_ashr_i32 s15, s14, 31
	s_lshl_b32 s10, s10, 10
	v_cndmask_b32_e64 v6, 0, 2, s0
	v_cmp_ne_u32_e64 s0, 31, v3
	v_add_lshl_u32 v10, v5, v3, 2
	s_ashr_i32 s11, s10, 31
	v_and_b32_e32 v13, 0xf8, v4
	v_add_lshl_u32 v11, v6, v3, 2
	v_add_co_ci_u32_e64 v7, null, 0, v3, s0
	v_lshlrev_b32_e32 v1, 3, v2
	v_cmp_eq_u32_e64 s0, 0, v2
	v_mov_b64_e32 v[2:3], 0
	s_delay_alu instid0(VALU_DEP_4)
	v_lshlrev_b32_e32 v12, 2, v7
	s_mul_u64 s[16:17], s[14:15], s[10:11]
	s_lshl_b64 s[6:7], s[6:7], 3
	s_lshl_b64 s[14:15], s[14:15], 3
	;; [unrolled: 1-line block ×3, first 2 shown]
	s_branch .LBB267_3
.LBB267_2:                              ;   in Loop: Header=BB267_3 Depth=1
	s_wait_xcnt 0x0
	s_or_b32 exec_lo, exec_lo, s2
	s_add_co_i32 s12, s12, 0x10000
	s_delay_alu instid0(SALU_CYCLE_1)
	s_cmp_lt_u32 s12, s3
	s_cbranch_scc0 .LBB267_17
.LBB267_3:                              ; =>This Loop Header: Depth=1
                                        ;     Child Loop BB267_5 Depth 2
	s_wait_dscnt 0x0
	v_mov_b64_e32 v[4:5], 0
	s_mov_b32 s11, exec_lo
	v_cmpx_gt_i32_e64 s18, v0
	s_cbranch_execz .LBB267_7
; %bb.4:                                ;   in Loop: Header=BB267_3 Depth=1
	s_lshl_b64 s[20:21], s[12:13], 3
	v_ashrrev_i32_e32 v5, 31, v0
	s_add_nc_u64 s[20:21], s[4:5], s[20:21]
	s_mov_b32 s19, 0
	s_load_b64 s[20:21], s[20:21], 0x0
	s_wait_kmcnt 0x0
	s_wait_xcnt 0x0
	s_add_nc_u64 s[20:21], s[20:21], s[6:7]
	s_delay_alu instid0(SALU_CYCLE_1) | instskip(SKIP_1) | instid1(VALU_DEP_1)
	v_mad_nc_u64_u32 v[6:7], s14, v0, s[20:21]
	s_mov_b32 s20, 0
	v_mad_u32 v4, s15, v0, v7
	s_delay_alu instid0(VALU_DEP_1)
	v_mad_u32 v7, s14, v5, v4
	v_mov_b64_e32 v[4:5], 0
.LBB267_5:                              ;   Parent Loop BB267_3 Depth=1
                                        ; =>  This Inner Loop Header: Depth=2
	flat_load_b64 v[16:17], v[6:7]
	v_add_nc_u32_e32 v0, s10, v0
	s_add_co_i32 s21, s20, 1
	s_cmp_gt_u32 s20, 30
	s_wait_xcnt 0x0
	v_add_nc_u64_e32 v[6:7], s[16:17], v[6:7]
	s_cselect_b32 s20, -1, 0
	v_cmp_le_i32_e64 s2, s18, v0
	s_or_b32 s2, s20, s2
	s_mov_b32 s20, s21
	s_and_b32 s2, exec_lo, s2
	s_delay_alu instid0(SALU_CYCLE_1)
	s_or_b32 s19, s2, s19
	s_wait_loadcnt_dscnt 0x0
	v_fmac_f64_e32 v[4:5], v[16:17], v[16:17]
	s_and_not1_b32 exec_lo, exec_lo, s19
	s_cbranch_execnz .LBB267_5
; %bb.6:                                ;   in Loop: Header=BB267_3 Depth=1
	s_or_b32 exec_lo, exec_lo, s19
.LBB267_7:                              ;   in Loop: Header=BB267_3 Depth=1
	s_delay_alu instid0(SALU_CYCLE_1)
	s_or_b32 exec_lo, exec_lo, s11
	s_and_saveexec_b32 s2, vcc_lo
; %bb.8:                                ;   in Loop: Header=BB267_3 Depth=1
	ds_store_b64 v1, v[2:3]
; %bb.9:                                ;   in Loop: Header=BB267_3 Depth=1
	s_or_b32 exec_lo, exec_lo, s2
	ds_bpermute_b32 v6, v8, v4
	ds_bpermute_b32 v7, v8, v5
	s_wait_dscnt 0x0
	s_barrier_signal -1
	s_barrier_wait -1
	v_add_f64_e32 v[4:5], v[4:5], v[6:7]
	ds_bpermute_b32 v6, v9, v4
	ds_bpermute_b32 v7, v9, v5
	s_wait_dscnt 0x0
	v_add_f64_e32 v[4:5], v[4:5], v[6:7]
	ds_bpermute_b32 v6, v10, v4
	ds_bpermute_b32 v7, v10, v5
	s_wait_dscnt 0x0
	;; [unrolled: 4-line block ×3, first 2 shown]
	v_add_f64_e32 v[4:5], v[4:5], v[6:7]
	ds_bpermute_b32 v6, v12, v4
	ds_bpermute_b32 v7, v12, v5
	s_and_saveexec_b32 s2, s0
	s_cbranch_execz .LBB267_11
; %bb.10:                               ;   in Loop: Header=BB267_3 Depth=1
	s_wait_dscnt 0x0
	v_add_f64_e32 v[4:5], v[4:5], v[6:7]
	ds_store_b64 v13, v[4:5]
.LBB267_11:                             ;   in Loop: Header=BB267_3 Depth=1
	s_or_b32 exec_lo, exec_lo, s2
	v_mov_b64_e32 v[4:5], 0
	s_wait_dscnt 0x0
	s_barrier_signal -1
	s_barrier_wait -1
	s_and_saveexec_b32 s2, vcc_lo
	s_cbranch_execnz .LBB267_14
; %bb.12:                               ;   in Loop: Header=BB267_3 Depth=1
	s_or_b32 exec_lo, exec_lo, s2
	s_and_saveexec_b32 s2, vcc_lo
	s_cbranch_execnz .LBB267_15
.LBB267_13:                             ;   in Loop: Header=BB267_3 Depth=1
	s_or_b32 exec_lo, exec_lo, s2
	s_and_saveexec_b32 s2, s1
	s_cbranch_execz .LBB267_2
	s_branch .LBB267_16
.LBB267_14:                             ;   in Loop: Header=BB267_3 Depth=1
	ds_load_b64 v[4:5], v1
	s_or_b32 exec_lo, exec_lo, s2
	s_and_saveexec_b32 s2, vcc_lo
	s_cbranch_execz .LBB267_13
.LBB267_15:                             ;   in Loop: Header=BB267_3 Depth=1
	s_wait_dscnt 0x0
	ds_bpermute_b32 v6, v8, v4
	ds_bpermute_b32 v7, v8, v5
	s_wait_dscnt 0x0
	v_add_f64_e32 v[4:5], v[4:5], v[6:7]
	ds_bpermute_b32 v6, v9, v4
	ds_bpermute_b32 v7, v9, v5
	s_wait_dscnt 0x0
	v_add_f64_e32 v[4:5], v[4:5], v[6:7]
	;; [unrolled: 4-line block ×5, first 2 shown]
	s_or_b32 exec_lo, exec_lo, s2
	s_and_saveexec_b32 s2, s1
	s_cbranch_execz .LBB267_2
.LBB267_16:                             ;   in Loop: Header=BB267_3 Depth=1
	s_lshl_b64 s[20:21], s[12:13], 3
	s_delay_alu instid0(SALU_CYCLE_1)
	s_add_nc_u64 s[20:21], s[8:9], s[20:21]
	s_wait_dscnt 0x0
	global_store_b64 v14, v[4:5], s[20:21]
	s_branch .LBB267_2
.LBB267_17:
	s_endpgm
	.section	.rodata,"a",@progbits
	.p2align	6, 0x0
	.amdhsa_kernel _ZL24rocblas_dot_kernel_magsqIiLb1ELi1024ELi32ELb1EdPKPKddEviT5_lT_liPT6_PT4_
		.amdhsa_group_segment_fixed_size 256
		.amdhsa_private_segment_fixed_size 0
		.amdhsa_kernarg_size 320
		.amdhsa_user_sgpr_count 2
		.amdhsa_user_sgpr_dispatch_ptr 0
		.amdhsa_user_sgpr_queue_ptr 0
		.amdhsa_user_sgpr_kernarg_segment_ptr 1
		.amdhsa_user_sgpr_dispatch_id 0
		.amdhsa_user_sgpr_kernarg_preload_length 0
		.amdhsa_user_sgpr_kernarg_preload_offset 0
		.amdhsa_user_sgpr_private_segment_size 0
		.amdhsa_wavefront_size32 1
		.amdhsa_uses_dynamic_stack 0
		.amdhsa_enable_private_segment 0
		.amdhsa_system_sgpr_workgroup_id_x 1
		.amdhsa_system_sgpr_workgroup_id_y 0
		.amdhsa_system_sgpr_workgroup_id_z 1
		.amdhsa_system_sgpr_workgroup_info 0
		.amdhsa_system_vgpr_workitem_id 0
		.amdhsa_next_free_vgpr 18
		.amdhsa_next_free_sgpr 22
		.amdhsa_named_barrier_count 0
		.amdhsa_reserve_vcc 1
		.amdhsa_float_round_mode_32 0
		.amdhsa_float_round_mode_16_64 0
		.amdhsa_float_denorm_mode_32 3
		.amdhsa_float_denorm_mode_16_64 3
		.amdhsa_fp16_overflow 0
		.amdhsa_memory_ordered 1
		.amdhsa_forward_progress 1
		.amdhsa_inst_pref_size 8
		.amdhsa_round_robin_scheduling 0
		.amdhsa_exception_fp_ieee_invalid_op 0
		.amdhsa_exception_fp_denorm_src 0
		.amdhsa_exception_fp_ieee_div_zero 0
		.amdhsa_exception_fp_ieee_overflow 0
		.amdhsa_exception_fp_ieee_underflow 0
		.amdhsa_exception_fp_ieee_inexact 0
		.amdhsa_exception_int_div_zero 0
	.end_amdhsa_kernel
	.section	.text._ZL24rocblas_dot_kernel_magsqIiLb1ELi1024ELi32ELb1EdPKPKddEviT5_lT_liPT6_PT4_,"axG",@progbits,_ZL24rocblas_dot_kernel_magsqIiLb1ELi1024ELi32ELb1EdPKPKddEviT5_lT_liPT6_PT4_,comdat
.Lfunc_end267:
	.size	_ZL24rocblas_dot_kernel_magsqIiLb1ELi1024ELi32ELb1EdPKPKddEviT5_lT_liPT6_PT4_, .Lfunc_end267-_ZL24rocblas_dot_kernel_magsqIiLb1ELi1024ELi32ELb1EdPKPKddEviT5_lT_liPT6_PT4_
                                        ; -- End function
	.set _ZL24rocblas_dot_kernel_magsqIiLb1ELi1024ELi32ELb1EdPKPKddEviT5_lT_liPT6_PT4_.num_vgpr, 18
	.set _ZL24rocblas_dot_kernel_magsqIiLb1ELi1024ELi32ELb1EdPKPKddEviT5_lT_liPT6_PT4_.num_agpr, 0
	.set _ZL24rocblas_dot_kernel_magsqIiLb1ELi1024ELi32ELb1EdPKPKddEviT5_lT_liPT6_PT4_.numbered_sgpr, 22
	.set _ZL24rocblas_dot_kernel_magsqIiLb1ELi1024ELi32ELb1EdPKPKddEviT5_lT_liPT6_PT4_.num_named_barrier, 0
	.set _ZL24rocblas_dot_kernel_magsqIiLb1ELi1024ELi32ELb1EdPKPKddEviT5_lT_liPT6_PT4_.private_seg_size, 0
	.set _ZL24rocblas_dot_kernel_magsqIiLb1ELi1024ELi32ELb1EdPKPKddEviT5_lT_liPT6_PT4_.uses_vcc, 1
	.set _ZL24rocblas_dot_kernel_magsqIiLb1ELi1024ELi32ELb1EdPKPKddEviT5_lT_liPT6_PT4_.uses_flat_scratch, 0
	.set _ZL24rocblas_dot_kernel_magsqIiLb1ELi1024ELi32ELb1EdPKPKddEviT5_lT_liPT6_PT4_.has_dyn_sized_stack, 0
	.set _ZL24rocblas_dot_kernel_magsqIiLb1ELi1024ELi32ELb1EdPKPKddEviT5_lT_liPT6_PT4_.has_recursion, 0
	.set _ZL24rocblas_dot_kernel_magsqIiLb1ELi1024ELi32ELb1EdPKPKddEviT5_lT_liPT6_PT4_.has_indirect_call, 0
	.section	.AMDGPU.csdata,"",@progbits
; Kernel info:
; codeLenInByte = 940
; TotalNumSgprs: 24
; NumVgprs: 18
; ScratchSize: 0
; MemoryBound: 0
; FloatMode: 240
; IeeeMode: 1
; LDSByteSize: 256 bytes/workgroup (compile time only)
; SGPRBlocks: 0
; VGPRBlocks: 1
; NumSGPRsForWavesPerEU: 24
; NumVGPRsForWavesPerEU: 18
; NamedBarCnt: 0
; Occupancy: 16
; WaveLimiterHint : 0
; COMPUTE_PGM_RSRC2:SCRATCH_EN: 0
; COMPUTE_PGM_RSRC2:USER_SGPR: 2
; COMPUTE_PGM_RSRC2:TRAP_HANDLER: 0
; COMPUTE_PGM_RSRC2:TGID_X_EN: 1
; COMPUTE_PGM_RSRC2:TGID_Y_EN: 0
; COMPUTE_PGM_RSRC2:TGID_Z_EN: 1
; COMPUTE_PGM_RSRC2:TIDIG_COMP_CNT: 0
	.section	.text._ZL38rocblas_dot_kernel_gfx942_float_doubleIiLi1024EdPKPKddEviT2_lT_lS4_lS5_lPT3_PT1_,"axG",@progbits,_ZL38rocblas_dot_kernel_gfx942_float_doubleIiLi1024EdPKPKddEviT2_lT_lS4_lS5_lPT3_PT1_,comdat
	.globl	_ZL38rocblas_dot_kernel_gfx942_float_doubleIiLi1024EdPKPKddEviT2_lT_lS4_lS5_lPT3_PT1_ ; -- Begin function _ZL38rocblas_dot_kernel_gfx942_float_doubleIiLi1024EdPKPKddEviT2_lT_lS4_lS5_lPT3_PT1_
	.p2align	8
	.type	_ZL38rocblas_dot_kernel_gfx942_float_doubleIiLi1024EdPKPKddEviT2_lT_lS4_lS5_lPT3_PT1_,@function
_ZL38rocblas_dot_kernel_gfx942_float_doubleIiLi1024EdPKPKddEviT2_lT_lS4_lS5_lPT3_PT1_: ; @_ZL38rocblas_dot_kernel_gfx942_float_doubleIiLi1024EdPKPKddEviT2_lT_lS4_lS5_lPT3_PT1_
; %bb.0:
	s_endpgm
	.section	.rodata,"a",@progbits
	.p2align	6, 0x0
	.amdhsa_kernel _ZL38rocblas_dot_kernel_gfx942_float_doubleIiLi1024EdPKPKddEviT2_lT_lS4_lS5_lPT3_PT1_
		.amdhsa_group_segment_fixed_size 0
		.amdhsa_private_segment_fixed_size 0
		.amdhsa_kernarg_size 88
		.amdhsa_user_sgpr_count 2
		.amdhsa_user_sgpr_dispatch_ptr 0
		.amdhsa_user_sgpr_queue_ptr 0
		.amdhsa_user_sgpr_kernarg_segment_ptr 1
		.amdhsa_user_sgpr_dispatch_id 0
		.amdhsa_user_sgpr_kernarg_preload_length 0
		.amdhsa_user_sgpr_kernarg_preload_offset 0
		.amdhsa_user_sgpr_private_segment_size 0
		.amdhsa_wavefront_size32 1
		.amdhsa_uses_dynamic_stack 0
		.amdhsa_enable_private_segment 0
		.amdhsa_system_sgpr_workgroup_id_x 1
		.amdhsa_system_sgpr_workgroup_id_y 0
		.amdhsa_system_sgpr_workgroup_id_z 0
		.amdhsa_system_sgpr_workgroup_info 0
		.amdhsa_system_vgpr_workitem_id 0
		.amdhsa_next_free_vgpr 1
		.amdhsa_next_free_sgpr 1
		.amdhsa_named_barrier_count 0
		.amdhsa_reserve_vcc 0
		.amdhsa_float_round_mode_32 0
		.amdhsa_float_round_mode_16_64 0
		.amdhsa_float_denorm_mode_32 3
		.amdhsa_float_denorm_mode_16_64 3
		.amdhsa_fp16_overflow 0
		.amdhsa_memory_ordered 1
		.amdhsa_forward_progress 1
		.amdhsa_inst_pref_size 1
		.amdhsa_round_robin_scheduling 0
		.amdhsa_exception_fp_ieee_invalid_op 0
		.amdhsa_exception_fp_denorm_src 0
		.amdhsa_exception_fp_ieee_div_zero 0
		.amdhsa_exception_fp_ieee_overflow 0
		.amdhsa_exception_fp_ieee_underflow 0
		.amdhsa_exception_fp_ieee_inexact 0
		.amdhsa_exception_int_div_zero 0
	.end_amdhsa_kernel
	.section	.text._ZL38rocblas_dot_kernel_gfx942_float_doubleIiLi1024EdPKPKddEviT2_lT_lS4_lS5_lPT3_PT1_,"axG",@progbits,_ZL38rocblas_dot_kernel_gfx942_float_doubleIiLi1024EdPKPKddEviT2_lT_lS4_lS5_lPT3_PT1_,comdat
.Lfunc_end268:
	.size	_ZL38rocblas_dot_kernel_gfx942_float_doubleIiLi1024EdPKPKddEviT2_lT_lS4_lS5_lPT3_PT1_, .Lfunc_end268-_ZL38rocblas_dot_kernel_gfx942_float_doubleIiLi1024EdPKPKddEviT2_lT_lS4_lS5_lPT3_PT1_
                                        ; -- End function
	.set _ZL38rocblas_dot_kernel_gfx942_float_doubleIiLi1024EdPKPKddEviT2_lT_lS4_lS5_lPT3_PT1_.num_vgpr, 0
	.set _ZL38rocblas_dot_kernel_gfx942_float_doubleIiLi1024EdPKPKddEviT2_lT_lS4_lS5_lPT3_PT1_.num_agpr, 0
	.set _ZL38rocblas_dot_kernel_gfx942_float_doubleIiLi1024EdPKPKddEviT2_lT_lS4_lS5_lPT3_PT1_.numbered_sgpr, 0
	.set _ZL38rocblas_dot_kernel_gfx942_float_doubleIiLi1024EdPKPKddEviT2_lT_lS4_lS5_lPT3_PT1_.num_named_barrier, 0
	.set _ZL38rocblas_dot_kernel_gfx942_float_doubleIiLi1024EdPKPKddEviT2_lT_lS4_lS5_lPT3_PT1_.private_seg_size, 0
	.set _ZL38rocblas_dot_kernel_gfx942_float_doubleIiLi1024EdPKPKddEviT2_lT_lS4_lS5_lPT3_PT1_.uses_vcc, 0
	.set _ZL38rocblas_dot_kernel_gfx942_float_doubleIiLi1024EdPKPKddEviT2_lT_lS4_lS5_lPT3_PT1_.uses_flat_scratch, 0
	.set _ZL38rocblas_dot_kernel_gfx942_float_doubleIiLi1024EdPKPKddEviT2_lT_lS4_lS5_lPT3_PT1_.has_dyn_sized_stack, 0
	.set _ZL38rocblas_dot_kernel_gfx942_float_doubleIiLi1024EdPKPKddEviT2_lT_lS4_lS5_lPT3_PT1_.has_recursion, 0
	.set _ZL38rocblas_dot_kernel_gfx942_float_doubleIiLi1024EdPKPKddEviT2_lT_lS4_lS5_lPT3_PT1_.has_indirect_call, 0
	.section	.AMDGPU.csdata,"",@progbits
; Kernel info:
; codeLenInByte = 4
; TotalNumSgprs: 0
; NumVgprs: 0
; ScratchSize: 0
; MemoryBound: 0
; FloatMode: 240
; IeeeMode: 1
; LDSByteSize: 0 bytes/workgroup (compile time only)
; SGPRBlocks: 0
; VGPRBlocks: 0
; NumSGPRsForWavesPerEU: 1
; NumVGPRsForWavesPerEU: 1
; NamedBarCnt: 0
; Occupancy: 16
; WaveLimiterHint : 0
; COMPUTE_PGM_RSRC2:SCRATCH_EN: 0
; COMPUTE_PGM_RSRC2:USER_SGPR: 2
; COMPUTE_PGM_RSRC2:TRAP_HANDLER: 0
; COMPUTE_PGM_RSRC2:TGID_X_EN: 1
; COMPUTE_PGM_RSRC2:TGID_Y_EN: 0
; COMPUTE_PGM_RSRC2:TGID_Z_EN: 0
; COMPUTE_PGM_RSRC2:TIDIG_COMP_CNT: 0
	.section	.text._ZL23rocblas_dot_kernel_inc1ILb0ELi512ELi2ELb1EdPKPKddEviT4_llS4_lliPT5_PT3_,"axG",@progbits,_ZL23rocblas_dot_kernel_inc1ILb0ELi512ELi2ELb1EdPKPKddEviT4_llS4_lliPT5_PT3_,comdat
	.globl	_ZL23rocblas_dot_kernel_inc1ILb0ELi512ELi2ELb1EdPKPKddEviT4_llS4_lliPT5_PT3_ ; -- Begin function _ZL23rocblas_dot_kernel_inc1ILb0ELi512ELi2ELb1EdPKPKddEviT4_llS4_lliPT5_PT3_
	.p2align	8
	.type	_ZL23rocblas_dot_kernel_inc1ILb0ELi512ELi2ELb1EdPKPKddEviT4_llS4_lliPT5_PT3_,@function
_ZL23rocblas_dot_kernel_inc1ILb0ELi512ELi2ELb1EdPKPKddEviT4_llS4_lliPT5_PT3_: ; @_ZL23rocblas_dot_kernel_inc1ILb0ELi512ELi2ELb1EdPKPKddEviT4_llS4_lliPT5_PT3_
; %bb.0:
	s_load_b32 s28, s[0:1], 0x38
	s_bfe_u32 s2, ttmp6, 0x40014
	s_lshr_b32 s3, ttmp7, 16
	s_add_co_i32 s2, s2, 1
	s_bfe_u32 s5, ttmp6, 0x40008
	s_mul_i32 s4, s3, s2
	s_getreg_b32 s2, hwreg(HW_REG_IB_STS2, 6, 4)
	s_add_co_i32 s5, s5, s4
	s_cmp_eq_u32 s2, 0
	s_mov_b32 s17, 0
	s_cselect_b32 s16, s3, s5
	s_wait_kmcnt 0x0
	s_cmp_ge_u32 s16, s28
	s_cbranch_scc1 .LBB269_20
; %bb.1:
	v_mbcnt_lo_u32_b32 v3, -1, 0
	s_clause 0x4
	s_load_b32 s18, s[0:1], 0x50
	s_load_b128 s[4:7], s[0:1], 0x40
	s_load_b128 s[8:11], s[0:1], 0x20
	;; [unrolled: 1-line block ×3, first 2 shown]
	s_load_b32 s29, s[0:1], 0x0
	s_bfe_u32 s3, ttmp6, 0x4000c
	s_wait_xcnt 0x0
	s_and_b32 s1, ttmp6, 15
	s_add_co_i32 s3, s3, 1
	v_cmp_gt_u32_e32 vcc_lo, 24, v3
	s_mul_i32 s3, ttmp9, s3
	v_and_b32_e32 v1, 31, v0
	s_add_co_i32 s1, s1, s3
	s_cmp_eq_u32 s2, 0
	v_cndmask_b32_e64 v4, 0, 8, vcc_lo
	v_cmp_gt_u32_e32 vcc_lo, 28, v3
	s_cselect_b32 s22, ttmp9, s1
	v_cmp_gt_u32_e64 s0, 32, v0
	v_lshl_or_b32 v2, s22, 9, v0
	v_add_lshl_u32 v10, v4, v3, 2
	v_cndmask_b32_e64 v5, 0, 4, vcc_lo
	v_cmp_gt_u32_e32 vcc_lo, 30, v3
	v_lshrrev_b32_e32 v4, 2, v0
	s_wait_kmcnt 0x0
	s_cmp_lg_u32 s18, 1
	v_cmp_eq_u32_e64 s1, 0, v1
	v_cmp_gt_u32_e64 s2, 16, v0
	v_cndmask_b32_e64 v6, 0, 2, vcc_lo
	v_cmp_ne_u32_e32 vcc_lo, 31, v3
	v_cmp_eq_u32_e64 s3, 0, v0
	s_cselect_b32 s30, -1, 0
	s_lshl_b32 s20, s18, 9
	s_mov_b32 s23, s17
	v_add_co_ci_u32_e64 v7, null, 0, v3, vcc_lo
	v_lshlrev_b32_e32 v8, 3, v1
	v_mov_b64_e32 v[0:1], 0
	v_lshl_or_b32 v9, v3, 2, 64
	v_add_lshl_u32 v11, v5, v3, 2
	v_add_lshl_u32 v12, v6, v3, 2
	v_lshlrev_b32_e32 v13, 2, v7
	v_and_b32_e32 v14, 0x78, v4
	v_mov_b32_e32 v15, 0
	s_lshl_b64 s[22:23], s[22:23], 3
	s_ashr_i32 s21, s20, 31
	s_mov_b32 s19, s17
	s_add_nc_u64 s[4:5], s[4:5], s[22:23]
	s_lshl_b64 s[14:15], s[14:15], 3
	s_lshl_b64 s[10:11], s[10:11], 3
	;; [unrolled: 1-line block ×3, first 2 shown]
	s_branch .LBB269_3
.LBB269_2:                              ;   in Loop: Header=BB269_3 Depth=1
	s_wait_xcnt 0x0
	s_or_b32 exec_lo, exec_lo, s21
	s_add_co_i32 s16, s16, 0x10000
	s_delay_alu instid0(SALU_CYCLE_1)
	s_cmp_lt_u32 s16, s28
	s_cbranch_scc0 .LBB269_20
.LBB269_3:                              ; =>This Inner Loop Header: Depth=1
	s_wait_dscnt 0x0
	v_mov_b64_e32 v[4:5], 0
	s_mov_b32 s21, exec_lo
	v_cmpx_gt_i32_e64 s29, v2
	s_cbranch_execz .LBB269_7
; %bb.4:                                ;   in Loop: Header=BB269_3 Depth=1
	s_lshl_b64 s[24:25], s[16:17], 3
	s_mov_b32 s31, exec_lo
	s_add_nc_u64 s[26:27], s[8:9], s[24:25]
	s_add_nc_u64 s[24:25], s[12:13], s[24:25]
	s_load_b64 s[34:35], s[26:27], 0x0
	s_load_b64 s[36:37], s[24:25], 0x0
	s_wait_kmcnt 0x0
	s_wait_xcnt 0x0
	s_add_nc_u64 s[26:27], s[34:35], s[10:11]
	s_add_nc_u64 s[24:25], s[36:37], s[14:15]
	s_clause 0x1
	flat_load_b64 v[4:5], v2, s[26:27] scale_offset
	flat_load_b64 v[6:7], v2, s[24:25] scale_offset
	s_wait_loadcnt_dscnt 0x0
	v_fma_f64 v[4:5], v[4:5], v[6:7], 0
	v_add_nc_u32_e32 v6, s20, v2
	s_wait_xcnt 0x0
	s_delay_alu instid0(VALU_DEP_1)
	v_cmpx_gt_i32_e64 s29, v6
	s_cbranch_execz .LBB269_6
; %bb.5:                                ;   in Loop: Header=BB269_3 Depth=1
	v_ashrrev_i32_e32 v3, 31, v2
	v_add_nc_u32_e32 v6, s20, v6
	s_delay_alu instid0(VALU_DEP_2) | instskip(NEXT) | instid1(VALU_DEP_1)
	v_lshlrev_b64_e32 v[2:3], 3, v[2:3]
	v_add_nc_u64_e32 v[16:17], s[26:27], v[2:3]
	v_add_nc_u64_e32 v[2:3], s[24:25], v[2:3]
	s_delay_alu instid0(VALU_DEP_2) | instskip(NEXT) | instid1(VALU_DEP_2)
	v_add_nc_u64_e32 v[16:17], s[22:23], v[16:17]
	v_add_nc_u64_e32 v[2:3], s[22:23], v[2:3]
	flat_load_b64 v[18:19], v[16:17]
	flat_load_b64 v[20:21], v[2:3]
	s_wait_loadcnt_dscnt 0x0
	v_fmac_f64_e32 v[4:5], v[18:19], v[20:21]
.LBB269_6:                              ;   in Loop: Header=BB269_3 Depth=1
	s_wait_xcnt 0x0
	s_or_b32 exec_lo, exec_lo, s31
	v_mov_b32_e32 v2, v6
.LBB269_7:                              ;   in Loop: Header=BB269_3 Depth=1
	s_or_b32 exec_lo, exec_lo, s21
	s_and_saveexec_b32 s21, s0
; %bb.8:                                ;   in Loop: Header=BB269_3 Depth=1
	ds_store_b64 v8, v[0:1]
; %bb.9:                                ;   in Loop: Header=BB269_3 Depth=1
	s_or_b32 exec_lo, exec_lo, s21
	ds_bpermute_b32 v6, v9, v4
	ds_bpermute_b32 v7, v9, v5
	s_wait_dscnt 0x0
	s_barrier_signal -1
	s_barrier_wait -1
	v_add_f64_e32 v[4:5], v[4:5], v[6:7]
	ds_bpermute_b32 v6, v10, v4
	ds_bpermute_b32 v7, v10, v5
	s_wait_dscnt 0x0
	v_add_f64_e32 v[4:5], v[4:5], v[6:7]
	ds_bpermute_b32 v6, v11, v4
	ds_bpermute_b32 v7, v11, v5
	s_wait_dscnt 0x0
	;; [unrolled: 4-line block ×3, first 2 shown]
	v_add_f64_e32 v[4:5], v[4:5], v[6:7]
	ds_bpermute_b32 v6, v13, v4
	ds_bpermute_b32 v7, v13, v5
	s_and_saveexec_b32 s21, s1
	s_cbranch_execz .LBB269_11
; %bb.10:                               ;   in Loop: Header=BB269_3 Depth=1
	s_wait_dscnt 0x0
	v_add_f64_e32 v[4:5], v[4:5], v[6:7]
	ds_store_b64 v14, v[4:5]
.LBB269_11:                             ;   in Loop: Header=BB269_3 Depth=1
	s_or_b32 exec_lo, exec_lo, s21
	v_mov_b64_e32 v[4:5], 0
	s_wait_dscnt 0x0
	s_barrier_signal -1
	s_barrier_wait -1
	s_and_saveexec_b32 s21, s2
	s_cbranch_execnz .LBB269_14
; %bb.12:                               ;   in Loop: Header=BB269_3 Depth=1
	s_or_b32 exec_lo, exec_lo, s21
	s_and_saveexec_b32 s21, s0
	s_cbranch_execnz .LBB269_15
.LBB269_13:                             ;   in Loop: Header=BB269_3 Depth=1
	s_or_b32 exec_lo, exec_lo, s21
	s_and_saveexec_b32 s21, s3
	s_cbranch_execz .LBB269_2
	s_branch .LBB269_16
.LBB269_14:                             ;   in Loop: Header=BB269_3 Depth=1
	ds_load_b64 v[4:5], v8
	s_or_b32 exec_lo, exec_lo, s21
	s_and_saveexec_b32 s21, s0
	s_cbranch_execz .LBB269_13
.LBB269_15:                             ;   in Loop: Header=BB269_3 Depth=1
	s_wait_dscnt 0x0
	ds_bpermute_b32 v6, v10, v4
	ds_bpermute_b32 v7, v10, v5
	s_wait_dscnt 0x0
	v_add_f64_e32 v[4:5], v[4:5], v[6:7]
	ds_bpermute_b32 v6, v11, v4
	ds_bpermute_b32 v7, v11, v5
	s_wait_dscnt 0x0
	v_add_f64_e32 v[4:5], v[4:5], v[6:7]
	;; [unrolled: 4-line block ×4, first 2 shown]
	s_or_b32 exec_lo, exec_lo, s21
	s_and_saveexec_b32 s21, s3
	s_cbranch_execz .LBB269_2
.LBB269_16:                             ;   in Loop: Header=BB269_3 Depth=1
	s_and_b32 vcc_lo, exec_lo, s30
	s_mov_b32 s24, -1
	s_cbranch_vccz .LBB269_18
; %bb.17:                               ;   in Loop: Header=BB269_3 Depth=1
	s_mul_u64 s[24:25], s[18:19], s[16:17]
	s_delay_alu instid0(SALU_CYCLE_1) | instskip(NEXT) | instid1(SALU_CYCLE_1)
	s_lshl_b64 s[24:25], s[24:25], 3
	s_add_nc_u64 s[26:27], s[4:5], s[24:25]
	s_mov_b32 s24, 0
	s_wait_dscnt 0x0
	global_store_b64 v15, v[4:5], s[26:27]
.LBB269_18:                             ;   in Loop: Header=BB269_3 Depth=1
	s_and_not1_b32 vcc_lo, exec_lo, s24
	s_cbranch_vccnz .LBB269_2
; %bb.19:                               ;   in Loop: Header=BB269_3 Depth=1
	s_lshl_b64 s[24:25], s[16:17], 3
	s_delay_alu instid0(SALU_CYCLE_1)
	s_add_nc_u64 s[24:25], s[6:7], s[24:25]
	s_wait_dscnt 0x0
	global_store_b64 v15, v[4:5], s[24:25]
	s_branch .LBB269_2
.LBB269_20:
	s_endpgm
	.section	.rodata,"a",@progbits
	.p2align	6, 0x0
	.amdhsa_kernel _ZL23rocblas_dot_kernel_inc1ILb0ELi512ELi2ELb1EdPKPKddEviT4_llS4_lliPT5_PT3_
		.amdhsa_group_segment_fixed_size 256
		.amdhsa_private_segment_fixed_size 0
		.amdhsa_kernarg_size 336
		.amdhsa_user_sgpr_count 2
		.amdhsa_user_sgpr_dispatch_ptr 0
		.amdhsa_user_sgpr_queue_ptr 0
		.amdhsa_user_sgpr_kernarg_segment_ptr 1
		.amdhsa_user_sgpr_dispatch_id 0
		.amdhsa_user_sgpr_kernarg_preload_length 0
		.amdhsa_user_sgpr_kernarg_preload_offset 0
		.amdhsa_user_sgpr_private_segment_size 0
		.amdhsa_wavefront_size32 1
		.amdhsa_uses_dynamic_stack 0
		.amdhsa_enable_private_segment 0
		.amdhsa_system_sgpr_workgroup_id_x 1
		.amdhsa_system_sgpr_workgroup_id_y 0
		.amdhsa_system_sgpr_workgroup_id_z 1
		.amdhsa_system_sgpr_workgroup_info 0
		.amdhsa_system_vgpr_workitem_id 0
		.amdhsa_next_free_vgpr 22
		.amdhsa_next_free_sgpr 38
		.amdhsa_named_barrier_count 0
		.amdhsa_reserve_vcc 1
		.amdhsa_float_round_mode_32 0
		.amdhsa_float_round_mode_16_64 0
		.amdhsa_float_denorm_mode_32 3
		.amdhsa_float_denorm_mode_16_64 3
		.amdhsa_fp16_overflow 0
		.amdhsa_memory_ordered 1
		.amdhsa_forward_progress 1
		.amdhsa_inst_pref_size 9
		.amdhsa_round_robin_scheduling 0
		.amdhsa_exception_fp_ieee_invalid_op 0
		.amdhsa_exception_fp_denorm_src 0
		.amdhsa_exception_fp_ieee_div_zero 0
		.amdhsa_exception_fp_ieee_overflow 0
		.amdhsa_exception_fp_ieee_underflow 0
		.amdhsa_exception_fp_ieee_inexact 0
		.amdhsa_exception_int_div_zero 0
	.end_amdhsa_kernel
	.section	.text._ZL23rocblas_dot_kernel_inc1ILb0ELi512ELi2ELb1EdPKPKddEviT4_llS4_lliPT5_PT3_,"axG",@progbits,_ZL23rocblas_dot_kernel_inc1ILb0ELi512ELi2ELb1EdPKPKddEviT4_llS4_lliPT5_PT3_,comdat
.Lfunc_end269:
	.size	_ZL23rocblas_dot_kernel_inc1ILb0ELi512ELi2ELb1EdPKPKddEviT4_llS4_lliPT5_PT3_, .Lfunc_end269-_ZL23rocblas_dot_kernel_inc1ILb0ELi512ELi2ELb1EdPKPKddEviT4_llS4_lliPT5_PT3_
                                        ; -- End function
	.set _ZL23rocblas_dot_kernel_inc1ILb0ELi512ELi2ELb1EdPKPKddEviT4_llS4_lliPT5_PT3_.num_vgpr, 22
	.set _ZL23rocblas_dot_kernel_inc1ILb0ELi512ELi2ELb1EdPKPKddEviT4_llS4_lliPT5_PT3_.num_agpr, 0
	.set _ZL23rocblas_dot_kernel_inc1ILb0ELi512ELi2ELb1EdPKPKddEviT4_llS4_lliPT5_PT3_.numbered_sgpr, 38
	.set _ZL23rocblas_dot_kernel_inc1ILb0ELi512ELi2ELb1EdPKPKddEviT4_llS4_lliPT5_PT3_.num_named_barrier, 0
	.set _ZL23rocblas_dot_kernel_inc1ILb0ELi512ELi2ELb1EdPKPKddEviT4_llS4_lliPT5_PT3_.private_seg_size, 0
	.set _ZL23rocblas_dot_kernel_inc1ILb0ELi512ELi2ELb1EdPKPKddEviT4_llS4_lliPT5_PT3_.uses_vcc, 1
	.set _ZL23rocblas_dot_kernel_inc1ILb0ELi512ELi2ELb1EdPKPKddEviT4_llS4_lliPT5_PT3_.uses_flat_scratch, 1
	.set _ZL23rocblas_dot_kernel_inc1ILb0ELi512ELi2ELb1EdPKPKddEviT4_llS4_lliPT5_PT3_.has_dyn_sized_stack, 0
	.set _ZL23rocblas_dot_kernel_inc1ILb0ELi512ELi2ELb1EdPKPKddEviT4_llS4_lliPT5_PT3_.has_recursion, 0
	.set _ZL23rocblas_dot_kernel_inc1ILb0ELi512ELi2ELb1EdPKPKddEviT4_llS4_lliPT5_PT3_.has_indirect_call, 0
	.section	.AMDGPU.csdata,"",@progbits
; Kernel info:
; codeLenInByte = 1048
; TotalNumSgprs: 40
; NumVgprs: 22
; ScratchSize: 0
; MemoryBound: 0
; FloatMode: 240
; IeeeMode: 1
; LDSByteSize: 256 bytes/workgroup (compile time only)
; SGPRBlocks: 0
; VGPRBlocks: 1
; NumSGPRsForWavesPerEU: 40
; NumVGPRsForWavesPerEU: 22
; NamedBarCnt: 0
; Occupancy: 16
; WaveLimiterHint : 1
; COMPUTE_PGM_RSRC2:SCRATCH_EN: 0
; COMPUTE_PGM_RSRC2:USER_SGPR: 2
; COMPUTE_PGM_RSRC2:TRAP_HANDLER: 0
; COMPUTE_PGM_RSRC2:TGID_X_EN: 1
; COMPUTE_PGM_RSRC2:TGID_Y_EN: 0
; COMPUTE_PGM_RSRC2:TGID_Z_EN: 1
; COMPUTE_PGM_RSRC2:TIDIG_COMP_CNT: 0
	.section	.text._ZL18rocblas_dot_kernelIiLb0ELi512ELi2ELb1EdPKPKddEviT5_lT_lS4_lS5_liPT6_PT4_,"axG",@progbits,_ZL18rocblas_dot_kernelIiLb0ELi512ELi2ELb1EdPKPKddEviT5_lT_lS4_lS5_liPT6_PT4_,comdat
	.globl	_ZL18rocblas_dot_kernelIiLb0ELi512ELi2ELb1EdPKPKddEviT5_lT_lS4_lS5_liPT6_PT4_ ; -- Begin function _ZL18rocblas_dot_kernelIiLb0ELi512ELi2ELb1EdPKPKddEviT5_lT_lS4_lS5_liPT6_PT4_
	.p2align	8
	.type	_ZL18rocblas_dot_kernelIiLb0ELi512ELi2ELb1EdPKPKddEviT5_lT_lS4_lS5_liPT6_PT4_,@function
_ZL18rocblas_dot_kernelIiLb0ELi512ELi2ELb1EdPKPKddEviT5_lT_lS4_lS5_liPT6_PT4_: ; @_ZL18rocblas_dot_kernelIiLb0ELi512ELi2ELb1EdPKPKddEviT5_lT_lS4_lS5_liPT6_PT4_
; %bb.0:
	s_load_b32 s28, s[0:1], 0x48
	s_bfe_u32 s2, ttmp6, 0x40014
	s_lshr_b32 s3, ttmp7, 16
	s_add_co_i32 s2, s2, 1
	s_bfe_u32 s5, ttmp6, 0x40008
	s_mul_i32 s4, s3, s2
	s_getreg_b32 s2, hwreg(HW_REG_IB_STS2, 6, 4)
	s_add_co_i32 s5, s5, s4
	s_cmp_eq_u32 s2, 0
	s_mov_b32 s17, 0
	s_cselect_b32 s16, s3, s5
	s_wait_kmcnt 0x0
	s_cmp_ge_u32 s16, s28
	s_cbranch_scc1 .LBB270_20
; %bb.1:
	v_mbcnt_lo_u32_b32 v3, -1, 0
	s_clause 0x6
	s_load_b32 s18, s[0:1], 0x18
	s_load_b32 s20, s[0:1], 0x38
	;; [unrolled: 1-line block ×3, first 2 shown]
	s_load_b128 s[4:7], s[0:1], 0x50
	s_load_b128 s[8:11], s[0:1], 0x28
	;; [unrolled: 1-line block ×3, first 2 shown]
	s_load_b32 s29, s[0:1], 0x0
	s_bfe_u32 s3, ttmp6, 0x4000c
	s_wait_xcnt 0x0
	s_and_b32 s1, ttmp6, 15
	s_add_co_i32 s3, s3, 1
	v_cmp_gt_u32_e32 vcc_lo, 24, v3
	s_mul_i32 s3, ttmp9, s3
	v_and_b32_e32 v1, 31, v0
	s_add_co_i32 s1, s1, s3
	v_cmp_gt_u32_e64 s0, 32, v0
	v_cndmask_b32_e64 v4, 0, 8, vcc_lo
	v_cmp_gt_u32_e32 vcc_lo, 28, v3
	v_cmp_eq_u32_e64 s3, 0, v0
	s_mov_b32 s25, s17
	v_lshl_or_b32 v9, v3, 2, 64
	s_wait_kmcnt 0x0
	s_ashr_i32 s19, s18, 31
	v_cndmask_b32_e64 v5, 0, 4, vcc_lo
	v_cmp_gt_u32_e32 vcc_lo, 30, v3
	s_ashr_i32 s21, s20, 31
	s_cmp_eq_u32 s2, 0
	v_add_lshl_u32 v10, v4, v3, 2
	v_lshrrev_b32_e32 v4, 2, v0
	v_cndmask_b32_e64 v6, 0, 2, vcc_lo
	v_cmp_ne_u32_e32 vcc_lo, 31, v3
	s_cselect_b32 s24, ttmp9, s1
	v_cmp_eq_u32_e64 s1, 0, v1
	v_lshl_or_b32 v2, s24, 9, v0
	v_cmp_gt_u32_e64 s2, 16, v0
	v_add_co_ci_u32_e64 v7, null, 0, v3, vcc_lo
	v_lshlrev_b32_e32 v8, 3, v1
	v_mov_b64_e32 v[0:1], 0
	s_cmp_lg_u32 s22, 1
	v_add_lshl_u32 v11, v5, v3, 2
	v_add_lshl_u32 v12, v6, v3, 2
	v_lshlrev_b32_e32 v13, 2, v7
	v_and_b32_e32 v14, 0x78, v4
	v_mov_b32_e32 v15, 0
	s_cselect_b32 s30, -1, 0
	s_lshl_b64 s[24:25], s[24:25], 3
	s_mov_b32 s23, s17
	s_lshl_b32 s31, s22, 9
	s_add_nc_u64 s[4:5], s[4:5], s[24:25]
	s_lshl_b64 s[14:15], s[14:15], 3
	s_lshl_b64 s[10:11], s[10:11], 3
	s_branch .LBB270_3
.LBB270_2:                              ;   in Loop: Header=BB270_3 Depth=1
	s_wait_xcnt 0x0
	s_or_b32 exec_lo, exec_lo, s24
	s_add_co_i32 s16, s16, 0x10000
	s_delay_alu instid0(SALU_CYCLE_1)
	s_cmp_lt_u32 s16, s28
	s_cbranch_scc0 .LBB270_20
.LBB270_3:                              ; =>This Inner Loop Header: Depth=1
	s_wait_dscnt 0x0
	v_mov_b64_e32 v[4:5], 0
	s_mov_b32 s33, exec_lo
	v_cmpx_gt_i32_e64 s29, v2
	s_cbranch_execz .LBB270_7
; %bb.4:                                ;   in Loop: Header=BB270_3 Depth=1
	v_ashrrev_i32_e32 v3, 31, v2
	s_lshl_b64 s[24:25], s[16:17], 3
	s_delay_alu instid0(SALU_CYCLE_1) | instskip(SKIP_1) | instid1(VALU_DEP_1)
	s_add_nc_u64 s[26:27], s[8:9], s[24:25]
	s_add_nc_u64 s[24:25], s[12:13], s[24:25]
	v_mul_u64_e32 v[4:5], s[20:21], v[2:3]
	v_mul_u64_e32 v[6:7], s[18:19], v[2:3]
	s_load_b64 s[34:35], s[26:27], 0x0
	s_load_b64 s[36:37], s[24:25], 0x0
	v_add_nc_u32_e32 v2, s31, v2
	s_wait_kmcnt 0x0
	s_wait_xcnt 0x0
	s_add_nc_u64 s[26:27], s[34:35], s[10:11]
	s_add_nc_u64 s[24:25], s[36:37], s[14:15]
	s_mov_b32 s34, exec_lo
	s_delay_alu instid0(VALU_DEP_3) | instskip(NEXT) | instid1(VALU_DEP_3)
	v_lshl_add_u64 v[4:5], v[4:5], 3, s[26:27]
	v_lshl_add_u64 v[6:7], v[6:7], 3, s[24:25]
	flat_load_b64 v[16:17], v[4:5]
	flat_load_b64 v[18:19], v[6:7]
	s_wait_loadcnt_dscnt 0x0
	s_wait_xcnt 0x1
	v_fma_f64 v[4:5], v[16:17], v[18:19], 0
	s_wait_xcnt 0x0
	v_cmpx_gt_i32_e64 s29, v2
	s_cbranch_execz .LBB270_6
; %bb.5:                                ;   in Loop: Header=BB270_3 Depth=1
	v_ashrrev_i32_e32 v3, 31, v2
	s_delay_alu instid0(VALU_DEP_1) | instskip(SKIP_2) | instid1(VALU_DEP_3)
	v_mul_u64_e32 v[6:7], s[20:21], v[2:3]
	v_mul_u64_e32 v[16:17], s[18:19], v[2:3]
	v_add_nc_u32_e32 v2, s31, v2
	v_lshl_add_u64 v[6:7], v[6:7], 3, s[26:27]
	s_delay_alu instid0(VALU_DEP_3)
	v_lshl_add_u64 v[16:17], v[16:17], 3, s[24:25]
	flat_load_b64 v[18:19], v[6:7]
	flat_load_b64 v[20:21], v[16:17]
	s_wait_loadcnt_dscnt 0x0
	v_fmac_f64_e32 v[4:5], v[18:19], v[20:21]
.LBB270_6:                              ;   in Loop: Header=BB270_3 Depth=1
	s_wait_xcnt 0x0
	s_or_b32 exec_lo, exec_lo, s34
.LBB270_7:                              ;   in Loop: Header=BB270_3 Depth=1
	s_delay_alu instid0(SALU_CYCLE_1)
	s_or_b32 exec_lo, exec_lo, s33
	s_and_saveexec_b32 s24, s0
; %bb.8:                                ;   in Loop: Header=BB270_3 Depth=1
	ds_store_b64 v8, v[0:1]
; %bb.9:                                ;   in Loop: Header=BB270_3 Depth=1
	s_or_b32 exec_lo, exec_lo, s24
	ds_bpermute_b32 v6, v9, v4
	ds_bpermute_b32 v7, v9, v5
	s_wait_dscnt 0x0
	s_barrier_signal -1
	s_barrier_wait -1
	v_add_f64_e32 v[4:5], v[4:5], v[6:7]
	ds_bpermute_b32 v6, v10, v4
	ds_bpermute_b32 v7, v10, v5
	s_wait_dscnt 0x0
	v_add_f64_e32 v[4:5], v[4:5], v[6:7]
	ds_bpermute_b32 v6, v11, v4
	ds_bpermute_b32 v7, v11, v5
	s_wait_dscnt 0x0
	;; [unrolled: 4-line block ×3, first 2 shown]
	v_add_f64_e32 v[4:5], v[4:5], v[6:7]
	ds_bpermute_b32 v6, v13, v4
	ds_bpermute_b32 v7, v13, v5
	s_and_saveexec_b32 s24, s1
	s_cbranch_execz .LBB270_11
; %bb.10:                               ;   in Loop: Header=BB270_3 Depth=1
	s_wait_dscnt 0x0
	v_add_f64_e32 v[4:5], v[4:5], v[6:7]
	ds_store_b64 v14, v[4:5]
.LBB270_11:                             ;   in Loop: Header=BB270_3 Depth=1
	s_or_b32 exec_lo, exec_lo, s24
	v_mov_b64_e32 v[4:5], 0
	s_wait_dscnt 0x0
	s_barrier_signal -1
	s_barrier_wait -1
	s_and_saveexec_b32 s24, s2
	s_cbranch_execnz .LBB270_14
; %bb.12:                               ;   in Loop: Header=BB270_3 Depth=1
	s_or_b32 exec_lo, exec_lo, s24
	s_and_saveexec_b32 s24, s0
	s_cbranch_execnz .LBB270_15
.LBB270_13:                             ;   in Loop: Header=BB270_3 Depth=1
	s_or_b32 exec_lo, exec_lo, s24
	s_and_saveexec_b32 s24, s3
	s_cbranch_execz .LBB270_2
	s_branch .LBB270_16
.LBB270_14:                             ;   in Loop: Header=BB270_3 Depth=1
	ds_load_b64 v[4:5], v8
	s_or_b32 exec_lo, exec_lo, s24
	s_and_saveexec_b32 s24, s0
	s_cbranch_execz .LBB270_13
.LBB270_15:                             ;   in Loop: Header=BB270_3 Depth=1
	s_wait_dscnt 0x0
	ds_bpermute_b32 v6, v10, v4
	ds_bpermute_b32 v7, v10, v5
	s_wait_dscnt 0x0
	v_add_f64_e32 v[4:5], v[4:5], v[6:7]
	ds_bpermute_b32 v6, v11, v4
	ds_bpermute_b32 v7, v11, v5
	s_wait_dscnt 0x0
	v_add_f64_e32 v[4:5], v[4:5], v[6:7]
	;; [unrolled: 4-line block ×4, first 2 shown]
	s_or_b32 exec_lo, exec_lo, s24
	s_and_saveexec_b32 s24, s3
	s_cbranch_execz .LBB270_2
.LBB270_16:                             ;   in Loop: Header=BB270_3 Depth=1
	s_and_b32 vcc_lo, exec_lo, s30
	s_mov_b32 s25, -1
	s_cbranch_vccz .LBB270_18
; %bb.17:                               ;   in Loop: Header=BB270_3 Depth=1
	s_mul_u64 s[26:27], s[22:23], s[16:17]
	s_mov_b32 s25, 0
	s_lshl_b64 s[26:27], s[26:27], 3
	s_delay_alu instid0(SALU_CYCLE_1)
	s_add_nc_u64 s[26:27], s[4:5], s[26:27]
	s_wait_dscnt 0x0
	global_store_b64 v15, v[4:5], s[26:27]
.LBB270_18:                             ;   in Loop: Header=BB270_3 Depth=1
	s_and_not1_b32 vcc_lo, exec_lo, s25
	s_cbranch_vccnz .LBB270_2
; %bb.19:                               ;   in Loop: Header=BB270_3 Depth=1
	s_wait_xcnt 0x0
	s_lshl_b64 s[26:27], s[16:17], 3
	s_delay_alu instid0(SALU_CYCLE_1)
	s_add_nc_u64 s[26:27], s[6:7], s[26:27]
	s_wait_dscnt 0x0
	global_store_b64 v15, v[4:5], s[26:27]
	s_branch .LBB270_2
.LBB270_20:
	s_endpgm
	.section	.rodata,"a",@progbits
	.p2align	6, 0x0
	.amdhsa_kernel _ZL18rocblas_dot_kernelIiLb0ELi512ELi2ELb1EdPKPKddEviT5_lT_lS4_lS5_liPT6_PT4_
		.amdhsa_group_segment_fixed_size 256
		.amdhsa_private_segment_fixed_size 0
		.amdhsa_kernarg_size 352
		.amdhsa_user_sgpr_count 2
		.amdhsa_user_sgpr_dispatch_ptr 0
		.amdhsa_user_sgpr_queue_ptr 0
		.amdhsa_user_sgpr_kernarg_segment_ptr 1
		.amdhsa_user_sgpr_dispatch_id 0
		.amdhsa_user_sgpr_kernarg_preload_length 0
		.amdhsa_user_sgpr_kernarg_preload_offset 0
		.amdhsa_user_sgpr_private_segment_size 0
		.amdhsa_wavefront_size32 1
		.amdhsa_uses_dynamic_stack 0
		.amdhsa_enable_private_segment 0
		.amdhsa_system_sgpr_workgroup_id_x 1
		.amdhsa_system_sgpr_workgroup_id_y 0
		.amdhsa_system_sgpr_workgroup_id_z 1
		.amdhsa_system_sgpr_workgroup_info 0
		.amdhsa_system_vgpr_workitem_id 0
		.amdhsa_next_free_vgpr 22
		.amdhsa_next_free_sgpr 38
		.amdhsa_named_barrier_count 0
		.amdhsa_reserve_vcc 1
		.amdhsa_float_round_mode_32 0
		.amdhsa_float_round_mode_16_64 0
		.amdhsa_float_denorm_mode_32 3
		.amdhsa_float_denorm_mode_16_64 3
		.amdhsa_fp16_overflow 0
		.amdhsa_memory_ordered 1
		.amdhsa_forward_progress 1
		.amdhsa_inst_pref_size 9
		.amdhsa_round_robin_scheduling 0
		.amdhsa_exception_fp_ieee_invalid_op 0
		.amdhsa_exception_fp_denorm_src 0
		.amdhsa_exception_fp_ieee_div_zero 0
		.amdhsa_exception_fp_ieee_overflow 0
		.amdhsa_exception_fp_ieee_underflow 0
		.amdhsa_exception_fp_ieee_inexact 0
		.amdhsa_exception_int_div_zero 0
	.end_amdhsa_kernel
	.section	.text._ZL18rocblas_dot_kernelIiLb0ELi512ELi2ELb1EdPKPKddEviT5_lT_lS4_lS5_liPT6_PT4_,"axG",@progbits,_ZL18rocblas_dot_kernelIiLb0ELi512ELi2ELb1EdPKPKddEviT5_lT_lS4_lS5_liPT6_PT4_,comdat
.Lfunc_end270:
	.size	_ZL18rocblas_dot_kernelIiLb0ELi512ELi2ELb1EdPKPKddEviT5_lT_lS4_lS5_liPT6_PT4_, .Lfunc_end270-_ZL18rocblas_dot_kernelIiLb0ELi512ELi2ELb1EdPKPKddEviT5_lT_lS4_lS5_liPT6_PT4_
                                        ; -- End function
	.set _ZL18rocblas_dot_kernelIiLb0ELi512ELi2ELb1EdPKPKddEviT5_lT_lS4_lS5_liPT6_PT4_.num_vgpr, 22
	.set _ZL18rocblas_dot_kernelIiLb0ELi512ELi2ELb1EdPKPKddEviT5_lT_lS4_lS5_liPT6_PT4_.num_agpr, 0
	.set _ZL18rocblas_dot_kernelIiLb0ELi512ELi2ELb1EdPKPKddEviT5_lT_lS4_lS5_liPT6_PT4_.numbered_sgpr, 38
	.set _ZL18rocblas_dot_kernelIiLb0ELi512ELi2ELb1EdPKPKddEviT5_lT_lS4_lS5_liPT6_PT4_.num_named_barrier, 0
	.set _ZL18rocblas_dot_kernelIiLb0ELi512ELi2ELb1EdPKPKddEviT5_lT_lS4_lS5_liPT6_PT4_.private_seg_size, 0
	.set _ZL18rocblas_dot_kernelIiLb0ELi512ELi2ELb1EdPKPKddEviT5_lT_lS4_lS5_liPT6_PT4_.uses_vcc, 1
	.set _ZL18rocblas_dot_kernelIiLb0ELi512ELi2ELb1EdPKPKddEviT5_lT_lS4_lS5_liPT6_PT4_.uses_flat_scratch, 0
	.set _ZL18rocblas_dot_kernelIiLb0ELi512ELi2ELb1EdPKPKddEviT5_lT_lS4_lS5_liPT6_PT4_.has_dyn_sized_stack, 0
	.set _ZL18rocblas_dot_kernelIiLb0ELi512ELi2ELb1EdPKPKddEviT5_lT_lS4_lS5_liPT6_PT4_.has_recursion, 0
	.set _ZL18rocblas_dot_kernelIiLb0ELi512ELi2ELb1EdPKPKddEviT5_lT_lS4_lS5_liPT6_PT4_.has_indirect_call, 0
	.section	.AMDGPU.csdata,"",@progbits
; Kernel info:
; codeLenInByte = 1104
; TotalNumSgprs: 40
; NumVgprs: 22
; ScratchSize: 0
; MemoryBound: 0
; FloatMode: 240
; IeeeMode: 1
; LDSByteSize: 256 bytes/workgroup (compile time only)
; SGPRBlocks: 0
; VGPRBlocks: 1
; NumSGPRsForWavesPerEU: 40
; NumVGPRsForWavesPerEU: 22
; NamedBarCnt: 0
; Occupancy: 16
; WaveLimiterHint : 1
; COMPUTE_PGM_RSRC2:SCRATCH_EN: 0
; COMPUTE_PGM_RSRC2:USER_SGPR: 2
; COMPUTE_PGM_RSRC2:TRAP_HANDLER: 0
; COMPUTE_PGM_RSRC2:TGID_X_EN: 1
; COMPUTE_PGM_RSRC2:TGID_Y_EN: 0
; COMPUTE_PGM_RSRC2:TGID_Z_EN: 1
; COMPUTE_PGM_RSRC2:TIDIG_COMP_CNT: 0
	.section	.text._ZL24rocblas_dot_kernel_magsqIiLb0ELi512ELi2ELb1EdPKPKddEviT5_lT_liPT6_PT4_,"axG",@progbits,_ZL24rocblas_dot_kernel_magsqIiLb0ELi512ELi2ELb1EdPKPKddEviT5_lT_liPT6_PT4_,comdat
	.globl	_ZL24rocblas_dot_kernel_magsqIiLb0ELi512ELi2ELb1EdPKPKddEviT5_lT_liPT6_PT4_ ; -- Begin function _ZL24rocblas_dot_kernel_magsqIiLb0ELi512ELi2ELb1EdPKPKddEviT5_lT_liPT6_PT4_
	.p2align	8
	.type	_ZL24rocblas_dot_kernel_magsqIiLb0ELi512ELi2ELb1EdPKPKddEviT5_lT_liPT6_PT4_,@function
_ZL24rocblas_dot_kernel_magsqIiLb0ELi512ELi2ELb1EdPKPKddEviT5_lT_liPT6_PT4_: ; @_ZL24rocblas_dot_kernel_magsqIiLb0ELi512ELi2ELb1EdPKPKddEviT5_lT_liPT6_PT4_
; %bb.0:
	s_load_b32 s20, s[0:1], 0x28
	s_bfe_u32 s2, ttmp6, 0x40014
	s_lshr_b32 s3, ttmp7, 16
	s_add_co_i32 s2, s2, 1
	s_bfe_u32 s5, ttmp6, 0x40008
	s_mul_i32 s4, s3, s2
	s_getreg_b32 s2, hwreg(HW_REG_IB_STS2, 6, 4)
	s_add_co_i32 s5, s5, s4
	s_cmp_eq_u32 s2, 0
	s_mov_b32 s13, 0
	s_cselect_b32 s12, s3, s5
	s_wait_kmcnt 0x0
	s_cmp_ge_u32 s12, s20
	s_cbranch_scc1 .LBB271_20
; %bb.1:
	v_mbcnt_lo_u32_b32 v3, -1, 0
	s_clause 0x4
	s_load_b32 s14, s[0:1], 0x18
	s_load_b128 s[4:7], s[0:1], 0x30
	s_load_b32 s16, s[0:1], 0x40
	s_load_b128 s[8:11], s[0:1], 0x8
	s_load_b32 s21, s[0:1], 0x0
	s_wait_xcnt 0x0
	s_bfe_u32 s0, ttmp6, 0x4000c
	s_and_b32 s1, ttmp6, 15
	s_add_co_i32 s3, s0, 1
	v_cmp_gt_u32_e32 vcc_lo, 24, v3
	s_mul_i32 s3, ttmp9, s3
	v_and_b32_e32 v1, 31, v0
	s_add_co_i32 s1, s1, s3
	v_cmp_gt_u32_e64 s0, 32, v0
	v_cndmask_b32_e64 v4, 0, 8, vcc_lo
	v_cmp_gt_u32_e32 vcc_lo, 28, v3
	v_cmp_eq_u32_e64 s3, 0, v0
	s_mov_b32 s19, s13
	v_lshl_or_b32 v9, v3, 2, 64
	v_add_lshl_u32 v10, v4, v3, 2
	v_cndmask_b32_e64 v5, 0, 4, vcc_lo
	v_cmp_gt_u32_e32 vcc_lo, 30, v3
	s_wait_kmcnt 0x0
	s_ashr_i32 s15, s14, 31
	s_cmp_eq_u32 s2, 0
	v_lshrrev_b32_e32 v4, 2, v0
	s_cselect_b32 s18, ttmp9, s1
	v_cndmask_b32_e64 v6, 0, 2, vcc_lo
	v_cmp_ne_u32_e32 vcc_lo, 31, v3
	v_lshl_or_b32 v2, s18, 9, v0
	v_cmp_eq_u32_e64 s1, 0, v1
	v_cmp_gt_u32_e64 s2, 16, v0
	s_cmp_lg_u32 s16, 1
	v_add_co_ci_u32_e64 v7, null, 0, v3, vcc_lo
	v_lshlrev_b32_e32 v8, 3, v1
	v_mov_b64_e32 v[0:1], 0
	v_add_lshl_u32 v11, v5, v3, 2
	v_add_lshl_u32 v12, v6, v3, 2
	v_lshlrev_b32_e32 v13, 2, v7
	v_and_b32_e32 v14, 0x78, v4
	v_mov_b32_e32 v15, 0
	s_cselect_b32 s22, -1, 0
	s_lshl_b64 s[18:19], s[18:19], 3
	s_mov_b32 s17, s13
	s_lshl_b32 s23, s16, 9
	s_add_nc_u64 s[4:5], s[4:5], s[18:19]
	s_lshl_b64 s[10:11], s[10:11], 3
	s_branch .LBB271_3
.LBB271_2:                              ;   in Loop: Header=BB271_3 Depth=1
	s_wait_xcnt 0x0
	s_or_b32 exec_lo, exec_lo, s18
	s_add_co_i32 s12, s12, 0x10000
	s_delay_alu instid0(SALU_CYCLE_1)
	s_cmp_lt_u32 s12, s20
	s_cbranch_scc0 .LBB271_20
.LBB271_3:                              ; =>This Inner Loop Header: Depth=1
	s_wait_dscnt 0x0
	v_mov_b64_e32 v[4:5], 0
	s_mov_b32 s24, exec_lo
	v_cmpx_gt_i32_e64 s21, v2
	s_cbranch_execz .LBB271_7
; %bb.4:                                ;   in Loop: Header=BB271_3 Depth=1
	v_ashrrev_i32_e32 v3, 31, v2
	s_lshl_b64 s[18:19], s[12:13], 3
	s_mov_b32 s25, exec_lo
	s_add_nc_u64 s[18:19], s[8:9], s[18:19]
	s_load_b64 s[18:19], s[18:19], 0x0
	v_mul_u64_e32 v[4:5], s[14:15], v[2:3]
	v_add_nc_u32_e32 v2, s23, v2
	s_wait_kmcnt 0x0
	s_wait_xcnt 0x0
	s_add_nc_u64 s[18:19], s[18:19], s[10:11]
	s_delay_alu instid0(VALU_DEP_2) | instid1(SALU_CYCLE_1)
	v_lshl_add_u64 v[4:5], v[4:5], 3, s[18:19]
	flat_load_b64 v[4:5], v[4:5]
	s_wait_loadcnt_dscnt 0x0
	s_wait_xcnt 0x0
	v_mul_f64_e32 v[4:5], v[4:5], v[4:5]
	v_cmpx_gt_i32_e64 s21, v2
	s_cbranch_execz .LBB271_6
; %bb.5:                                ;   in Loop: Header=BB271_3 Depth=1
	v_ashrrev_i32_e32 v3, 31, v2
	s_delay_alu instid0(VALU_DEP_1) | instskip(SKIP_1) | instid1(VALU_DEP_2)
	v_mul_u64_e32 v[6:7], s[14:15], v[2:3]
	v_add_nc_u32_e32 v2, s23, v2
	v_lshl_add_u64 v[6:7], v[6:7], 3, s[18:19]
	flat_load_b64 v[6:7], v[6:7]
	s_wait_loadcnt_dscnt 0x0
	v_fmac_f64_e32 v[4:5], v[6:7], v[6:7]
.LBB271_6:                              ;   in Loop: Header=BB271_3 Depth=1
	s_wait_xcnt 0x0
	s_or_b32 exec_lo, exec_lo, s25
.LBB271_7:                              ;   in Loop: Header=BB271_3 Depth=1
	s_delay_alu instid0(SALU_CYCLE_1)
	s_or_b32 exec_lo, exec_lo, s24
	s_and_saveexec_b32 s18, s0
; %bb.8:                                ;   in Loop: Header=BB271_3 Depth=1
	ds_store_b64 v8, v[0:1]
; %bb.9:                                ;   in Loop: Header=BB271_3 Depth=1
	s_or_b32 exec_lo, exec_lo, s18
	ds_bpermute_b32 v6, v9, v4
	ds_bpermute_b32 v7, v9, v5
	s_wait_dscnt 0x0
	s_barrier_signal -1
	s_barrier_wait -1
	v_add_f64_e32 v[4:5], v[4:5], v[6:7]
	ds_bpermute_b32 v6, v10, v4
	ds_bpermute_b32 v7, v10, v5
	s_wait_dscnt 0x0
	v_add_f64_e32 v[4:5], v[4:5], v[6:7]
	ds_bpermute_b32 v6, v11, v4
	ds_bpermute_b32 v7, v11, v5
	s_wait_dscnt 0x0
	;; [unrolled: 4-line block ×3, first 2 shown]
	v_add_f64_e32 v[4:5], v[4:5], v[6:7]
	ds_bpermute_b32 v6, v13, v4
	ds_bpermute_b32 v7, v13, v5
	s_and_saveexec_b32 s18, s1
	s_cbranch_execz .LBB271_11
; %bb.10:                               ;   in Loop: Header=BB271_3 Depth=1
	s_wait_dscnt 0x0
	v_add_f64_e32 v[4:5], v[4:5], v[6:7]
	ds_store_b64 v14, v[4:5]
.LBB271_11:                             ;   in Loop: Header=BB271_3 Depth=1
	s_or_b32 exec_lo, exec_lo, s18
	v_mov_b64_e32 v[4:5], 0
	s_wait_dscnt 0x0
	s_barrier_signal -1
	s_barrier_wait -1
	s_and_saveexec_b32 s18, s2
	s_cbranch_execnz .LBB271_14
; %bb.12:                               ;   in Loop: Header=BB271_3 Depth=1
	s_or_b32 exec_lo, exec_lo, s18
	s_and_saveexec_b32 s18, s0
	s_cbranch_execnz .LBB271_15
.LBB271_13:                             ;   in Loop: Header=BB271_3 Depth=1
	s_or_b32 exec_lo, exec_lo, s18
	s_and_saveexec_b32 s18, s3
	s_cbranch_execz .LBB271_2
	s_branch .LBB271_16
.LBB271_14:                             ;   in Loop: Header=BB271_3 Depth=1
	ds_load_b64 v[4:5], v8
	s_or_b32 exec_lo, exec_lo, s18
	s_and_saveexec_b32 s18, s0
	s_cbranch_execz .LBB271_13
.LBB271_15:                             ;   in Loop: Header=BB271_3 Depth=1
	s_wait_dscnt 0x0
	ds_bpermute_b32 v6, v10, v4
	ds_bpermute_b32 v7, v10, v5
	s_wait_dscnt 0x0
	v_add_f64_e32 v[4:5], v[4:5], v[6:7]
	ds_bpermute_b32 v6, v11, v4
	ds_bpermute_b32 v7, v11, v5
	s_wait_dscnt 0x0
	v_add_f64_e32 v[4:5], v[4:5], v[6:7]
	;; [unrolled: 4-line block ×4, first 2 shown]
	s_or_b32 exec_lo, exec_lo, s18
	s_and_saveexec_b32 s18, s3
	s_cbranch_execz .LBB271_2
.LBB271_16:                             ;   in Loop: Header=BB271_3 Depth=1
	s_and_b32 vcc_lo, exec_lo, s22
	s_mov_b32 s19, -1
	s_cbranch_vccz .LBB271_18
; %bb.17:                               ;   in Loop: Header=BB271_3 Depth=1
	s_mul_u64 s[24:25], s[16:17], s[12:13]
	s_mov_b32 s19, 0
	s_lshl_b64 s[24:25], s[24:25], 3
	s_delay_alu instid0(SALU_CYCLE_1)
	s_add_nc_u64 s[24:25], s[4:5], s[24:25]
	s_wait_dscnt 0x0
	global_store_b64 v15, v[4:5], s[24:25]
.LBB271_18:                             ;   in Loop: Header=BB271_3 Depth=1
	s_and_not1_b32 vcc_lo, exec_lo, s19
	s_cbranch_vccnz .LBB271_2
; %bb.19:                               ;   in Loop: Header=BB271_3 Depth=1
	s_wait_xcnt 0x0
	s_lshl_b64 s[24:25], s[12:13], 3
	s_delay_alu instid0(SALU_CYCLE_1)
	s_add_nc_u64 s[24:25], s[6:7], s[24:25]
	s_wait_dscnt 0x0
	global_store_b64 v15, v[4:5], s[24:25]
	s_branch .LBB271_2
.LBB271_20:
	s_endpgm
	.section	.rodata,"a",@progbits
	.p2align	6, 0x0
	.amdhsa_kernel _ZL24rocblas_dot_kernel_magsqIiLb0ELi512ELi2ELb1EdPKPKddEviT5_lT_liPT6_PT4_
		.amdhsa_group_segment_fixed_size 256
		.amdhsa_private_segment_fixed_size 0
		.amdhsa_kernarg_size 320
		.amdhsa_user_sgpr_count 2
		.amdhsa_user_sgpr_dispatch_ptr 0
		.amdhsa_user_sgpr_queue_ptr 0
		.amdhsa_user_sgpr_kernarg_segment_ptr 1
		.amdhsa_user_sgpr_dispatch_id 0
		.amdhsa_user_sgpr_kernarg_preload_length 0
		.amdhsa_user_sgpr_kernarg_preload_offset 0
		.amdhsa_user_sgpr_private_segment_size 0
		.amdhsa_wavefront_size32 1
		.amdhsa_uses_dynamic_stack 0
		.amdhsa_enable_private_segment 0
		.amdhsa_system_sgpr_workgroup_id_x 1
		.amdhsa_system_sgpr_workgroup_id_y 0
		.amdhsa_system_sgpr_workgroup_id_z 1
		.amdhsa_system_sgpr_workgroup_info 0
		.amdhsa_system_vgpr_workitem_id 0
		.amdhsa_next_free_vgpr 16
		.amdhsa_next_free_sgpr 26
		.amdhsa_named_barrier_count 0
		.amdhsa_reserve_vcc 1
		.amdhsa_float_round_mode_32 0
		.amdhsa_float_round_mode_16_64 0
		.amdhsa_float_denorm_mode_32 3
		.amdhsa_float_denorm_mode_16_64 3
		.amdhsa_fp16_overflow 0
		.amdhsa_memory_ordered 1
		.amdhsa_forward_progress 1
		.amdhsa_inst_pref_size 8
		.amdhsa_round_robin_scheduling 0
		.amdhsa_exception_fp_ieee_invalid_op 0
		.amdhsa_exception_fp_denorm_src 0
		.amdhsa_exception_fp_ieee_div_zero 0
		.amdhsa_exception_fp_ieee_overflow 0
		.amdhsa_exception_fp_ieee_underflow 0
		.amdhsa_exception_fp_ieee_inexact 0
		.amdhsa_exception_int_div_zero 0
	.end_amdhsa_kernel
	.section	.text._ZL24rocblas_dot_kernel_magsqIiLb0ELi512ELi2ELb1EdPKPKddEviT5_lT_liPT6_PT4_,"axG",@progbits,_ZL24rocblas_dot_kernel_magsqIiLb0ELi512ELi2ELb1EdPKPKddEviT5_lT_liPT6_PT4_,comdat
.Lfunc_end271:
	.size	_ZL24rocblas_dot_kernel_magsqIiLb0ELi512ELi2ELb1EdPKPKddEviT5_lT_liPT6_PT4_, .Lfunc_end271-_ZL24rocblas_dot_kernel_magsqIiLb0ELi512ELi2ELb1EdPKPKddEviT5_lT_liPT6_PT4_
                                        ; -- End function
	.set _ZL24rocblas_dot_kernel_magsqIiLb0ELi512ELi2ELb1EdPKPKddEviT5_lT_liPT6_PT4_.num_vgpr, 16
	.set _ZL24rocblas_dot_kernel_magsqIiLb0ELi512ELi2ELb1EdPKPKddEviT5_lT_liPT6_PT4_.num_agpr, 0
	.set _ZL24rocblas_dot_kernel_magsqIiLb0ELi512ELi2ELb1EdPKPKddEviT5_lT_liPT6_PT4_.numbered_sgpr, 26
	.set _ZL24rocblas_dot_kernel_magsqIiLb0ELi512ELi2ELb1EdPKPKddEviT5_lT_liPT6_PT4_.num_named_barrier, 0
	.set _ZL24rocblas_dot_kernel_magsqIiLb0ELi512ELi2ELb1EdPKPKddEviT5_lT_liPT6_PT4_.private_seg_size, 0
	.set _ZL24rocblas_dot_kernel_magsqIiLb0ELi512ELi2ELb1EdPKPKddEviT5_lT_liPT6_PT4_.uses_vcc, 1
	.set _ZL24rocblas_dot_kernel_magsqIiLb0ELi512ELi2ELb1EdPKPKddEviT5_lT_liPT6_PT4_.uses_flat_scratch, 0
	.set _ZL24rocblas_dot_kernel_magsqIiLb0ELi512ELi2ELb1EdPKPKddEviT5_lT_liPT6_PT4_.has_dyn_sized_stack, 0
	.set _ZL24rocblas_dot_kernel_magsqIiLb0ELi512ELi2ELb1EdPKPKddEviT5_lT_liPT6_PT4_.has_recursion, 0
	.set _ZL24rocblas_dot_kernel_magsqIiLb0ELi512ELi2ELb1EdPKPKddEviT5_lT_liPT6_PT4_.has_indirect_call, 0
	.section	.AMDGPU.csdata,"",@progbits
; Kernel info:
; codeLenInByte = 1000
; TotalNumSgprs: 28
; NumVgprs: 16
; ScratchSize: 0
; MemoryBound: 0
; FloatMode: 240
; IeeeMode: 1
; LDSByteSize: 256 bytes/workgroup (compile time only)
; SGPRBlocks: 0
; VGPRBlocks: 0
; NumSGPRsForWavesPerEU: 28
; NumVGPRsForWavesPerEU: 16
; NamedBarCnt: 0
; Occupancy: 16
; WaveLimiterHint : 1
; COMPUTE_PGM_RSRC2:SCRATCH_EN: 0
; COMPUTE_PGM_RSRC2:USER_SGPR: 2
; COMPUTE_PGM_RSRC2:TRAP_HANDLER: 0
; COMPUTE_PGM_RSRC2:TGID_X_EN: 1
; COMPUTE_PGM_RSRC2:TGID_Y_EN: 0
; COMPUTE_PGM_RSRC2:TGID_Z_EN: 1
; COMPUTE_PGM_RSRC2:TIDIG_COMP_CNT: 0
	.section	.AMDGPU.gpr_maximums,"",@progbits
	.set amdgpu.max_num_vgpr, 0
	.set amdgpu.max_num_agpr, 0
	.set amdgpu.max_num_sgpr, 0
	.section	.AMDGPU.csdata,"",@progbits
	.type	__hip_cuid_163cf8aedb179910,@object ; @__hip_cuid_163cf8aedb179910
	.section	.bss,"aw",@nobits
	.globl	__hip_cuid_163cf8aedb179910
__hip_cuid_163cf8aedb179910:
	.byte	0                               ; 0x0
	.size	__hip_cuid_163cf8aedb179910, 1

	.ident	"AMD clang version 22.0.0git (https://github.com/RadeonOpenCompute/llvm-project roc-7.2.4 26084 f58b06dce1f9c15707c5f808fd002e18c2accf7e)"
	.section	".note.GNU-stack","",@progbits
	.addrsig
	.addrsig_sym __hip_cuid_163cf8aedb179910
	.amdgpu_metadata
---
amdhsa.kernels:
  - .args:
      - .offset:         0
        .size:           4
        .value_kind:     by_value
      - .actual_access:  read_only
        .address_space:  global
        .offset:         8
        .size:           8
        .value_kind:     global_buffer
      - .offset:         16
        .size:           8
        .value_kind:     by_value
      - .offset:         24
        .size:           4
        .value_kind:     by_value
      - .offset:         32
        .size:           8
        .value_kind:     by_value
      - .actual_access:  read_only
        .address_space:  global
        .offset:         40
        .size:           8
        .value_kind:     global_buffer
      - .offset:         48
        .size:           8
        .value_kind:     by_value
      - .offset:         56
        .size:           4
        .value_kind:     by_value
      - .offset:         64
        .size:           8
        .value_kind:     by_value
      - .offset:         72
        .size:           4
        .value_kind:     by_value
      - .actual_access:  write_only
        .address_space:  global
        .offset:         80
        .size:           8
        .value_kind:     global_buffer
    .group_segment_fixed_size: 0
    .kernarg_segment_align: 8
    .kernarg_segment_size: 88
    .language:       OpenCL C
    .language_version:
      - 2
      - 0
    .max_flat_workgroup_size: 128
    .name:           _ZL28rocblas_dot_batched_4_kernelIiLi32ELi4ELb0EDF16_DF16_PKDF16_EviT5_lT_lS2_lS3_liPT4_
    .private_segment_fixed_size: 0
    .sgpr_count:     21
    .sgpr_spill_count: 0
    .symbol:         _ZL28rocblas_dot_batched_4_kernelIiLi32ELi4ELb0EDF16_DF16_PKDF16_EviT5_lT_lS2_lS3_liPT4_.kd
    .uniform_work_group_size: 1
    .uses_dynamic_stack: false
    .vgpr_count:     12
    .vgpr_spill_count: 0
    .wavefront_size: 32
  - .args:
      - .offset:         0
        .size:           4
        .value_kind:     by_value
      - .actual_access:  read_only
        .address_space:  global
        .offset:         8
        .size:           8
        .value_kind:     global_buffer
      - .offset:         16
        .size:           8
        .value_kind:     by_value
      - .offset:         24
        .size:           4
        .value_kind:     by_value
      - .offset:         32
        .size:           8
        .value_kind:     by_value
      - .actual_access:  read_only
        .address_space:  global
        .offset:         40
        .size:           8
        .value_kind:     global_buffer
      - .offset:         48
        .size:           8
        .value_kind:     by_value
      - .offset:         56
        .size:           4
        .value_kind:     by_value
      - .offset:         64
        .size:           8
        .value_kind:     by_value
      - .offset:         72
        .size:           4
        .value_kind:     by_value
      - .actual_access:  write_only
        .address_space:  global
        .offset:         80
        .size:           8
        .value_kind:     global_buffer
    .group_segment_fixed_size: 0
    .kernarg_segment_align: 8
    .kernarg_segment_size: 88
    .language:       OpenCL C
    .language_version:
      - 2
      - 0
    .max_flat_workgroup_size: 256
    .name:           _ZL28rocblas_dot_batched_4_kernelIiLi64ELi4ELb0EDF16_DF16_PKDF16_EviT5_lT_lS2_lS3_liPT4_
    .private_segment_fixed_size: 0
    .sgpr_count:     21
    .sgpr_spill_count: 0
    .symbol:         _ZL28rocblas_dot_batched_4_kernelIiLi64ELi4ELb0EDF16_DF16_PKDF16_EviT5_lT_lS2_lS3_liPT4_.kd
    .uniform_work_group_size: 1
    .uses_dynamic_stack: false
    .vgpr_count:     12
    .vgpr_spill_count: 0
    .wavefront_size: 32
  - .args:
      - .offset:         0
        .size:           4
        .value_kind:     by_value
      - .actual_access:  read_only
        .address_space:  global
        .offset:         8
        .size:           8
        .value_kind:     global_buffer
      - .offset:         16
        .size:           8
        .value_kind:     by_value
      - .offset:         24
        .size:           8
        .value_kind:     by_value
      - .actual_access:  read_only
        .address_space:  global
        .offset:         32
        .size:           8
        .value_kind:     global_buffer
      - .offset:         40
        .size:           8
        .value_kind:     by_value
      - .offset:         48
        .size:           8
        .value_kind:     by_value
      - .offset:         56
        .size:           4
        .value_kind:     by_value
      - .actual_access:  read_only
        .address_space:  global
        .offset:         64
        .size:           8
        .value_kind:     global_buffer
      - .actual_access:  write_only
        .address_space:  global
        .offset:         72
        .size:           8
        .value_kind:     global_buffer
    .group_segment_fixed_size: 64
    .kernarg_segment_align: 8
    .kernarg_segment_size: 80
    .language:       OpenCL C
    .language_version:
      - 2
      - 0
    .max_flat_workgroup_size: 1024
    .name:           _ZL26rocblas_dot_kernel_inc1by2ILb1ELi1024ELi32ELb0EDF16_PKDF16_DF16_EviT4_llS2_lliPT5_PT3_
    .private_segment_fixed_size: 0
    .sgpr_count:     32
    .sgpr_spill_count: 0
    .symbol:         _ZL26rocblas_dot_kernel_inc1by2ILb1ELi1024ELi32ELb0EDF16_PKDF16_DF16_EviT4_llS2_lliPT5_PT3_.kd
    .uniform_work_group_size: 1
    .uses_dynamic_stack: false
    .vgpr_count:     16
    .vgpr_spill_count: 0
    .wavefront_size: 32
  - .args:
      - .offset:         0
        .size:           4
        .value_kind:     by_value
      - .actual_access:  read_only
        .address_space:  global
        .offset:         8
        .size:           8
        .value_kind:     global_buffer
      - .offset:         16
        .size:           8
        .value_kind:     by_value
      - .offset:         24
        .size:           4
        .value_kind:     by_value
      - .offset:         32
        .size:           8
        .value_kind:     by_value
      - .actual_access:  read_only
        .address_space:  global
        .offset:         40
        .size:           8
        .value_kind:     global_buffer
      - .offset:         48
        .size:           8
        .value_kind:     by_value
      - .offset:         56
        .size:           4
        .value_kind:     by_value
      - .offset:         64
        .size:           8
        .value_kind:     by_value
      - .offset:         72
        .size:           4
        .value_kind:     by_value
      - .actual_access:  read_only
        .address_space:  global
        .offset:         80
        .size:           8
        .value_kind:     global_buffer
      - .actual_access:  write_only
        .address_space:  global
        .offset:         88
        .size:           8
        .value_kind:     global_buffer
      - .offset:         96
        .size:           4
        .value_kind:     hidden_block_count_x
      - .offset:         100
        .size:           4
        .value_kind:     hidden_block_count_y
      - .offset:         104
        .size:           4
        .value_kind:     hidden_block_count_z
      - .offset:         108
        .size:           2
        .value_kind:     hidden_group_size_x
      - .offset:         110
        .size:           2
        .value_kind:     hidden_group_size_y
      - .offset:         112
        .size:           2
        .value_kind:     hidden_group_size_z
      - .offset:         114
        .size:           2
        .value_kind:     hidden_remainder_x
      - .offset:         116
        .size:           2
        .value_kind:     hidden_remainder_y
      - .offset:         118
        .size:           2
        .value_kind:     hidden_remainder_z
      - .offset:         136
        .size:           8
        .value_kind:     hidden_global_offset_x
      - .offset:         144
        .size:           8
        .value_kind:     hidden_global_offset_y
      - .offset:         152
        .size:           8
        .value_kind:     hidden_global_offset_z
      - .offset:         160
        .size:           2
        .value_kind:     hidden_grid_dims
    .group_segment_fixed_size: 64
    .kernarg_segment_align: 8
    .kernarg_segment_size: 352
    .language:       OpenCL C
    .language_version:
      - 2
      - 0
    .max_flat_workgroup_size: 1024
    .name:           _ZL18rocblas_dot_kernelIiLb1ELi1024ELi32ELb0EDF16_PKDF16_DF16_EviT5_lT_lS2_lS3_liPT6_PT4_
    .private_segment_fixed_size: 0
    .sgpr_count:     34
    .sgpr_spill_count: 0
    .symbol:         _ZL18rocblas_dot_kernelIiLb1ELi1024ELi32ELb0EDF16_PKDF16_DF16_EviT5_lT_lS2_lS3_liPT6_PT4_.kd
    .uniform_work_group_size: 1
    .uses_dynamic_stack: false
    .vgpr_count:     16
    .vgpr_spill_count: 0
    .wavefront_size: 32
  - .args:
      - .offset:         0
        .size:           4
        .value_kind:     by_value
      - .actual_access:  read_only
        .address_space:  global
        .offset:         8
        .size:           8
        .value_kind:     global_buffer
      - .offset:         16
        .size:           8
        .value_kind:     by_value
      - .offset:         24
        .size:           4
        .value_kind:     by_value
      - .offset:         32
        .size:           8
        .value_kind:     by_value
      - .offset:         40
        .size:           4
        .value_kind:     by_value
      - .actual_access:  read_only
        .address_space:  global
        .offset:         48
        .size:           8
        .value_kind:     global_buffer
      - .actual_access:  write_only
        .address_space:  global
        .offset:         56
        .size:           8
        .value_kind:     global_buffer
      - .offset:         64
        .size:           4
        .value_kind:     hidden_block_count_x
      - .offset:         68
        .size:           4
        .value_kind:     hidden_block_count_y
      - .offset:         72
        .size:           4
        .value_kind:     hidden_block_count_z
      - .offset:         76
        .size:           2
        .value_kind:     hidden_group_size_x
      - .offset:         78
        .size:           2
        .value_kind:     hidden_group_size_y
      - .offset:         80
        .size:           2
        .value_kind:     hidden_group_size_z
      - .offset:         82
        .size:           2
        .value_kind:     hidden_remainder_x
      - .offset:         84
        .size:           2
        .value_kind:     hidden_remainder_y
      - .offset:         86
        .size:           2
        .value_kind:     hidden_remainder_z
      - .offset:         104
        .size:           8
        .value_kind:     hidden_global_offset_x
      - .offset:         112
        .size:           8
        .value_kind:     hidden_global_offset_y
      - .offset:         120
        .size:           8
        .value_kind:     hidden_global_offset_z
      - .offset:         128
        .size:           2
        .value_kind:     hidden_grid_dims
    .group_segment_fixed_size: 64
    .kernarg_segment_align: 8
    .kernarg_segment_size: 320
    .language:       OpenCL C
    .language_version:
      - 2
      - 0
    .max_flat_workgroup_size: 1024
    .name:           _ZL24rocblas_dot_kernel_magsqIiLb1ELi1024ELi32ELb0EDF16_PKDF16_DF16_EviT5_lT_liPT6_PT4_
    .private_segment_fixed_size: 0
    .sgpr_count:     24
    .sgpr_spill_count: 0
    .symbol:         _ZL24rocblas_dot_kernel_magsqIiLb1ELi1024ELi32ELb0EDF16_PKDF16_DF16_EviT5_lT_liPT6_PT4_.kd
    .uniform_work_group_size: 1
    .uses_dynamic_stack: false
    .vgpr_count:     13
    .vgpr_spill_count: 0
    .wavefront_size: 32
  - .args:
      - .offset:         0
        .size:           4
        .value_kind:     by_value
      - .actual_access:  read_only
        .address_space:  global
        .offset:         8
        .size:           8
        .value_kind:     global_buffer
      - .offset:         16
        .size:           8
        .value_kind:     by_value
      - .offset:         24
        .size:           8
        .value_kind:     by_value
      - .actual_access:  read_only
        .address_space:  global
        .offset:         32
        .size:           8
        .value_kind:     global_buffer
      - .offset:         40
        .size:           8
        .value_kind:     by_value
      - .offset:         48
        .size:           8
        .value_kind:     by_value
      - .offset:         56
        .size:           4
        .value_kind:     by_value
      - .actual_access:  write_only
        .address_space:  global
        .offset:         64
        .size:           8
        .value_kind:     global_buffer
      - .actual_access:  write_only
        .address_space:  global
        .offset:         72
        .size:           8
        .value_kind:     global_buffer
      - .offset:         80
        .size:           4
        .value_kind:     hidden_block_count_x
      - .offset:         84
        .size:           4
        .value_kind:     hidden_block_count_y
      - .offset:         88
        .size:           4
        .value_kind:     hidden_block_count_z
      - .offset:         92
        .size:           2
        .value_kind:     hidden_group_size_x
      - .offset:         94
        .size:           2
        .value_kind:     hidden_group_size_y
      - .offset:         96
        .size:           2
        .value_kind:     hidden_group_size_z
      - .offset:         98
        .size:           2
        .value_kind:     hidden_remainder_x
      - .offset:         100
        .size:           2
        .value_kind:     hidden_remainder_y
      - .offset:         102
        .size:           2
        .value_kind:     hidden_remainder_z
      - .offset:         120
        .size:           8
        .value_kind:     hidden_global_offset_x
      - .offset:         128
        .size:           8
        .value_kind:     hidden_global_offset_y
      - .offset:         136
        .size:           8
        .value_kind:     hidden_global_offset_z
      - .offset:         144
        .size:           2
        .value_kind:     hidden_grid_dims
    .group_segment_fixed_size: 64
    .kernarg_segment_align: 8
    .kernarg_segment_size: 336
    .language:       OpenCL C
    .language_version:
      - 2
      - 0
    .max_flat_workgroup_size: 512
    .name:           _ZL23rocblas_dot_kernel_inc1ILb0ELi512ELi8ELb0EDF16_PKDF16_DF16_EviT4_llS2_lliPT5_PT3_
    .private_segment_fixed_size: 0
    .sgpr_count:     37
    .sgpr_spill_count: 0
    .symbol:         _ZL23rocblas_dot_kernel_inc1ILb0ELi512ELi8ELb0EDF16_PKDF16_DF16_EviT4_llS2_lliPT5_PT3_.kd
    .uniform_work_group_size: 1
    .uses_dynamic_stack: false
    .vgpr_count:     18
    .vgpr_spill_count: 0
    .wavefront_size: 32
  - .args:
      - .offset:         0
        .size:           4
        .value_kind:     by_value
      - .actual_access:  read_only
        .address_space:  global
        .offset:         8
        .size:           8
        .value_kind:     global_buffer
      - .offset:         16
        .size:           8
        .value_kind:     by_value
      - .offset:         24
        .size:           4
        .value_kind:     by_value
      - .offset:         32
        .size:           8
        .value_kind:     by_value
      - .actual_access:  read_only
        .address_space:  global
        .offset:         40
        .size:           8
        .value_kind:     global_buffer
      - .offset:         48
        .size:           8
        .value_kind:     by_value
      - .offset:         56
        .size:           4
        .value_kind:     by_value
      - .offset:         64
        .size:           8
        .value_kind:     by_value
      - .offset:         72
        .size:           4
        .value_kind:     by_value
      - .actual_access:  write_only
        .address_space:  global
        .offset:         80
        .size:           8
        .value_kind:     global_buffer
      - .actual_access:  write_only
        .address_space:  global
        .offset:         88
        .size:           8
        .value_kind:     global_buffer
      - .offset:         96
        .size:           4
        .value_kind:     hidden_block_count_x
      - .offset:         100
        .size:           4
        .value_kind:     hidden_block_count_y
      - .offset:         104
        .size:           4
        .value_kind:     hidden_block_count_z
      - .offset:         108
        .size:           2
        .value_kind:     hidden_group_size_x
      - .offset:         110
        .size:           2
        .value_kind:     hidden_group_size_y
      - .offset:         112
        .size:           2
        .value_kind:     hidden_group_size_z
      - .offset:         114
        .size:           2
        .value_kind:     hidden_remainder_x
      - .offset:         116
        .size:           2
        .value_kind:     hidden_remainder_y
      - .offset:         118
        .size:           2
        .value_kind:     hidden_remainder_z
      - .offset:         136
        .size:           8
        .value_kind:     hidden_global_offset_x
      - .offset:         144
        .size:           8
        .value_kind:     hidden_global_offset_y
      - .offset:         152
        .size:           8
        .value_kind:     hidden_global_offset_z
      - .offset:         160
        .size:           2
        .value_kind:     hidden_grid_dims
    .group_segment_fixed_size: 64
    .kernarg_segment_align: 8
    .kernarg_segment_size: 352
    .language:       OpenCL C
    .language_version:
      - 2
      - 0
    .max_flat_workgroup_size: 512
    .name:           _ZL18rocblas_dot_kernelIiLb0ELi512ELi8ELb0EDF16_PKDF16_DF16_EviT5_lT_lS2_lS3_liPT6_PT4_
    .private_segment_fixed_size: 0
    .sgpr_count:     40
    .sgpr_spill_count: 0
    .symbol:         _ZL18rocblas_dot_kernelIiLb0ELi512ELi8ELb0EDF16_PKDF16_DF16_EviT5_lT_lS2_lS3_liPT6_PT4_.kd
    .uniform_work_group_size: 1
    .uses_dynamic_stack: false
    .vgpr_count:     16
    .vgpr_spill_count: 0
    .wavefront_size: 32
  - .args:
      - .offset:         0
        .size:           4
        .value_kind:     by_value
      - .actual_access:  read_only
        .address_space:  global
        .offset:         8
        .size:           8
        .value_kind:     global_buffer
      - .offset:         16
        .size:           8
        .value_kind:     by_value
      - .offset:         24
        .size:           4
        .value_kind:     by_value
      - .offset:         32
        .size:           8
        .value_kind:     by_value
      - .offset:         40
        .size:           4
        .value_kind:     by_value
      - .actual_access:  write_only
        .address_space:  global
        .offset:         48
        .size:           8
        .value_kind:     global_buffer
      - .actual_access:  write_only
        .address_space:  global
        .offset:         56
        .size:           8
        .value_kind:     global_buffer
      - .offset:         64
        .size:           4
        .value_kind:     hidden_block_count_x
      - .offset:         68
        .size:           4
        .value_kind:     hidden_block_count_y
      - .offset:         72
        .size:           4
        .value_kind:     hidden_block_count_z
      - .offset:         76
        .size:           2
        .value_kind:     hidden_group_size_x
      - .offset:         78
        .size:           2
        .value_kind:     hidden_group_size_y
      - .offset:         80
        .size:           2
        .value_kind:     hidden_group_size_z
      - .offset:         82
        .size:           2
        .value_kind:     hidden_remainder_x
      - .offset:         84
        .size:           2
        .value_kind:     hidden_remainder_y
      - .offset:         86
        .size:           2
        .value_kind:     hidden_remainder_z
      - .offset:         104
        .size:           8
        .value_kind:     hidden_global_offset_x
      - .offset:         112
        .size:           8
        .value_kind:     hidden_global_offset_y
      - .offset:         120
        .size:           8
        .value_kind:     hidden_global_offset_z
      - .offset:         128
        .size:           2
        .value_kind:     hidden_grid_dims
    .group_segment_fixed_size: 64
    .kernarg_segment_align: 8
    .kernarg_segment_size: 320
    .language:       OpenCL C
    .language_version:
      - 2
      - 0
    .max_flat_workgroup_size: 512
    .name:           _ZL24rocblas_dot_kernel_magsqIiLb0ELi512ELi8ELb0EDF16_PKDF16_DF16_EviT5_lT_liPT6_PT4_
    .private_segment_fixed_size: 0
    .sgpr_count:     30
    .sgpr_spill_count: 0
    .symbol:         _ZL24rocblas_dot_kernel_magsqIiLb0ELi512ELi8ELb0EDF16_PKDF16_DF16_EviT5_lT_liPT6_PT4_.kd
    .uniform_work_group_size: 1
    .uses_dynamic_stack: false
    .vgpr_count:     13
    .vgpr_spill_count: 0
    .wavefront_size: 32
  - .args:
      - .offset:         0
        .size:           4
        .value_kind:     by_value
      - .actual_access:  read_only
        .address_space:  global
        .offset:         8
        .size:           8
        .value_kind:     global_buffer
      - .offset:         16
        .size:           8
        .value_kind:     by_value
      - .offset:         24
        .size:           4
        .value_kind:     by_value
      - .offset:         32
        .size:           8
        .value_kind:     by_value
      - .actual_access:  read_only
        .address_space:  global
        .offset:         40
        .size:           8
        .value_kind:     global_buffer
      - .offset:         48
        .size:           8
        .value_kind:     by_value
      - .offset:         56
        .size:           4
        .value_kind:     by_value
      - .offset:         64
        .size:           8
        .value_kind:     by_value
      - .offset:         72
        .size:           4
        .value_kind:     by_value
      - .actual_access:  write_only
        .address_space:  global
        .offset:         80
        .size:           8
        .value_kind:     global_buffer
    .group_segment_fixed_size: 0
    .kernarg_segment_align: 8
    .kernarg_segment_size: 88
    .language:       OpenCL C
    .language_version:
      - 2
      - 0
    .max_flat_workgroup_size: 128
    .name:           _ZL28rocblas_dot_batched_4_kernelIiLi32ELi4ELb0Ef16rocblas_bfloat16PKS0_EviT5_lT_lS3_lS4_liPT4_
    .private_segment_fixed_size: 0
    .sgpr_count:     21
    .sgpr_spill_count: 0
    .symbol:         _ZL28rocblas_dot_batched_4_kernelIiLi32ELi4ELb0Ef16rocblas_bfloat16PKS0_EviT5_lT_lS3_lS4_liPT4_.kd
    .uniform_work_group_size: 1
    .uses_dynamic_stack: false
    .vgpr_count:     12
    .vgpr_spill_count: 0
    .wavefront_size: 32
  - .args:
      - .offset:         0
        .size:           4
        .value_kind:     by_value
      - .actual_access:  read_only
        .address_space:  global
        .offset:         8
        .size:           8
        .value_kind:     global_buffer
      - .offset:         16
        .size:           8
        .value_kind:     by_value
      - .offset:         24
        .size:           4
        .value_kind:     by_value
      - .offset:         32
        .size:           8
        .value_kind:     by_value
      - .actual_access:  read_only
        .address_space:  global
        .offset:         40
        .size:           8
        .value_kind:     global_buffer
      - .offset:         48
        .size:           8
        .value_kind:     by_value
      - .offset:         56
        .size:           4
        .value_kind:     by_value
      - .offset:         64
        .size:           8
        .value_kind:     by_value
      - .offset:         72
        .size:           4
        .value_kind:     by_value
      - .actual_access:  write_only
        .address_space:  global
        .offset:         80
        .size:           8
        .value_kind:     global_buffer
    .group_segment_fixed_size: 0
    .kernarg_segment_align: 8
    .kernarg_segment_size: 88
    .language:       OpenCL C
    .language_version:
      - 2
      - 0
    .max_flat_workgroup_size: 256
    .name:           _ZL28rocblas_dot_batched_4_kernelIiLi64ELi4ELb0Ef16rocblas_bfloat16PKS0_EviT5_lT_lS3_lS4_liPT4_
    .private_segment_fixed_size: 0
    .sgpr_count:     21
    .sgpr_spill_count: 0
    .symbol:         _ZL28rocblas_dot_batched_4_kernelIiLi64ELi4ELb0Ef16rocblas_bfloat16PKS0_EviT5_lT_lS3_lS4_liPT4_.kd
    .uniform_work_group_size: 1
    .uses_dynamic_stack: false
    .vgpr_count:     12
    .vgpr_spill_count: 0
    .wavefront_size: 32
  - .args:
      - .offset:         0
        .size:           4
        .value_kind:     by_value
      - .actual_access:  read_only
        .address_space:  global
        .offset:         8
        .size:           8
        .value_kind:     global_buffer
      - .offset:         16
        .size:           8
        .value_kind:     by_value
      - .offset:         24
        .size:           8
        .value_kind:     by_value
      - .actual_access:  read_only
        .address_space:  global
        .offset:         32
        .size:           8
        .value_kind:     global_buffer
      - .offset:         40
        .size:           8
        .value_kind:     by_value
      - .offset:         48
        .size:           8
        .value_kind:     by_value
      - .offset:         56
        .size:           4
        .value_kind:     by_value
      - .actual_access:  read_only
        .address_space:  global
        .offset:         64
        .size:           8
        .value_kind:     global_buffer
      - .actual_access:  write_only
        .address_space:  global
        .offset:         72
        .size:           8
        .value_kind:     global_buffer
    .group_segment_fixed_size: 128
    .kernarg_segment_align: 8
    .kernarg_segment_size: 80
    .language:       OpenCL C
    .language_version:
      - 2
      - 0
    .max_flat_workgroup_size: 1024
    .name:           _ZL26rocblas_dot_kernel_inc1by2ILb1ELi1024ELi32ELb0E16rocblas_bfloat16PKS0_fEviT4_llS3_lliPT5_PT3_
    .private_segment_fixed_size: 0
    .sgpr_count:     32
    .sgpr_spill_count: 0
    .symbol:         _ZL26rocblas_dot_kernel_inc1by2ILb1ELi1024ELi32ELb0E16rocblas_bfloat16PKS0_fEviT4_llS3_lliPT5_PT3_.kd
    .uniform_work_group_size: 1
    .uses_dynamic_stack: false
    .vgpr_count:     18
    .vgpr_spill_count: 0
    .wavefront_size: 32
  - .args:
      - .offset:         0
        .size:           4
        .value_kind:     by_value
      - .actual_access:  read_only
        .address_space:  global
        .offset:         8
        .size:           8
        .value_kind:     global_buffer
      - .offset:         16
        .size:           8
        .value_kind:     by_value
      - .offset:         24
        .size:           4
        .value_kind:     by_value
      - .offset:         32
        .size:           8
        .value_kind:     by_value
      - .actual_access:  read_only
        .address_space:  global
        .offset:         40
        .size:           8
        .value_kind:     global_buffer
      - .offset:         48
        .size:           8
        .value_kind:     by_value
      - .offset:         56
        .size:           4
        .value_kind:     by_value
      - .offset:         64
        .size:           8
        .value_kind:     by_value
      - .offset:         72
        .size:           4
        .value_kind:     by_value
      - .actual_access:  read_only
        .address_space:  global
        .offset:         80
        .size:           8
        .value_kind:     global_buffer
      - .actual_access:  write_only
        .address_space:  global
        .offset:         88
        .size:           8
        .value_kind:     global_buffer
      - .offset:         96
        .size:           4
        .value_kind:     hidden_block_count_x
      - .offset:         100
        .size:           4
        .value_kind:     hidden_block_count_y
      - .offset:         104
        .size:           4
        .value_kind:     hidden_block_count_z
      - .offset:         108
        .size:           2
        .value_kind:     hidden_group_size_x
      - .offset:         110
        .size:           2
        .value_kind:     hidden_group_size_y
      - .offset:         112
        .size:           2
        .value_kind:     hidden_group_size_z
      - .offset:         114
        .size:           2
        .value_kind:     hidden_remainder_x
      - .offset:         116
        .size:           2
        .value_kind:     hidden_remainder_y
      - .offset:         118
        .size:           2
        .value_kind:     hidden_remainder_z
      - .offset:         136
        .size:           8
        .value_kind:     hidden_global_offset_x
      - .offset:         144
        .size:           8
        .value_kind:     hidden_global_offset_y
      - .offset:         152
        .size:           8
        .value_kind:     hidden_global_offset_z
      - .offset:         160
        .size:           2
        .value_kind:     hidden_grid_dims
    .group_segment_fixed_size: 128
    .kernarg_segment_align: 8
    .kernarg_segment_size: 352
    .language:       OpenCL C
    .language_version:
      - 2
      - 0
    .max_flat_workgroup_size: 1024
    .name:           _ZL18rocblas_dot_kernelIiLb1ELi1024ELi32ELb0E16rocblas_bfloat16PKS0_fEviT5_lT_lS3_lS4_liPT6_PT4_
    .private_segment_fixed_size: 0
    .sgpr_count:     34
    .sgpr_spill_count: 0
    .symbol:         _ZL18rocblas_dot_kernelIiLb1ELi1024ELi32ELb0E16rocblas_bfloat16PKS0_fEviT5_lT_lS3_lS4_liPT6_PT4_.kd
    .uniform_work_group_size: 1
    .uses_dynamic_stack: false
    .vgpr_count:     16
    .vgpr_spill_count: 0
    .wavefront_size: 32
  - .args:
      - .offset:         0
        .size:           4
        .value_kind:     by_value
      - .actual_access:  read_only
        .address_space:  global
        .offset:         8
        .size:           8
        .value_kind:     global_buffer
      - .offset:         16
        .size:           8
        .value_kind:     by_value
      - .offset:         24
        .size:           4
        .value_kind:     by_value
      - .offset:         32
        .size:           8
        .value_kind:     by_value
      - .offset:         40
        .size:           4
        .value_kind:     by_value
      - .actual_access:  read_only
        .address_space:  global
        .offset:         48
        .size:           8
        .value_kind:     global_buffer
      - .actual_access:  write_only
        .address_space:  global
        .offset:         56
        .size:           8
        .value_kind:     global_buffer
      - .offset:         64
        .size:           4
        .value_kind:     hidden_block_count_x
      - .offset:         68
        .size:           4
        .value_kind:     hidden_block_count_y
      - .offset:         72
        .size:           4
        .value_kind:     hidden_block_count_z
      - .offset:         76
        .size:           2
        .value_kind:     hidden_group_size_x
      - .offset:         78
        .size:           2
        .value_kind:     hidden_group_size_y
      - .offset:         80
        .size:           2
        .value_kind:     hidden_group_size_z
      - .offset:         82
        .size:           2
        .value_kind:     hidden_remainder_x
      - .offset:         84
        .size:           2
        .value_kind:     hidden_remainder_y
      - .offset:         86
        .size:           2
        .value_kind:     hidden_remainder_z
      - .offset:         104
        .size:           8
        .value_kind:     hidden_global_offset_x
      - .offset:         112
        .size:           8
        .value_kind:     hidden_global_offset_y
      - .offset:         120
        .size:           8
        .value_kind:     hidden_global_offset_z
      - .offset:         128
        .size:           2
        .value_kind:     hidden_grid_dims
    .group_segment_fixed_size: 128
    .kernarg_segment_align: 8
    .kernarg_segment_size: 320
    .language:       OpenCL C
    .language_version:
      - 2
      - 0
    .max_flat_workgroup_size: 1024
    .name:           _ZL24rocblas_dot_kernel_magsqIiLb1ELi1024ELi32ELb0E16rocblas_bfloat16PKS0_fEviT5_lT_liPT6_PT4_
    .private_segment_fixed_size: 0
    .sgpr_count:     24
    .sgpr_spill_count: 0
    .symbol:         _ZL24rocblas_dot_kernel_magsqIiLb1ELi1024ELi32ELb0E16rocblas_bfloat16PKS0_fEviT5_lT_liPT6_PT4_.kd
    .uniform_work_group_size: 1
    .uses_dynamic_stack: false
    .vgpr_count:     13
    .vgpr_spill_count: 0
    .wavefront_size: 32
  - .args:
      - .offset:         0
        .size:           4
        .value_kind:     by_value
      - .actual_access:  read_only
        .address_space:  global
        .offset:         8
        .size:           8
        .value_kind:     global_buffer
      - .offset:         16
        .size:           8
        .value_kind:     by_value
      - .offset:         24
        .size:           8
        .value_kind:     by_value
      - .actual_access:  read_only
        .address_space:  global
        .offset:         32
        .size:           8
        .value_kind:     global_buffer
      - .offset:         40
        .size:           8
        .value_kind:     by_value
      - .offset:         48
        .size:           8
        .value_kind:     by_value
      - .offset:         56
        .size:           4
        .value_kind:     by_value
      - .actual_access:  write_only
        .address_space:  global
        .offset:         64
        .size:           8
        .value_kind:     global_buffer
      - .actual_access:  write_only
        .address_space:  global
        .offset:         72
        .size:           8
        .value_kind:     global_buffer
      - .offset:         80
        .size:           4
        .value_kind:     hidden_block_count_x
      - .offset:         84
        .size:           4
        .value_kind:     hidden_block_count_y
      - .offset:         88
        .size:           4
        .value_kind:     hidden_block_count_z
      - .offset:         92
        .size:           2
        .value_kind:     hidden_group_size_x
      - .offset:         94
        .size:           2
        .value_kind:     hidden_group_size_y
      - .offset:         96
        .size:           2
        .value_kind:     hidden_group_size_z
      - .offset:         98
        .size:           2
        .value_kind:     hidden_remainder_x
      - .offset:         100
        .size:           2
        .value_kind:     hidden_remainder_y
      - .offset:         102
        .size:           2
        .value_kind:     hidden_remainder_z
      - .offset:         120
        .size:           8
        .value_kind:     hidden_global_offset_x
      - .offset:         128
        .size:           8
        .value_kind:     hidden_global_offset_y
      - .offset:         136
        .size:           8
        .value_kind:     hidden_global_offset_z
      - .offset:         144
        .size:           2
        .value_kind:     hidden_grid_dims
    .group_segment_fixed_size: 128
    .kernarg_segment_align: 8
    .kernarg_segment_size: 336
    .language:       OpenCL C
    .language_version:
      - 2
      - 0
    .max_flat_workgroup_size: 512
    .name:           _ZL23rocblas_dot_kernel_inc1ILb0ELi512ELi8ELb0E16rocblas_bfloat16PKS0_fEviT4_llS3_lliPT5_PT3_
    .private_segment_fixed_size: 0
    .sgpr_count:     37
    .sgpr_spill_count: 0
    .symbol:         _ZL23rocblas_dot_kernel_inc1ILb0ELi512ELi8ELb0E16rocblas_bfloat16PKS0_fEviT4_llS3_lliPT5_PT3_.kd
    .uniform_work_group_size: 1
    .uses_dynamic_stack: false
    .vgpr_count:     18
    .vgpr_spill_count: 0
    .wavefront_size: 32
  - .args:
      - .offset:         0
        .size:           4
        .value_kind:     by_value
      - .actual_access:  read_only
        .address_space:  global
        .offset:         8
        .size:           8
        .value_kind:     global_buffer
      - .offset:         16
        .size:           8
        .value_kind:     by_value
      - .offset:         24
        .size:           4
        .value_kind:     by_value
      - .offset:         32
        .size:           8
        .value_kind:     by_value
      - .actual_access:  read_only
        .address_space:  global
        .offset:         40
        .size:           8
        .value_kind:     global_buffer
      - .offset:         48
        .size:           8
        .value_kind:     by_value
      - .offset:         56
        .size:           4
        .value_kind:     by_value
      - .offset:         64
        .size:           8
        .value_kind:     by_value
      - .offset:         72
        .size:           4
        .value_kind:     by_value
      - .actual_access:  write_only
        .address_space:  global
        .offset:         80
        .size:           8
        .value_kind:     global_buffer
      - .actual_access:  write_only
        .address_space:  global
        .offset:         88
        .size:           8
        .value_kind:     global_buffer
      - .offset:         96
        .size:           4
        .value_kind:     hidden_block_count_x
      - .offset:         100
        .size:           4
        .value_kind:     hidden_block_count_y
      - .offset:         104
        .size:           4
        .value_kind:     hidden_block_count_z
      - .offset:         108
        .size:           2
        .value_kind:     hidden_group_size_x
      - .offset:         110
        .size:           2
        .value_kind:     hidden_group_size_y
      - .offset:         112
        .size:           2
        .value_kind:     hidden_group_size_z
      - .offset:         114
        .size:           2
        .value_kind:     hidden_remainder_x
      - .offset:         116
        .size:           2
        .value_kind:     hidden_remainder_y
      - .offset:         118
        .size:           2
        .value_kind:     hidden_remainder_z
      - .offset:         136
        .size:           8
        .value_kind:     hidden_global_offset_x
      - .offset:         144
        .size:           8
        .value_kind:     hidden_global_offset_y
      - .offset:         152
        .size:           8
        .value_kind:     hidden_global_offset_z
      - .offset:         160
        .size:           2
        .value_kind:     hidden_grid_dims
    .group_segment_fixed_size: 128
    .kernarg_segment_align: 8
    .kernarg_segment_size: 352
    .language:       OpenCL C
    .language_version:
      - 2
      - 0
    .max_flat_workgroup_size: 512
    .name:           _ZL18rocblas_dot_kernelIiLb0ELi512ELi8ELb0E16rocblas_bfloat16PKS0_fEviT5_lT_lS3_lS4_liPT6_PT4_
    .private_segment_fixed_size: 0
    .sgpr_count:     40
    .sgpr_spill_count: 0
    .symbol:         _ZL18rocblas_dot_kernelIiLb0ELi512ELi8ELb0E16rocblas_bfloat16PKS0_fEviT5_lT_lS3_lS4_liPT6_PT4_.kd
    .uniform_work_group_size: 1
    .uses_dynamic_stack: false
    .vgpr_count:     16
    .vgpr_spill_count: 0
    .wavefront_size: 32
  - .args:
      - .offset:         0
        .size:           4
        .value_kind:     by_value
      - .actual_access:  read_only
        .address_space:  global
        .offset:         8
        .size:           8
        .value_kind:     global_buffer
      - .offset:         16
        .size:           8
        .value_kind:     by_value
      - .offset:         24
        .size:           4
        .value_kind:     by_value
      - .offset:         32
        .size:           8
        .value_kind:     by_value
      - .offset:         40
        .size:           4
        .value_kind:     by_value
      - .actual_access:  write_only
        .address_space:  global
        .offset:         48
        .size:           8
        .value_kind:     global_buffer
      - .actual_access:  write_only
        .address_space:  global
        .offset:         56
        .size:           8
        .value_kind:     global_buffer
      - .offset:         64
        .size:           4
        .value_kind:     hidden_block_count_x
      - .offset:         68
        .size:           4
        .value_kind:     hidden_block_count_y
      - .offset:         72
        .size:           4
        .value_kind:     hidden_block_count_z
      - .offset:         76
        .size:           2
        .value_kind:     hidden_group_size_x
      - .offset:         78
        .size:           2
        .value_kind:     hidden_group_size_y
      - .offset:         80
        .size:           2
        .value_kind:     hidden_group_size_z
      - .offset:         82
        .size:           2
        .value_kind:     hidden_remainder_x
      - .offset:         84
        .size:           2
        .value_kind:     hidden_remainder_y
      - .offset:         86
        .size:           2
        .value_kind:     hidden_remainder_z
      - .offset:         104
        .size:           8
        .value_kind:     hidden_global_offset_x
      - .offset:         112
        .size:           8
        .value_kind:     hidden_global_offset_y
      - .offset:         120
        .size:           8
        .value_kind:     hidden_global_offset_z
      - .offset:         128
        .size:           2
        .value_kind:     hidden_grid_dims
    .group_segment_fixed_size: 128
    .kernarg_segment_align: 8
    .kernarg_segment_size: 320
    .language:       OpenCL C
    .language_version:
      - 2
      - 0
    .max_flat_workgroup_size: 512
    .name:           _ZL24rocblas_dot_kernel_magsqIiLb0ELi512ELi8ELb0E16rocblas_bfloat16PKS0_fEviT5_lT_liPT6_PT4_
    .private_segment_fixed_size: 0
    .sgpr_count:     30
    .sgpr_spill_count: 0
    .symbol:         _ZL24rocblas_dot_kernel_magsqIiLb0ELi512ELi8ELb0E16rocblas_bfloat16PKS0_fEviT5_lT_liPT6_PT4_.kd
    .uniform_work_group_size: 1
    .uses_dynamic_stack: false
    .vgpr_count:     13
    .vgpr_spill_count: 0
    .wavefront_size: 32
  - .args:
      - .offset:         0
        .size:           4
        .value_kind:     by_value
      - .actual_access:  read_only
        .address_space:  global
        .offset:         8
        .size:           8
        .value_kind:     global_buffer
      - .offset:         16
        .size:           8
        .value_kind:     by_value
      - .offset:         24
        .size:           4
        .value_kind:     by_value
      - .offset:         32
        .size:           8
        .value_kind:     by_value
      - .actual_access:  read_only
        .address_space:  global
        .offset:         40
        .size:           8
        .value_kind:     global_buffer
      - .offset:         48
        .size:           8
        .value_kind:     by_value
      - .offset:         56
        .size:           4
        .value_kind:     by_value
      - .offset:         64
        .size:           8
        .value_kind:     by_value
      - .offset:         72
        .size:           4
        .value_kind:     by_value
      - .actual_access:  write_only
        .address_space:  global
        .offset:         80
        .size:           8
        .value_kind:     global_buffer
    .group_segment_fixed_size: 0
    .kernarg_segment_align: 8
    .kernarg_segment_size: 88
    .language:       OpenCL C
    .language_version:
      - 2
      - 0
    .max_flat_workgroup_size: 128
    .name:           _ZL28rocblas_dot_batched_4_kernelIiLi32ELi4ELb0EffPKfEviT5_lT_lS2_lS3_liPT4_
    .private_segment_fixed_size: 0
    .sgpr_count:     21
    .sgpr_spill_count: 0
    .symbol:         _ZL28rocblas_dot_batched_4_kernelIiLi32ELi4ELb0EffPKfEviT5_lT_lS2_lS3_liPT4_.kd
    .uniform_work_group_size: 1
    .uses_dynamic_stack: false
    .vgpr_count:     12
    .vgpr_spill_count: 0
    .wavefront_size: 32
  - .args:
      - .offset:         0
        .size:           4
        .value_kind:     by_value
      - .actual_access:  read_only
        .address_space:  global
        .offset:         8
        .size:           8
        .value_kind:     global_buffer
      - .offset:         16
        .size:           8
        .value_kind:     by_value
      - .offset:         24
        .size:           4
        .value_kind:     by_value
      - .offset:         32
        .size:           8
        .value_kind:     by_value
      - .actual_access:  read_only
        .address_space:  global
        .offset:         40
        .size:           8
        .value_kind:     global_buffer
      - .offset:         48
        .size:           8
        .value_kind:     by_value
      - .offset:         56
        .size:           4
        .value_kind:     by_value
      - .offset:         64
        .size:           8
        .value_kind:     by_value
      - .offset:         72
        .size:           4
        .value_kind:     by_value
      - .actual_access:  write_only
        .address_space:  global
        .offset:         80
        .size:           8
        .value_kind:     global_buffer
    .group_segment_fixed_size: 0
    .kernarg_segment_align: 8
    .kernarg_segment_size: 88
    .language:       OpenCL C
    .language_version:
      - 2
      - 0
    .max_flat_workgroup_size: 256
    .name:           _ZL28rocblas_dot_batched_4_kernelIiLi64ELi4ELb0EffPKfEviT5_lT_lS2_lS3_liPT4_
    .private_segment_fixed_size: 0
    .sgpr_count:     21
    .sgpr_spill_count: 0
    .symbol:         _ZL28rocblas_dot_batched_4_kernelIiLi64ELi4ELb0EffPKfEviT5_lT_lS2_lS3_liPT4_.kd
    .uniform_work_group_size: 1
    .uses_dynamic_stack: false
    .vgpr_count:     12
    .vgpr_spill_count: 0
    .wavefront_size: 32
  - .args:
      - .offset:         0
        .size:           4
        .value_kind:     by_value
      - .actual_access:  read_only
        .address_space:  global
        .offset:         8
        .size:           8
        .value_kind:     global_buffer
      - .offset:         16
        .size:           8
        .value_kind:     by_value
      - .offset:         24
        .size:           8
        .value_kind:     by_value
      - .actual_access:  read_only
        .address_space:  global
        .offset:         32
        .size:           8
        .value_kind:     global_buffer
      - .offset:         40
        .size:           8
        .value_kind:     by_value
      - .offset:         48
        .size:           8
        .value_kind:     by_value
      - .offset:         56
        .size:           4
        .value_kind:     by_value
      - .actual_access:  read_only
        .address_space:  global
        .offset:         64
        .size:           8
        .value_kind:     global_buffer
      - .actual_access:  write_only
        .address_space:  global
        .offset:         72
        .size:           8
        .value_kind:     global_buffer
    .group_segment_fixed_size: 128
    .kernarg_segment_align: 8
    .kernarg_segment_size: 80
    .language:       OpenCL C
    .language_version:
      - 2
      - 0
    .max_flat_workgroup_size: 1024
    .name:           _ZL26rocblas_dot_kernel_inc1by2ILb1ELi1024ELi32ELb0EfPKffEviT4_llS2_lliPT5_PT3_
    .private_segment_fixed_size: 0
    .sgpr_count:     32
    .sgpr_spill_count: 0
    .symbol:         _ZL26rocblas_dot_kernel_inc1by2ILb1ELi1024ELi32ELb0EfPKffEviT4_llS2_lliPT5_PT3_.kd
    .uniform_work_group_size: 1
    .uses_dynamic_stack: false
    .vgpr_count:     18
    .vgpr_spill_count: 0
    .wavefront_size: 32
  - .args:
      - .offset:         0
        .size:           4
        .value_kind:     by_value
      - .actual_access:  read_only
        .address_space:  global
        .offset:         8
        .size:           8
        .value_kind:     global_buffer
      - .offset:         16
        .size:           8
        .value_kind:     by_value
      - .offset:         24
        .size:           4
        .value_kind:     by_value
      - .offset:         32
        .size:           8
        .value_kind:     by_value
      - .actual_access:  read_only
        .address_space:  global
        .offset:         40
        .size:           8
        .value_kind:     global_buffer
      - .offset:         48
        .size:           8
        .value_kind:     by_value
      - .offset:         56
        .size:           4
        .value_kind:     by_value
      - .offset:         64
        .size:           8
        .value_kind:     by_value
      - .offset:         72
        .size:           4
        .value_kind:     by_value
      - .actual_access:  read_only
        .address_space:  global
        .offset:         80
        .size:           8
        .value_kind:     global_buffer
      - .actual_access:  write_only
        .address_space:  global
        .offset:         88
        .size:           8
        .value_kind:     global_buffer
      - .offset:         96
        .size:           4
        .value_kind:     hidden_block_count_x
      - .offset:         100
        .size:           4
        .value_kind:     hidden_block_count_y
      - .offset:         104
        .size:           4
        .value_kind:     hidden_block_count_z
      - .offset:         108
        .size:           2
        .value_kind:     hidden_group_size_x
      - .offset:         110
        .size:           2
        .value_kind:     hidden_group_size_y
      - .offset:         112
        .size:           2
        .value_kind:     hidden_group_size_z
      - .offset:         114
        .size:           2
        .value_kind:     hidden_remainder_x
      - .offset:         116
        .size:           2
        .value_kind:     hidden_remainder_y
      - .offset:         118
        .size:           2
        .value_kind:     hidden_remainder_z
      - .offset:         136
        .size:           8
        .value_kind:     hidden_global_offset_x
      - .offset:         144
        .size:           8
        .value_kind:     hidden_global_offset_y
      - .offset:         152
        .size:           8
        .value_kind:     hidden_global_offset_z
      - .offset:         160
        .size:           2
        .value_kind:     hidden_grid_dims
    .group_segment_fixed_size: 128
    .kernarg_segment_align: 8
    .kernarg_segment_size: 352
    .language:       OpenCL C
    .language_version:
      - 2
      - 0
    .max_flat_workgroup_size: 1024
    .name:           _ZL18rocblas_dot_kernelIiLb1ELi1024ELi32ELb0EfPKffEviT5_lT_lS2_lS3_liPT6_PT4_
    .private_segment_fixed_size: 0
    .sgpr_count:     34
    .sgpr_spill_count: 0
    .symbol:         _ZL18rocblas_dot_kernelIiLb1ELi1024ELi32ELb0EfPKffEviT5_lT_lS2_lS3_liPT6_PT4_.kd
    .uniform_work_group_size: 1
    .uses_dynamic_stack: false
    .vgpr_count:     16
    .vgpr_spill_count: 0
    .wavefront_size: 32
  - .args:
      - .offset:         0
        .size:           4
        .value_kind:     by_value
      - .actual_access:  read_only
        .address_space:  global
        .offset:         8
        .size:           8
        .value_kind:     global_buffer
      - .offset:         16
        .size:           8
        .value_kind:     by_value
      - .offset:         24
        .size:           4
        .value_kind:     by_value
      - .offset:         32
        .size:           8
        .value_kind:     by_value
      - .offset:         40
        .size:           4
        .value_kind:     by_value
      - .actual_access:  read_only
        .address_space:  global
        .offset:         48
        .size:           8
        .value_kind:     global_buffer
      - .actual_access:  write_only
        .address_space:  global
        .offset:         56
        .size:           8
        .value_kind:     global_buffer
      - .offset:         64
        .size:           4
        .value_kind:     hidden_block_count_x
      - .offset:         68
        .size:           4
        .value_kind:     hidden_block_count_y
      - .offset:         72
        .size:           4
        .value_kind:     hidden_block_count_z
      - .offset:         76
        .size:           2
        .value_kind:     hidden_group_size_x
      - .offset:         78
        .size:           2
        .value_kind:     hidden_group_size_y
      - .offset:         80
        .size:           2
        .value_kind:     hidden_group_size_z
      - .offset:         82
        .size:           2
        .value_kind:     hidden_remainder_x
      - .offset:         84
        .size:           2
        .value_kind:     hidden_remainder_y
      - .offset:         86
        .size:           2
        .value_kind:     hidden_remainder_z
      - .offset:         104
        .size:           8
        .value_kind:     hidden_global_offset_x
      - .offset:         112
        .size:           8
        .value_kind:     hidden_global_offset_y
      - .offset:         120
        .size:           8
        .value_kind:     hidden_global_offset_z
      - .offset:         128
        .size:           2
        .value_kind:     hidden_grid_dims
    .group_segment_fixed_size: 128
    .kernarg_segment_align: 8
    .kernarg_segment_size: 320
    .language:       OpenCL C
    .language_version:
      - 2
      - 0
    .max_flat_workgroup_size: 1024
    .name:           _ZL24rocblas_dot_kernel_magsqIiLb1ELi1024ELi32ELb0EfPKffEviT5_lT_liPT6_PT4_
    .private_segment_fixed_size: 0
    .sgpr_count:     24
    .sgpr_spill_count: 0
    .symbol:         _ZL24rocblas_dot_kernel_magsqIiLb1ELi1024ELi32ELb0EfPKffEviT5_lT_liPT6_PT4_.kd
    .uniform_work_group_size: 1
    .uses_dynamic_stack: false
    .vgpr_count:     13
    .vgpr_spill_count: 0
    .wavefront_size: 32
  - .args:
      - .offset:         0
        .size:           4
        .value_kind:     by_value
      - .actual_access:  read_only
        .address_space:  global
        .offset:         8
        .size:           8
        .value_kind:     global_buffer
      - .offset:         16
        .size:           8
        .value_kind:     by_value
      - .offset:         24
        .size:           8
        .value_kind:     by_value
      - .actual_access:  read_only
        .address_space:  global
        .offset:         32
        .size:           8
        .value_kind:     global_buffer
      - .offset:         40
        .size:           8
        .value_kind:     by_value
      - .offset:         48
        .size:           8
        .value_kind:     by_value
      - .offset:         56
        .size:           4
        .value_kind:     by_value
      - .actual_access:  write_only
        .address_space:  global
        .offset:         64
        .size:           8
        .value_kind:     global_buffer
      - .actual_access:  write_only
        .address_space:  global
        .offset:         72
        .size:           8
        .value_kind:     global_buffer
      - .offset:         80
        .size:           4
        .value_kind:     hidden_block_count_x
      - .offset:         84
        .size:           4
        .value_kind:     hidden_block_count_y
      - .offset:         88
        .size:           4
        .value_kind:     hidden_block_count_z
      - .offset:         92
        .size:           2
        .value_kind:     hidden_group_size_x
      - .offset:         94
        .size:           2
        .value_kind:     hidden_group_size_y
      - .offset:         96
        .size:           2
        .value_kind:     hidden_group_size_z
      - .offset:         98
        .size:           2
        .value_kind:     hidden_remainder_x
      - .offset:         100
        .size:           2
        .value_kind:     hidden_remainder_y
      - .offset:         102
        .size:           2
        .value_kind:     hidden_remainder_z
      - .offset:         120
        .size:           8
        .value_kind:     hidden_global_offset_x
      - .offset:         128
        .size:           8
        .value_kind:     hidden_global_offset_y
      - .offset:         136
        .size:           8
        .value_kind:     hidden_global_offset_z
      - .offset:         144
        .size:           2
        .value_kind:     hidden_grid_dims
    .group_segment_fixed_size: 128
    .kernarg_segment_align: 8
    .kernarg_segment_size: 336
    .language:       OpenCL C
    .language_version:
      - 2
      - 0
    .max_flat_workgroup_size: 512
    .name:           _ZL23rocblas_dot_kernel_inc1ILb0ELi512ELi4ELb0EfPKffEviT4_llS2_lliPT5_PT3_
    .private_segment_fixed_size: 0
    .sgpr_count:     37
    .sgpr_spill_count: 0
    .symbol:         _ZL23rocblas_dot_kernel_inc1ILb0ELi512ELi4ELb0EfPKffEviT4_llS2_lliPT5_PT3_.kd
    .uniform_work_group_size: 1
    .uses_dynamic_stack: false
    .vgpr_count:     18
    .vgpr_spill_count: 0
    .wavefront_size: 32
  - .args:
      - .offset:         0
        .size:           4
        .value_kind:     by_value
      - .actual_access:  read_only
        .address_space:  global
        .offset:         8
        .size:           8
        .value_kind:     global_buffer
      - .offset:         16
        .size:           8
        .value_kind:     by_value
      - .offset:         24
        .size:           4
        .value_kind:     by_value
      - .offset:         32
        .size:           8
        .value_kind:     by_value
      - .actual_access:  read_only
        .address_space:  global
        .offset:         40
        .size:           8
        .value_kind:     global_buffer
      - .offset:         48
        .size:           8
        .value_kind:     by_value
      - .offset:         56
        .size:           4
        .value_kind:     by_value
      - .offset:         64
        .size:           8
        .value_kind:     by_value
      - .offset:         72
        .size:           4
        .value_kind:     by_value
      - .actual_access:  write_only
        .address_space:  global
        .offset:         80
        .size:           8
        .value_kind:     global_buffer
      - .actual_access:  write_only
        .address_space:  global
        .offset:         88
        .size:           8
        .value_kind:     global_buffer
      - .offset:         96
        .size:           4
        .value_kind:     hidden_block_count_x
      - .offset:         100
        .size:           4
        .value_kind:     hidden_block_count_y
      - .offset:         104
        .size:           4
        .value_kind:     hidden_block_count_z
      - .offset:         108
        .size:           2
        .value_kind:     hidden_group_size_x
      - .offset:         110
        .size:           2
        .value_kind:     hidden_group_size_y
      - .offset:         112
        .size:           2
        .value_kind:     hidden_group_size_z
      - .offset:         114
        .size:           2
        .value_kind:     hidden_remainder_x
      - .offset:         116
        .size:           2
        .value_kind:     hidden_remainder_y
      - .offset:         118
        .size:           2
        .value_kind:     hidden_remainder_z
      - .offset:         136
        .size:           8
        .value_kind:     hidden_global_offset_x
      - .offset:         144
        .size:           8
        .value_kind:     hidden_global_offset_y
      - .offset:         152
        .size:           8
        .value_kind:     hidden_global_offset_z
      - .offset:         160
        .size:           2
        .value_kind:     hidden_grid_dims
    .group_segment_fixed_size: 128
    .kernarg_segment_align: 8
    .kernarg_segment_size: 352
    .language:       OpenCL C
    .language_version:
      - 2
      - 0
    .max_flat_workgroup_size: 512
    .name:           _ZL18rocblas_dot_kernelIiLb0ELi512ELi4ELb0EfPKffEviT5_lT_lS2_lS3_liPT6_PT4_
    .private_segment_fixed_size: 0
    .sgpr_count:     40
    .sgpr_spill_count: 0
    .symbol:         _ZL18rocblas_dot_kernelIiLb0ELi512ELi4ELb0EfPKffEviT5_lT_lS2_lS3_liPT6_PT4_.kd
    .uniform_work_group_size: 1
    .uses_dynamic_stack: false
    .vgpr_count:     16
    .vgpr_spill_count: 0
    .wavefront_size: 32
  - .args:
      - .offset:         0
        .size:           4
        .value_kind:     by_value
      - .actual_access:  read_only
        .address_space:  global
        .offset:         8
        .size:           8
        .value_kind:     global_buffer
      - .offset:         16
        .size:           8
        .value_kind:     by_value
      - .offset:         24
        .size:           4
        .value_kind:     by_value
      - .offset:         32
        .size:           8
        .value_kind:     by_value
      - .offset:         40
        .size:           4
        .value_kind:     by_value
      - .actual_access:  write_only
        .address_space:  global
        .offset:         48
        .size:           8
        .value_kind:     global_buffer
      - .actual_access:  write_only
        .address_space:  global
        .offset:         56
        .size:           8
        .value_kind:     global_buffer
      - .offset:         64
        .size:           4
        .value_kind:     hidden_block_count_x
      - .offset:         68
        .size:           4
        .value_kind:     hidden_block_count_y
      - .offset:         72
        .size:           4
        .value_kind:     hidden_block_count_z
      - .offset:         76
        .size:           2
        .value_kind:     hidden_group_size_x
      - .offset:         78
        .size:           2
        .value_kind:     hidden_group_size_y
      - .offset:         80
        .size:           2
        .value_kind:     hidden_group_size_z
      - .offset:         82
        .size:           2
        .value_kind:     hidden_remainder_x
      - .offset:         84
        .size:           2
        .value_kind:     hidden_remainder_y
      - .offset:         86
        .size:           2
        .value_kind:     hidden_remainder_z
      - .offset:         104
        .size:           8
        .value_kind:     hidden_global_offset_x
      - .offset:         112
        .size:           8
        .value_kind:     hidden_global_offset_y
      - .offset:         120
        .size:           8
        .value_kind:     hidden_global_offset_z
      - .offset:         128
        .size:           2
        .value_kind:     hidden_grid_dims
    .group_segment_fixed_size: 128
    .kernarg_segment_align: 8
    .kernarg_segment_size: 320
    .language:       OpenCL C
    .language_version:
      - 2
      - 0
    .max_flat_workgroup_size: 512
    .name:           _ZL24rocblas_dot_kernel_magsqIiLb0ELi512ELi4ELb0EfPKffEviT5_lT_liPT6_PT4_
    .private_segment_fixed_size: 0
    .sgpr_count:     30
    .sgpr_spill_count: 0
    .symbol:         _ZL24rocblas_dot_kernel_magsqIiLb0ELi512ELi4ELb0EfPKffEviT5_lT_liPT6_PT4_.kd
    .uniform_work_group_size: 1
    .uses_dynamic_stack: false
    .vgpr_count:     13
    .vgpr_spill_count: 0
    .wavefront_size: 32
  - .args:
      - .offset:         0
        .size:           4
        .value_kind:     by_value
      - .actual_access:  read_only
        .address_space:  global
        .offset:         8
        .size:           8
        .value_kind:     global_buffer
      - .offset:         16
        .size:           8
        .value_kind:     by_value
      - .offset:         24
        .size:           4
        .value_kind:     by_value
      - .offset:         32
        .size:           8
        .value_kind:     by_value
      - .actual_access:  read_only
        .address_space:  global
        .offset:         40
        .size:           8
        .value_kind:     global_buffer
      - .offset:         48
        .size:           8
        .value_kind:     by_value
      - .offset:         56
        .size:           4
        .value_kind:     by_value
      - .offset:         64
        .size:           8
        .value_kind:     by_value
      - .offset:         72
        .size:           4
        .value_kind:     by_value
      - .actual_access:  write_only
        .address_space:  global
        .offset:         80
        .size:           8
        .value_kind:     global_buffer
    .group_segment_fixed_size: 0
    .kernarg_segment_align: 8
    .kernarg_segment_size: 88
    .language:       OpenCL C
    .language_version:
      - 2
      - 0
    .max_flat_workgroup_size: 128
    .name:           _ZL28rocblas_dot_batched_4_kernelIiLi32ELi4ELb0EddPKdEviT5_lT_lS2_lS3_liPT4_
    .private_segment_fixed_size: 0
    .sgpr_count:     21
    .sgpr_spill_count: 0
    .symbol:         _ZL28rocblas_dot_batched_4_kernelIiLi32ELi4ELb0EddPKdEviT5_lT_lS2_lS3_liPT4_.kd
    .uniform_work_group_size: 1
    .uses_dynamic_stack: false
    .vgpr_count:     14
    .vgpr_spill_count: 0
    .wavefront_size: 32
  - .args:
      - .offset:         0
        .size:           4
        .value_kind:     by_value
      - .actual_access:  read_only
        .address_space:  global
        .offset:         8
        .size:           8
        .value_kind:     global_buffer
      - .offset:         16
        .size:           8
        .value_kind:     by_value
      - .offset:         24
        .size:           4
        .value_kind:     by_value
      - .offset:         32
        .size:           8
        .value_kind:     by_value
      - .actual_access:  read_only
        .address_space:  global
        .offset:         40
        .size:           8
        .value_kind:     global_buffer
      - .offset:         48
        .size:           8
        .value_kind:     by_value
      - .offset:         56
        .size:           4
        .value_kind:     by_value
      - .offset:         64
        .size:           8
        .value_kind:     by_value
      - .offset:         72
        .size:           4
        .value_kind:     by_value
      - .actual_access:  write_only
        .address_space:  global
        .offset:         80
        .size:           8
        .value_kind:     global_buffer
    .group_segment_fixed_size: 0
    .kernarg_segment_align: 8
    .kernarg_segment_size: 88
    .language:       OpenCL C
    .language_version:
      - 2
      - 0
    .max_flat_workgroup_size: 256
    .name:           _ZL28rocblas_dot_batched_4_kernelIiLi64ELi4ELb0EddPKdEviT5_lT_lS2_lS3_liPT4_
    .private_segment_fixed_size: 0
    .sgpr_count:     21
    .sgpr_spill_count: 0
    .symbol:         _ZL28rocblas_dot_batched_4_kernelIiLi64ELi4ELb0EddPKdEviT5_lT_lS2_lS3_liPT4_.kd
    .uniform_work_group_size: 1
    .uses_dynamic_stack: false
    .vgpr_count:     14
    .vgpr_spill_count: 0
    .wavefront_size: 32
  - .args:
      - .offset:         0
        .size:           4
        .value_kind:     by_value
      - .actual_access:  read_only
        .address_space:  global
        .offset:         8
        .size:           8
        .value_kind:     global_buffer
      - .offset:         16
        .size:           8
        .value_kind:     by_value
      - .offset:         24
        .size:           8
        .value_kind:     by_value
      - .actual_access:  read_only
        .address_space:  global
        .offset:         32
        .size:           8
        .value_kind:     global_buffer
      - .offset:         40
        .size:           8
        .value_kind:     by_value
      - .offset:         48
        .size:           8
        .value_kind:     by_value
      - .offset:         56
        .size:           4
        .value_kind:     by_value
      - .actual_access:  read_only
        .address_space:  global
        .offset:         64
        .size:           8
        .value_kind:     global_buffer
      - .actual_access:  write_only
        .address_space:  global
        .offset:         72
        .size:           8
        .value_kind:     global_buffer
    .group_segment_fixed_size: 256
    .kernarg_segment_align: 8
    .kernarg_segment_size: 80
    .language:       OpenCL C
    .language_version:
      - 2
      - 0
    .max_flat_workgroup_size: 1024
    .name:           _ZL26rocblas_dot_kernel_inc1by2ILb1ELi1024ELi32ELb0EdPKddEviT4_llS2_lliPT5_PT3_
    .private_segment_fixed_size: 0
    .sgpr_count:     24
    .sgpr_spill_count: 0
    .symbol:         _ZL26rocblas_dot_kernel_inc1by2ILb1ELi1024ELi32ELb0EdPKddEviT4_llS2_lliPT5_PT3_.kd
    .uniform_work_group_size: 1
    .uses_dynamic_stack: false
    .vgpr_count:     22
    .vgpr_spill_count: 0
    .wavefront_size: 32
  - .args:
      - .offset:         0
        .size:           4
        .value_kind:     by_value
      - .actual_access:  read_only
        .address_space:  global
        .offset:         8
        .size:           8
        .value_kind:     global_buffer
      - .offset:         16
        .size:           8
        .value_kind:     by_value
      - .offset:         24
        .size:           4
        .value_kind:     by_value
      - .offset:         32
        .size:           8
        .value_kind:     by_value
      - .actual_access:  read_only
        .address_space:  global
        .offset:         40
        .size:           8
        .value_kind:     global_buffer
      - .offset:         48
        .size:           8
        .value_kind:     by_value
      - .offset:         56
        .size:           4
        .value_kind:     by_value
      - .offset:         64
        .size:           8
        .value_kind:     by_value
      - .offset:         72
        .size:           4
        .value_kind:     by_value
      - .actual_access:  read_only
        .address_space:  global
        .offset:         80
        .size:           8
        .value_kind:     global_buffer
      - .actual_access:  write_only
        .address_space:  global
        .offset:         88
        .size:           8
        .value_kind:     global_buffer
      - .offset:         96
        .size:           4
        .value_kind:     hidden_block_count_x
      - .offset:         100
        .size:           4
        .value_kind:     hidden_block_count_y
      - .offset:         104
        .size:           4
        .value_kind:     hidden_block_count_z
      - .offset:         108
        .size:           2
        .value_kind:     hidden_group_size_x
      - .offset:         110
        .size:           2
        .value_kind:     hidden_group_size_y
      - .offset:         112
        .size:           2
        .value_kind:     hidden_group_size_z
      - .offset:         114
        .size:           2
        .value_kind:     hidden_remainder_x
      - .offset:         116
        .size:           2
        .value_kind:     hidden_remainder_y
      - .offset:         118
        .size:           2
        .value_kind:     hidden_remainder_z
      - .offset:         136
        .size:           8
        .value_kind:     hidden_global_offset_x
      - .offset:         144
        .size:           8
        .value_kind:     hidden_global_offset_y
      - .offset:         152
        .size:           8
        .value_kind:     hidden_global_offset_z
      - .offset:         160
        .size:           2
        .value_kind:     hidden_grid_dims
    .group_segment_fixed_size: 256
    .kernarg_segment_align: 8
    .kernarg_segment_size: 352
    .language:       OpenCL C
    .language_version:
      - 2
      - 0
    .max_flat_workgroup_size: 1024
    .name:           _ZL18rocblas_dot_kernelIiLb1ELi1024ELi32ELb0EdPKddEviT5_lT_lS2_lS3_liPT6_PT4_
    .private_segment_fixed_size: 0
    .sgpr_count:     34
    .sgpr_spill_count: 0
    .symbol:         _ZL18rocblas_dot_kernelIiLb1ELi1024ELi32ELb0EdPKddEviT5_lT_lS2_lS3_liPT6_PT4_.kd
    .uniform_work_group_size: 1
    .uses_dynamic_stack: false
    .vgpr_count:     22
    .vgpr_spill_count: 0
    .wavefront_size: 32
  - .args:
      - .offset:         0
        .size:           4
        .value_kind:     by_value
      - .actual_access:  read_only
        .address_space:  global
        .offset:         8
        .size:           8
        .value_kind:     global_buffer
      - .offset:         16
        .size:           8
        .value_kind:     by_value
      - .offset:         24
        .size:           4
        .value_kind:     by_value
      - .offset:         32
        .size:           8
        .value_kind:     by_value
      - .offset:         40
        .size:           4
        .value_kind:     by_value
      - .actual_access:  read_only
        .address_space:  global
        .offset:         48
        .size:           8
        .value_kind:     global_buffer
      - .actual_access:  write_only
        .address_space:  global
        .offset:         56
        .size:           8
        .value_kind:     global_buffer
      - .offset:         64
        .size:           4
        .value_kind:     hidden_block_count_x
      - .offset:         68
        .size:           4
        .value_kind:     hidden_block_count_y
      - .offset:         72
        .size:           4
        .value_kind:     hidden_block_count_z
      - .offset:         76
        .size:           2
        .value_kind:     hidden_group_size_x
      - .offset:         78
        .size:           2
        .value_kind:     hidden_group_size_y
      - .offset:         80
        .size:           2
        .value_kind:     hidden_group_size_z
      - .offset:         82
        .size:           2
        .value_kind:     hidden_remainder_x
      - .offset:         84
        .size:           2
        .value_kind:     hidden_remainder_y
      - .offset:         86
        .size:           2
        .value_kind:     hidden_remainder_z
      - .offset:         104
        .size:           8
        .value_kind:     hidden_global_offset_x
      - .offset:         112
        .size:           8
        .value_kind:     hidden_global_offset_y
      - .offset:         120
        .size:           8
        .value_kind:     hidden_global_offset_z
      - .offset:         128
        .size:           2
        .value_kind:     hidden_grid_dims
    .group_segment_fixed_size: 256
    .kernarg_segment_align: 8
    .kernarg_segment_size: 320
    .language:       OpenCL C
    .language_version:
      - 2
      - 0
    .max_flat_workgroup_size: 1024
    .name:           _ZL24rocblas_dot_kernel_magsqIiLb1ELi1024ELi32ELb0EdPKddEviT5_lT_liPT6_PT4_
    .private_segment_fixed_size: 0
    .sgpr_count:     24
    .sgpr_spill_count: 0
    .symbol:         _ZL24rocblas_dot_kernel_magsqIiLb1ELi1024ELi32ELb0EdPKddEviT5_lT_liPT6_PT4_.kd
    .uniform_work_group_size: 1
    .uses_dynamic_stack: false
    .vgpr_count:     18
    .vgpr_spill_count: 0
    .wavefront_size: 32
  - .args:
      - .offset:         0
        .size:           4
        .value_kind:     by_value
      - .actual_access:  read_only
        .address_space:  global
        .offset:         8
        .size:           8
        .value_kind:     global_buffer
      - .offset:         16
        .size:           8
        .value_kind:     by_value
      - .offset:         24
        .size:           8
        .value_kind:     by_value
      - .actual_access:  read_only
        .address_space:  global
        .offset:         32
        .size:           8
        .value_kind:     global_buffer
      - .offset:         40
        .size:           8
        .value_kind:     by_value
      - .offset:         48
        .size:           8
        .value_kind:     by_value
      - .offset:         56
        .size:           4
        .value_kind:     by_value
      - .actual_access:  write_only
        .address_space:  global
        .offset:         64
        .size:           8
        .value_kind:     global_buffer
      - .actual_access:  write_only
        .address_space:  global
        .offset:         72
        .size:           8
        .value_kind:     global_buffer
      - .offset:         80
        .size:           4
        .value_kind:     hidden_block_count_x
      - .offset:         84
        .size:           4
        .value_kind:     hidden_block_count_y
      - .offset:         88
        .size:           4
        .value_kind:     hidden_block_count_z
      - .offset:         92
        .size:           2
        .value_kind:     hidden_group_size_x
      - .offset:         94
        .size:           2
        .value_kind:     hidden_group_size_y
      - .offset:         96
        .size:           2
        .value_kind:     hidden_group_size_z
      - .offset:         98
        .size:           2
        .value_kind:     hidden_remainder_x
      - .offset:         100
        .size:           2
        .value_kind:     hidden_remainder_y
      - .offset:         102
        .size:           2
        .value_kind:     hidden_remainder_z
      - .offset:         120
        .size:           8
        .value_kind:     hidden_global_offset_x
      - .offset:         128
        .size:           8
        .value_kind:     hidden_global_offset_y
      - .offset:         136
        .size:           8
        .value_kind:     hidden_global_offset_z
      - .offset:         144
        .size:           2
        .value_kind:     hidden_grid_dims
    .group_segment_fixed_size: 256
    .kernarg_segment_align: 8
    .kernarg_segment_size: 336
    .language:       OpenCL C
    .language_version:
      - 2
      - 0
    .max_flat_workgroup_size: 512
    .name:           _ZL23rocblas_dot_kernel_inc1ILb0ELi512ELi2ELb0EdPKddEviT4_llS2_lliPT5_PT3_
    .private_segment_fixed_size: 0
    .sgpr_count:     38
    .sgpr_spill_count: 0
    .symbol:         _ZL23rocblas_dot_kernel_inc1ILb0ELi512ELi2ELb0EdPKddEviT4_llS2_lliPT5_PT3_.kd
    .uniform_work_group_size: 1
    .uses_dynamic_stack: false
    .vgpr_count:     22
    .vgpr_spill_count: 0
    .wavefront_size: 32
  - .args:
      - .offset:         0
        .size:           4
        .value_kind:     by_value
      - .actual_access:  read_only
        .address_space:  global
        .offset:         8
        .size:           8
        .value_kind:     global_buffer
      - .offset:         16
        .size:           8
        .value_kind:     by_value
      - .offset:         24
        .size:           4
        .value_kind:     by_value
      - .offset:         32
        .size:           8
        .value_kind:     by_value
      - .actual_access:  read_only
        .address_space:  global
        .offset:         40
        .size:           8
        .value_kind:     global_buffer
      - .offset:         48
        .size:           8
        .value_kind:     by_value
      - .offset:         56
        .size:           4
        .value_kind:     by_value
      - .offset:         64
        .size:           8
        .value_kind:     by_value
      - .offset:         72
        .size:           4
        .value_kind:     by_value
      - .actual_access:  write_only
        .address_space:  global
        .offset:         80
        .size:           8
        .value_kind:     global_buffer
      - .actual_access:  write_only
        .address_space:  global
        .offset:         88
        .size:           8
        .value_kind:     global_buffer
      - .offset:         96
        .size:           4
        .value_kind:     hidden_block_count_x
      - .offset:         100
        .size:           4
        .value_kind:     hidden_block_count_y
      - .offset:         104
        .size:           4
        .value_kind:     hidden_block_count_z
      - .offset:         108
        .size:           2
        .value_kind:     hidden_group_size_x
      - .offset:         110
        .size:           2
        .value_kind:     hidden_group_size_y
      - .offset:         112
        .size:           2
        .value_kind:     hidden_group_size_z
      - .offset:         114
        .size:           2
        .value_kind:     hidden_remainder_x
      - .offset:         116
        .size:           2
        .value_kind:     hidden_remainder_y
      - .offset:         118
        .size:           2
        .value_kind:     hidden_remainder_z
      - .offset:         136
        .size:           8
        .value_kind:     hidden_global_offset_x
      - .offset:         144
        .size:           8
        .value_kind:     hidden_global_offset_y
      - .offset:         152
        .size:           8
        .value_kind:     hidden_global_offset_z
      - .offset:         160
        .size:           2
        .value_kind:     hidden_grid_dims
    .group_segment_fixed_size: 256
    .kernarg_segment_align: 8
    .kernarg_segment_size: 352
    .language:       OpenCL C
    .language_version:
      - 2
      - 0
    .max_flat_workgroup_size: 512
    .name:           _ZL18rocblas_dot_kernelIiLb0ELi512ELi2ELb0EdPKddEviT5_lT_lS2_lS3_liPT6_PT4_
    .private_segment_fixed_size: 0
    .sgpr_count:     41
    .sgpr_spill_count: 0
    .symbol:         _ZL18rocblas_dot_kernelIiLb0ELi512ELi2ELb0EdPKddEviT5_lT_lS2_lS3_liPT6_PT4_.kd
    .uniform_work_group_size: 1
    .uses_dynamic_stack: false
    .vgpr_count:     22
    .vgpr_spill_count: 0
    .wavefront_size: 32
  - .args:
      - .offset:         0
        .size:           4
        .value_kind:     by_value
      - .actual_access:  read_only
        .address_space:  global
        .offset:         8
        .size:           8
        .value_kind:     global_buffer
      - .offset:         16
        .size:           8
        .value_kind:     by_value
      - .offset:         24
        .size:           4
        .value_kind:     by_value
      - .offset:         32
        .size:           8
        .value_kind:     by_value
      - .offset:         40
        .size:           4
        .value_kind:     by_value
      - .actual_access:  write_only
        .address_space:  global
        .offset:         48
        .size:           8
        .value_kind:     global_buffer
      - .actual_access:  write_only
        .address_space:  global
        .offset:         56
        .size:           8
        .value_kind:     global_buffer
      - .offset:         64
        .size:           4
        .value_kind:     hidden_block_count_x
      - .offset:         68
        .size:           4
        .value_kind:     hidden_block_count_y
      - .offset:         72
        .size:           4
        .value_kind:     hidden_block_count_z
      - .offset:         76
        .size:           2
        .value_kind:     hidden_group_size_x
      - .offset:         78
        .size:           2
        .value_kind:     hidden_group_size_y
      - .offset:         80
        .size:           2
        .value_kind:     hidden_group_size_z
      - .offset:         82
        .size:           2
        .value_kind:     hidden_remainder_x
      - .offset:         84
        .size:           2
        .value_kind:     hidden_remainder_y
      - .offset:         86
        .size:           2
        .value_kind:     hidden_remainder_z
      - .offset:         104
        .size:           8
        .value_kind:     hidden_global_offset_x
      - .offset:         112
        .size:           8
        .value_kind:     hidden_global_offset_y
      - .offset:         120
        .size:           8
        .value_kind:     hidden_global_offset_z
      - .offset:         128
        .size:           2
        .value_kind:     hidden_grid_dims
    .group_segment_fixed_size: 256
    .kernarg_segment_align: 8
    .kernarg_segment_size: 320
    .language:       OpenCL C
    .language_version:
      - 2
      - 0
    .max_flat_workgroup_size: 512
    .name:           _ZL24rocblas_dot_kernel_magsqIiLb0ELi512ELi2ELb0EdPKddEviT5_lT_liPT6_PT4_
    .private_segment_fixed_size: 0
    .sgpr_count:     28
    .sgpr_spill_count: 0
    .symbol:         _ZL24rocblas_dot_kernel_magsqIiLb0ELi512ELi2ELb0EdPKddEviT5_lT_liPT6_PT4_.kd
    .uniform_work_group_size: 1
    .uses_dynamic_stack: false
    .vgpr_count:     16
    .vgpr_spill_count: 0
    .wavefront_size: 32
  - .args:
      - .offset:         0
        .size:           4
        .value_kind:     by_value
      - .actual_access:  read_only
        .address_space:  global
        .offset:         8
        .size:           8
        .value_kind:     global_buffer
      - .offset:         16
        .size:           8
        .value_kind:     by_value
      - .offset:         24
        .size:           4
        .value_kind:     by_value
      - .offset:         32
        .size:           8
        .value_kind:     by_value
      - .actual_access:  read_only
        .address_space:  global
        .offset:         40
        .size:           8
        .value_kind:     global_buffer
      - .offset:         48
        .size:           8
        .value_kind:     by_value
      - .offset:         56
        .size:           4
        .value_kind:     by_value
      - .offset:         64
        .size:           8
        .value_kind:     by_value
      - .offset:         72
        .size:           4
        .value_kind:     by_value
      - .actual_access:  write_only
        .address_space:  global
        .offset:         80
        .size:           8
        .value_kind:     global_buffer
    .group_segment_fixed_size: 0
    .kernarg_segment_align: 8
    .kernarg_segment_size: 88
    .language:       OpenCL C
    .language_version:
      - 2
      - 0
    .max_flat_workgroup_size: 128
    .name:           _ZL28rocblas_dot_batched_4_kernelIiLi32ELi4ELb0E19rocblas_complex_numIfES1_PKS1_EviT5_lT_lS4_lS5_liPT4_
    .private_segment_fixed_size: 0
    .sgpr_count:     22
    .sgpr_spill_count: 0
    .symbol:         _ZL28rocblas_dot_batched_4_kernelIiLi32ELi4ELb0E19rocblas_complex_numIfES1_PKS1_EviT5_lT_lS4_lS5_liPT4_.kd
    .uniform_work_group_size: 1
    .uses_dynamic_stack: false
    .vgpr_count:     20
    .vgpr_spill_count: 0
    .wavefront_size: 32
  - .args:
      - .offset:         0
        .size:           4
        .value_kind:     by_value
      - .actual_access:  read_only
        .address_space:  global
        .offset:         8
        .size:           8
        .value_kind:     global_buffer
      - .offset:         16
        .size:           8
        .value_kind:     by_value
      - .offset:         24
        .size:           4
        .value_kind:     by_value
      - .offset:         32
        .size:           8
        .value_kind:     by_value
      - .actual_access:  read_only
        .address_space:  global
        .offset:         40
        .size:           8
        .value_kind:     global_buffer
      - .offset:         48
        .size:           8
        .value_kind:     by_value
      - .offset:         56
        .size:           4
        .value_kind:     by_value
      - .offset:         64
        .size:           8
        .value_kind:     by_value
      - .offset:         72
        .size:           4
        .value_kind:     by_value
      - .actual_access:  write_only
        .address_space:  global
        .offset:         80
        .size:           8
        .value_kind:     global_buffer
    .group_segment_fixed_size: 0
    .kernarg_segment_align: 8
    .kernarg_segment_size: 88
    .language:       OpenCL C
    .language_version:
      - 2
      - 0
    .max_flat_workgroup_size: 256
    .name:           _ZL28rocblas_dot_batched_4_kernelIiLi64ELi4ELb0E19rocblas_complex_numIfES1_PKS1_EviT5_lT_lS4_lS5_liPT4_
    .private_segment_fixed_size: 0
    .sgpr_count:     22
    .sgpr_spill_count: 0
    .symbol:         _ZL28rocblas_dot_batched_4_kernelIiLi64ELi4ELb0E19rocblas_complex_numIfES1_PKS1_EviT5_lT_lS4_lS5_liPT4_.kd
    .uniform_work_group_size: 1
    .uses_dynamic_stack: false
    .vgpr_count:     20
    .vgpr_spill_count: 0
    .wavefront_size: 32
  - .args:
      - .offset:         0
        .size:           4
        .value_kind:     by_value
      - .actual_access:  read_only
        .address_space:  global
        .offset:         8
        .size:           8
        .value_kind:     global_buffer
      - .offset:         16
        .size:           8
        .value_kind:     by_value
      - .offset:         24
        .size:           8
        .value_kind:     by_value
      - .actual_access:  read_only
        .address_space:  global
        .offset:         32
        .size:           8
        .value_kind:     global_buffer
      - .offset:         40
        .size:           8
        .value_kind:     by_value
      - .offset:         48
        .size:           8
        .value_kind:     by_value
      - .offset:         56
        .size:           4
        .value_kind:     by_value
      - .actual_access:  read_only
        .address_space:  global
        .offset:         64
        .size:           8
        .value_kind:     global_buffer
      - .actual_access:  write_only
        .address_space:  global
        .offset:         72
        .size:           8
        .value_kind:     global_buffer
    .group_segment_fixed_size: 256
    .kernarg_segment_align: 8
    .kernarg_segment_size: 80
    .language:       OpenCL C
    .language_version:
      - 2
      - 0
    .max_flat_workgroup_size: 1024
    .name:           _ZL26rocblas_dot_kernel_inc1by2ILb1ELi1024ELi32ELb0E19rocblas_complex_numIfEPKS1_S1_EviT4_llS4_lliPT5_PT3_
    .private_segment_fixed_size: 0
    .sgpr_count:     24
    .sgpr_spill_count: 0
    .symbol:         _ZL26rocblas_dot_kernel_inc1by2ILb1ELi1024ELi32ELb0E19rocblas_complex_numIfEPKS1_S1_EviT4_llS4_lliPT5_PT3_.kd
    .uniform_work_group_size: 1
    .uses_dynamic_stack: false
    .vgpr_count:     26
    .vgpr_spill_count: 0
    .wavefront_size: 32
  - .args:
      - .offset:         0
        .size:           4
        .value_kind:     by_value
      - .actual_access:  read_only
        .address_space:  global
        .offset:         8
        .size:           8
        .value_kind:     global_buffer
      - .offset:         16
        .size:           8
        .value_kind:     by_value
      - .offset:         24
        .size:           4
        .value_kind:     by_value
      - .offset:         32
        .size:           8
        .value_kind:     by_value
      - .actual_access:  read_only
        .address_space:  global
        .offset:         40
        .size:           8
        .value_kind:     global_buffer
      - .offset:         48
        .size:           8
        .value_kind:     by_value
      - .offset:         56
        .size:           4
        .value_kind:     by_value
      - .offset:         64
        .size:           8
        .value_kind:     by_value
      - .offset:         72
        .size:           4
        .value_kind:     by_value
      - .actual_access:  read_only
        .address_space:  global
        .offset:         80
        .size:           8
        .value_kind:     global_buffer
      - .actual_access:  write_only
        .address_space:  global
        .offset:         88
        .size:           8
        .value_kind:     global_buffer
      - .offset:         96
        .size:           4
        .value_kind:     hidden_block_count_x
      - .offset:         100
        .size:           4
        .value_kind:     hidden_block_count_y
      - .offset:         104
        .size:           4
        .value_kind:     hidden_block_count_z
      - .offset:         108
        .size:           2
        .value_kind:     hidden_group_size_x
      - .offset:         110
        .size:           2
        .value_kind:     hidden_group_size_y
      - .offset:         112
        .size:           2
        .value_kind:     hidden_group_size_z
      - .offset:         114
        .size:           2
        .value_kind:     hidden_remainder_x
      - .offset:         116
        .size:           2
        .value_kind:     hidden_remainder_y
      - .offset:         118
        .size:           2
        .value_kind:     hidden_remainder_z
      - .offset:         136
        .size:           8
        .value_kind:     hidden_global_offset_x
      - .offset:         144
        .size:           8
        .value_kind:     hidden_global_offset_y
      - .offset:         152
        .size:           8
        .value_kind:     hidden_global_offset_z
      - .offset:         160
        .size:           2
        .value_kind:     hidden_grid_dims
    .group_segment_fixed_size: 256
    .kernarg_segment_align: 8
    .kernarg_segment_size: 352
    .language:       OpenCL C
    .language_version:
      - 2
      - 0
    .max_flat_workgroup_size: 1024
    .name:           _ZL18rocblas_dot_kernelIiLb1ELi1024ELi32ELb0E19rocblas_complex_numIfEPKS1_S1_EviT5_lT_lS4_lS5_liPT6_PT4_
    .private_segment_fixed_size: 0
    .sgpr_count:     34
    .sgpr_spill_count: 0
    .symbol:         _ZL18rocblas_dot_kernelIiLb1ELi1024ELi32ELb0E19rocblas_complex_numIfEPKS1_S1_EviT5_lT_lS4_lS5_liPT6_PT4_.kd
    .uniform_work_group_size: 1
    .uses_dynamic_stack: false
    .vgpr_count:     26
    .vgpr_spill_count: 0
    .wavefront_size: 32
  - .args:
      - .offset:         0
        .size:           4
        .value_kind:     by_value
      - .actual_access:  read_only
        .address_space:  global
        .offset:         8
        .size:           8
        .value_kind:     global_buffer
      - .offset:         16
        .size:           8
        .value_kind:     by_value
      - .offset:         24
        .size:           4
        .value_kind:     by_value
      - .offset:         32
        .size:           8
        .value_kind:     by_value
      - .offset:         40
        .size:           4
        .value_kind:     by_value
      - .actual_access:  read_only
        .address_space:  global
        .offset:         48
        .size:           8
        .value_kind:     global_buffer
      - .actual_access:  write_only
        .address_space:  global
        .offset:         56
        .size:           8
        .value_kind:     global_buffer
      - .offset:         64
        .size:           4
        .value_kind:     hidden_block_count_x
      - .offset:         68
        .size:           4
        .value_kind:     hidden_block_count_y
      - .offset:         72
        .size:           4
        .value_kind:     hidden_block_count_z
      - .offset:         76
        .size:           2
        .value_kind:     hidden_group_size_x
      - .offset:         78
        .size:           2
        .value_kind:     hidden_group_size_y
      - .offset:         80
        .size:           2
        .value_kind:     hidden_group_size_z
      - .offset:         82
        .size:           2
        .value_kind:     hidden_remainder_x
      - .offset:         84
        .size:           2
        .value_kind:     hidden_remainder_y
      - .offset:         86
        .size:           2
        .value_kind:     hidden_remainder_z
      - .offset:         104
        .size:           8
        .value_kind:     hidden_global_offset_x
      - .offset:         112
        .size:           8
        .value_kind:     hidden_global_offset_y
      - .offset:         120
        .size:           8
        .value_kind:     hidden_global_offset_z
      - .offset:         128
        .size:           2
        .value_kind:     hidden_grid_dims
    .group_segment_fixed_size: 256
    .kernarg_segment_align: 8
    .kernarg_segment_size: 320
    .language:       OpenCL C
    .language_version:
      - 2
      - 0
    .max_flat_workgroup_size: 1024
    .name:           _ZL24rocblas_dot_kernel_magsqIiLb1ELi1024ELi32ELb0E19rocblas_complex_numIfEPKS1_S1_EviT5_lT_liPT6_PT4_
    .private_segment_fixed_size: 0
    .sgpr_count:     24
    .sgpr_spill_count: 0
    .symbol:         _ZL24rocblas_dot_kernel_magsqIiLb1ELi1024ELi32ELb0E19rocblas_complex_numIfEPKS1_S1_EviT5_lT_liPT6_PT4_.kd
    .uniform_work_group_size: 1
    .uses_dynamic_stack: false
    .vgpr_count:     22
    .vgpr_spill_count: 0
    .wavefront_size: 32
  - .args:
      - .offset:         0
        .size:           4
        .value_kind:     by_value
      - .actual_access:  read_only
        .address_space:  global
        .offset:         8
        .size:           8
        .value_kind:     global_buffer
      - .offset:         16
        .size:           8
        .value_kind:     by_value
      - .offset:         24
        .size:           4
        .value_kind:     by_value
      - .offset:         32
        .size:           8
        .value_kind:     by_value
      - .actual_access:  read_only
        .address_space:  global
        .offset:         40
        .size:           8
        .value_kind:     global_buffer
      - .offset:         48
        .size:           8
        .value_kind:     by_value
      - .offset:         56
        .size:           4
        .value_kind:     by_value
      - .offset:         64
        .size:           8
        .value_kind:     by_value
      - .actual_access:  read_only
        .address_space:  global
        .offset:         72
        .size:           8
        .value_kind:     global_buffer
      - .actual_access:  read_only
        .address_space:  global
        .offset:         80
        .size:           8
        .value_kind:     global_buffer
    .group_segment_fixed_size: 0
    .kernarg_segment_align: 8
    .kernarg_segment_size: 88
    .language:       OpenCL C
    .language_version:
      - 2
      - 0
    .max_flat_workgroup_size: 1024
    .name:           _ZL38rocblas_dot_kernel_gfx942_float_doubleIiLi1024E19rocblas_complex_numIfEPKS1_S1_EviT2_lT_lS4_lS5_lPT3_PT1_
    .private_segment_fixed_size: 0
    .sgpr_count:     0
    .sgpr_spill_count: 0
    .symbol:         _ZL38rocblas_dot_kernel_gfx942_float_doubleIiLi1024E19rocblas_complex_numIfEPKS1_S1_EviT2_lT_lS4_lS5_lPT3_PT1_.kd
    .uniform_work_group_size: 1
    .uses_dynamic_stack: false
    .vgpr_count:     0
    .vgpr_spill_count: 0
    .wavefront_size: 32
  - .args:
      - .offset:         0
        .size:           4
        .value_kind:     by_value
      - .actual_access:  read_only
        .address_space:  global
        .offset:         8
        .size:           8
        .value_kind:     global_buffer
      - .actual_access:  write_only
        .address_space:  global
        .offset:         16
        .size:           8
        .value_kind:     global_buffer
    .group_segment_fixed_size: 256
    .kernarg_segment_align: 8
    .kernarg_segment_size: 24
    .language:       OpenCL C
    .language_version:
      - 2
      - 0
    .max_flat_workgroup_size: 1024
    .name:           _ZL30rocblas_reduction_kernel_part2ILi1024ELi4E25rocblas_finalize_identity19rocblas_complex_numIfES2_EviPT2_PT3_
    .private_segment_fixed_size: 0
    .sgpr_count:     18
    .sgpr_spill_count: 0
    .symbol:         _ZL30rocblas_reduction_kernel_part2ILi1024ELi4E25rocblas_finalize_identity19rocblas_complex_numIfES2_EviPT2_PT3_.kd
    .uniform_work_group_size: 1
    .uses_dynamic_stack: false
    .vgpr_count:     14
    .vgpr_spill_count: 0
    .wavefront_size: 32
  - .args:
      - .offset:         0
        .size:           4
        .value_kind:     by_value
      - .actual_access:  read_only
        .address_space:  global
        .offset:         8
        .size:           8
        .value_kind:     global_buffer
      - .offset:         16
        .size:           8
        .value_kind:     by_value
      - .offset:         24
        .size:           8
        .value_kind:     by_value
      - .actual_access:  read_only
        .address_space:  global
        .offset:         32
        .size:           8
        .value_kind:     global_buffer
      - .offset:         40
        .size:           8
        .value_kind:     by_value
      - .offset:         48
        .size:           8
        .value_kind:     by_value
      - .offset:         56
        .size:           4
        .value_kind:     by_value
      - .actual_access:  write_only
        .address_space:  global
        .offset:         64
        .size:           8
        .value_kind:     global_buffer
      - .actual_access:  write_only
        .address_space:  global
        .offset:         72
        .size:           8
        .value_kind:     global_buffer
      - .offset:         80
        .size:           4
        .value_kind:     hidden_block_count_x
      - .offset:         84
        .size:           4
        .value_kind:     hidden_block_count_y
      - .offset:         88
        .size:           4
        .value_kind:     hidden_block_count_z
      - .offset:         92
        .size:           2
        .value_kind:     hidden_group_size_x
      - .offset:         94
        .size:           2
        .value_kind:     hidden_group_size_y
      - .offset:         96
        .size:           2
        .value_kind:     hidden_group_size_z
      - .offset:         98
        .size:           2
        .value_kind:     hidden_remainder_x
      - .offset:         100
        .size:           2
        .value_kind:     hidden_remainder_y
      - .offset:         102
        .size:           2
        .value_kind:     hidden_remainder_z
      - .offset:         120
        .size:           8
        .value_kind:     hidden_global_offset_x
      - .offset:         128
        .size:           8
        .value_kind:     hidden_global_offset_y
      - .offset:         136
        .size:           8
        .value_kind:     hidden_global_offset_z
      - .offset:         144
        .size:           2
        .value_kind:     hidden_grid_dims
    .group_segment_fixed_size: 256
    .kernarg_segment_align: 8
    .kernarg_segment_size: 336
    .language:       OpenCL C
    .language_version:
      - 2
      - 0
    .max_flat_workgroup_size: 512
    .name:           _ZL23rocblas_dot_kernel_inc1ILb0ELi512ELi2ELb0E19rocblas_complex_numIfEPKS1_S1_EviT4_llS4_lliPT5_PT3_
    .private_segment_fixed_size: 0
    .sgpr_count:     34
    .sgpr_spill_count: 0
    .symbol:         _ZL23rocblas_dot_kernel_inc1ILb0ELi512ELi2ELb0E19rocblas_complex_numIfEPKS1_S1_EviT4_llS4_lliPT5_PT3_.kd
    .uniform_work_group_size: 1
    .uses_dynamic_stack: false
    .vgpr_count:     22
    .vgpr_spill_count: 0
    .wavefront_size: 32
  - .args:
      - .offset:         0
        .size:           4
        .value_kind:     by_value
      - .actual_access:  read_only
        .address_space:  global
        .offset:         8
        .size:           8
        .value_kind:     global_buffer
      - .offset:         16
        .size:           8
        .value_kind:     by_value
      - .offset:         24
        .size:           4
        .value_kind:     by_value
      - .offset:         32
        .size:           8
        .value_kind:     by_value
      - .actual_access:  read_only
        .address_space:  global
        .offset:         40
        .size:           8
        .value_kind:     global_buffer
      - .offset:         48
        .size:           8
        .value_kind:     by_value
      - .offset:         56
        .size:           4
        .value_kind:     by_value
      - .offset:         64
        .size:           8
        .value_kind:     by_value
      - .offset:         72
        .size:           4
        .value_kind:     by_value
      - .actual_access:  write_only
        .address_space:  global
        .offset:         80
        .size:           8
        .value_kind:     global_buffer
      - .actual_access:  write_only
        .address_space:  global
        .offset:         88
        .size:           8
        .value_kind:     global_buffer
      - .offset:         96
        .size:           4
        .value_kind:     hidden_block_count_x
      - .offset:         100
        .size:           4
        .value_kind:     hidden_block_count_y
      - .offset:         104
        .size:           4
        .value_kind:     hidden_block_count_z
      - .offset:         108
        .size:           2
        .value_kind:     hidden_group_size_x
      - .offset:         110
        .size:           2
        .value_kind:     hidden_group_size_y
      - .offset:         112
        .size:           2
        .value_kind:     hidden_group_size_z
      - .offset:         114
        .size:           2
        .value_kind:     hidden_remainder_x
      - .offset:         116
        .size:           2
        .value_kind:     hidden_remainder_y
      - .offset:         118
        .size:           2
        .value_kind:     hidden_remainder_z
      - .offset:         136
        .size:           8
        .value_kind:     hidden_global_offset_x
      - .offset:         144
        .size:           8
        .value_kind:     hidden_global_offset_y
      - .offset:         152
        .size:           8
        .value_kind:     hidden_global_offset_z
      - .offset:         160
        .size:           2
        .value_kind:     hidden_grid_dims
    .group_segment_fixed_size: 256
    .kernarg_segment_align: 8
    .kernarg_segment_size: 352
    .language:       OpenCL C
    .language_version:
      - 2
      - 0
    .max_flat_workgroup_size: 512
    .name:           _ZL18rocblas_dot_kernelIiLb0ELi512ELi2ELb0E19rocblas_complex_numIfEPKS1_S1_EviT5_lT_lS4_lS5_liPT6_PT4_
    .private_segment_fixed_size: 0
    .sgpr_count:     41
    .sgpr_spill_count: 0
    .symbol:         _ZL18rocblas_dot_kernelIiLb0ELi512ELi2ELb0E19rocblas_complex_numIfEPKS1_S1_EviT5_lT_lS4_lS5_liPT6_PT4_.kd
    .uniform_work_group_size: 1
    .uses_dynamic_stack: false
    .vgpr_count:     22
    .vgpr_spill_count: 0
    .wavefront_size: 32
  - .args:
      - .offset:         0
        .size:           4
        .value_kind:     by_value
      - .actual_access:  read_only
        .address_space:  global
        .offset:         8
        .size:           8
        .value_kind:     global_buffer
      - .offset:         16
        .size:           8
        .value_kind:     by_value
      - .offset:         24
        .size:           4
        .value_kind:     by_value
      - .offset:         32
        .size:           8
        .value_kind:     by_value
      - .offset:         40
        .size:           4
        .value_kind:     by_value
      - .actual_access:  write_only
        .address_space:  global
        .offset:         48
        .size:           8
        .value_kind:     global_buffer
      - .actual_access:  write_only
        .address_space:  global
        .offset:         56
        .size:           8
        .value_kind:     global_buffer
      - .offset:         64
        .size:           4
        .value_kind:     hidden_block_count_x
      - .offset:         68
        .size:           4
        .value_kind:     hidden_block_count_y
      - .offset:         72
        .size:           4
        .value_kind:     hidden_block_count_z
      - .offset:         76
        .size:           2
        .value_kind:     hidden_group_size_x
      - .offset:         78
        .size:           2
        .value_kind:     hidden_group_size_y
      - .offset:         80
        .size:           2
        .value_kind:     hidden_group_size_z
      - .offset:         82
        .size:           2
        .value_kind:     hidden_remainder_x
      - .offset:         84
        .size:           2
        .value_kind:     hidden_remainder_y
      - .offset:         86
        .size:           2
        .value_kind:     hidden_remainder_z
      - .offset:         104
        .size:           8
        .value_kind:     hidden_global_offset_x
      - .offset:         112
        .size:           8
        .value_kind:     hidden_global_offset_y
      - .offset:         120
        .size:           8
        .value_kind:     hidden_global_offset_z
      - .offset:         128
        .size:           2
        .value_kind:     hidden_grid_dims
    .group_segment_fixed_size: 256
    .kernarg_segment_align: 8
    .kernarg_segment_size: 320
    .language:       OpenCL C
    .language_version:
      - 2
      - 0
    .max_flat_workgroup_size: 512
    .name:           _ZL24rocblas_dot_kernel_magsqIiLb0ELi512ELi2ELb0E19rocblas_complex_numIfEPKS1_S1_EviT5_lT_liPT6_PT4_
    .private_segment_fixed_size: 0
    .sgpr_count:     28
    .sgpr_spill_count: 0
    .symbol:         _ZL24rocblas_dot_kernel_magsqIiLb0ELi512ELi2ELb0E19rocblas_complex_numIfEPKS1_S1_EviT5_lT_liPT6_PT4_.kd
    .uniform_work_group_size: 1
    .uses_dynamic_stack: false
    .vgpr_count:     20
    .vgpr_spill_count: 0
    .wavefront_size: 32
  - .args:
      - .offset:         0
        .size:           4
        .value_kind:     by_value
      - .actual_access:  read_only
        .address_space:  global
        .offset:         8
        .size:           8
        .value_kind:     global_buffer
      - .actual_access:  write_only
        .address_space:  global
        .offset:         16
        .size:           8
        .value_kind:     global_buffer
    .group_segment_fixed_size: 256
    .kernarg_segment_align: 8
    .kernarg_segment_size: 24
    .language:       OpenCL C
    .language_version:
      - 2
      - 0
    .max_flat_workgroup_size: 512
    .name:           _ZL30rocblas_reduction_kernel_part2ILi512ELi2E25rocblas_finalize_identity19rocblas_complex_numIfES2_EviPT2_PT3_
    .private_segment_fixed_size: 0
    .sgpr_count:     18
    .sgpr_spill_count: 0
    .symbol:         _ZL30rocblas_reduction_kernel_part2ILi512ELi2E25rocblas_finalize_identity19rocblas_complex_numIfES2_EviPT2_PT3_.kd
    .uniform_work_group_size: 1
    .uses_dynamic_stack: false
    .vgpr_count:     11
    .vgpr_spill_count: 0
    .wavefront_size: 32
  - .args:
      - .offset:         0
        .size:           4
        .value_kind:     by_value
      - .actual_access:  read_only
        .address_space:  global
        .offset:         8
        .size:           8
        .value_kind:     global_buffer
      - .offset:         16
        .size:           8
        .value_kind:     by_value
      - .offset:         24
        .size:           4
        .value_kind:     by_value
      - .offset:         32
        .size:           8
        .value_kind:     by_value
      - .actual_access:  read_only
        .address_space:  global
        .offset:         40
        .size:           8
        .value_kind:     global_buffer
      - .offset:         48
        .size:           8
        .value_kind:     by_value
      - .offset:         56
        .size:           4
        .value_kind:     by_value
      - .offset:         64
        .size:           8
        .value_kind:     by_value
      - .offset:         72
        .size:           4
        .value_kind:     by_value
      - .actual_access:  write_only
        .address_space:  global
        .offset:         80
        .size:           8
        .value_kind:     global_buffer
    .group_segment_fixed_size: 0
    .kernarg_segment_align: 8
    .kernarg_segment_size: 88
    .language:       OpenCL C
    .language_version:
      - 2
      - 0
    .max_flat_workgroup_size: 128
    .name:           _ZL28rocblas_dot_batched_4_kernelIiLi32ELi4ELb0E19rocblas_complex_numIdES1_PKS1_EviT5_lT_lS4_lS5_liPT4_
    .private_segment_fixed_size: 0
    .sgpr_count:     21
    .sgpr_spill_count: 0
    .symbol:         _ZL28rocblas_dot_batched_4_kernelIiLi32ELi4ELb0E19rocblas_complex_numIdES1_PKS1_EviT5_lT_lS4_lS5_liPT4_.kd
    .uniform_work_group_size: 1
    .uses_dynamic_stack: false
    .vgpr_count:     22
    .vgpr_spill_count: 0
    .wavefront_size: 32
  - .args:
      - .offset:         0
        .size:           4
        .value_kind:     by_value
      - .actual_access:  read_only
        .address_space:  global
        .offset:         8
        .size:           8
        .value_kind:     global_buffer
      - .offset:         16
        .size:           8
        .value_kind:     by_value
      - .offset:         24
        .size:           4
        .value_kind:     by_value
      - .offset:         32
        .size:           8
        .value_kind:     by_value
      - .actual_access:  read_only
        .address_space:  global
        .offset:         40
        .size:           8
        .value_kind:     global_buffer
      - .offset:         48
        .size:           8
        .value_kind:     by_value
      - .offset:         56
        .size:           4
        .value_kind:     by_value
      - .offset:         64
        .size:           8
        .value_kind:     by_value
      - .offset:         72
        .size:           4
        .value_kind:     by_value
      - .actual_access:  write_only
        .address_space:  global
        .offset:         80
        .size:           8
        .value_kind:     global_buffer
    .group_segment_fixed_size: 0
    .kernarg_segment_align: 8
    .kernarg_segment_size: 88
    .language:       OpenCL C
    .language_version:
      - 2
      - 0
    .max_flat_workgroup_size: 256
    .name:           _ZL28rocblas_dot_batched_4_kernelIiLi64ELi4ELb0E19rocblas_complex_numIdES1_PKS1_EviT5_lT_lS4_lS5_liPT4_
    .private_segment_fixed_size: 0
    .sgpr_count:     21
    .sgpr_spill_count: 0
    .symbol:         _ZL28rocblas_dot_batched_4_kernelIiLi64ELi4ELb0E19rocblas_complex_numIdES1_PKS1_EviT5_lT_lS4_lS5_liPT4_.kd
    .uniform_work_group_size: 1
    .uses_dynamic_stack: false
    .vgpr_count:     22
    .vgpr_spill_count: 0
    .wavefront_size: 32
  - .args:
      - .offset:         0
        .size:           4
        .value_kind:     by_value
      - .actual_access:  read_only
        .address_space:  global
        .offset:         8
        .size:           8
        .value_kind:     global_buffer
      - .offset:         16
        .size:           8
        .value_kind:     by_value
      - .offset:         24
        .size:           8
        .value_kind:     by_value
      - .actual_access:  read_only
        .address_space:  global
        .offset:         32
        .size:           8
        .value_kind:     global_buffer
      - .offset:         40
        .size:           8
        .value_kind:     by_value
      - .offset:         48
        .size:           8
        .value_kind:     by_value
      - .offset:         56
        .size:           4
        .value_kind:     by_value
      - .actual_access:  read_only
        .address_space:  global
        .offset:         64
        .size:           8
        .value_kind:     global_buffer
      - .actual_access:  write_only
        .address_space:  global
        .offset:         72
        .size:           8
        .value_kind:     global_buffer
    .group_segment_fixed_size: 512
    .kernarg_segment_align: 8
    .kernarg_segment_size: 80
    .language:       OpenCL C
    .language_version:
      - 2
      - 0
    .max_flat_workgroup_size: 1024
    .name:           _ZL26rocblas_dot_kernel_inc1by2ILb1ELi1024ELi32ELb0E19rocblas_complex_numIdEPKS1_S1_EviT4_llS4_lliPT5_PT3_
    .private_segment_fixed_size: 0
    .sgpr_count:     24
    .sgpr_spill_count: 0
    .symbol:         _ZL26rocblas_dot_kernel_inc1by2ILb1ELi1024ELi32ELb0E19rocblas_complex_numIdEPKS1_S1_EviT4_llS4_lliPT5_PT3_.kd
    .uniform_work_group_size: 1
    .uses_dynamic_stack: false
    .vgpr_count:     30
    .vgpr_spill_count: 0
    .wavefront_size: 32
  - .args:
      - .offset:         0
        .size:           4
        .value_kind:     by_value
      - .actual_access:  read_only
        .address_space:  global
        .offset:         8
        .size:           8
        .value_kind:     global_buffer
      - .offset:         16
        .size:           8
        .value_kind:     by_value
      - .offset:         24
        .size:           4
        .value_kind:     by_value
      - .offset:         32
        .size:           8
        .value_kind:     by_value
      - .actual_access:  read_only
        .address_space:  global
        .offset:         40
        .size:           8
        .value_kind:     global_buffer
      - .offset:         48
        .size:           8
        .value_kind:     by_value
      - .offset:         56
        .size:           4
        .value_kind:     by_value
      - .offset:         64
        .size:           8
        .value_kind:     by_value
      - .offset:         72
        .size:           4
        .value_kind:     by_value
      - .actual_access:  read_only
        .address_space:  global
        .offset:         80
        .size:           8
        .value_kind:     global_buffer
      - .actual_access:  write_only
        .address_space:  global
        .offset:         88
        .size:           8
        .value_kind:     global_buffer
      - .offset:         96
        .size:           4
        .value_kind:     hidden_block_count_x
      - .offset:         100
        .size:           4
        .value_kind:     hidden_block_count_y
      - .offset:         104
        .size:           4
        .value_kind:     hidden_block_count_z
      - .offset:         108
        .size:           2
        .value_kind:     hidden_group_size_x
      - .offset:         110
        .size:           2
        .value_kind:     hidden_group_size_y
      - .offset:         112
        .size:           2
        .value_kind:     hidden_group_size_z
      - .offset:         114
        .size:           2
        .value_kind:     hidden_remainder_x
      - .offset:         116
        .size:           2
        .value_kind:     hidden_remainder_y
      - .offset:         118
        .size:           2
        .value_kind:     hidden_remainder_z
      - .offset:         136
        .size:           8
        .value_kind:     hidden_global_offset_x
      - .offset:         144
        .size:           8
        .value_kind:     hidden_global_offset_y
      - .offset:         152
        .size:           8
        .value_kind:     hidden_global_offset_z
      - .offset:         160
        .size:           2
        .value_kind:     hidden_grid_dims
    .group_segment_fixed_size: 512
    .kernarg_segment_align: 8
    .kernarg_segment_size: 352
    .language:       OpenCL C
    .language_version:
      - 2
      - 0
    .max_flat_workgroup_size: 1024
    .name:           _ZL18rocblas_dot_kernelIiLb1ELi1024ELi32ELb0E19rocblas_complex_numIdEPKS1_S1_EviT5_lT_lS4_lS5_liPT6_PT4_
    .private_segment_fixed_size: 0
    .sgpr_count:     34
    .sgpr_spill_count: 0
    .symbol:         _ZL18rocblas_dot_kernelIiLb1ELi1024ELi32ELb0E19rocblas_complex_numIdEPKS1_S1_EviT5_lT_lS4_lS5_liPT6_PT4_.kd
    .uniform_work_group_size: 1
    .uses_dynamic_stack: false
    .vgpr_count:     28
    .vgpr_spill_count: 0
    .wavefront_size: 32
  - .args:
      - .offset:         0
        .size:           4
        .value_kind:     by_value
      - .actual_access:  read_only
        .address_space:  global
        .offset:         8
        .size:           8
        .value_kind:     global_buffer
      - .offset:         16
        .size:           8
        .value_kind:     by_value
      - .offset:         24
        .size:           4
        .value_kind:     by_value
      - .offset:         32
        .size:           8
        .value_kind:     by_value
      - .offset:         40
        .size:           4
        .value_kind:     by_value
      - .actual_access:  read_only
        .address_space:  global
        .offset:         48
        .size:           8
        .value_kind:     global_buffer
      - .actual_access:  write_only
        .address_space:  global
        .offset:         56
        .size:           8
        .value_kind:     global_buffer
      - .offset:         64
        .size:           4
        .value_kind:     hidden_block_count_x
      - .offset:         68
        .size:           4
        .value_kind:     hidden_block_count_y
      - .offset:         72
        .size:           4
        .value_kind:     hidden_block_count_z
      - .offset:         76
        .size:           2
        .value_kind:     hidden_group_size_x
      - .offset:         78
        .size:           2
        .value_kind:     hidden_group_size_y
      - .offset:         80
        .size:           2
        .value_kind:     hidden_group_size_z
      - .offset:         82
        .size:           2
        .value_kind:     hidden_remainder_x
      - .offset:         84
        .size:           2
        .value_kind:     hidden_remainder_y
      - .offset:         86
        .size:           2
        .value_kind:     hidden_remainder_z
      - .offset:         104
        .size:           8
        .value_kind:     hidden_global_offset_x
      - .offset:         112
        .size:           8
        .value_kind:     hidden_global_offset_y
      - .offset:         120
        .size:           8
        .value_kind:     hidden_global_offset_z
      - .offset:         128
        .size:           2
        .value_kind:     hidden_grid_dims
    .group_segment_fixed_size: 512
    .kernarg_segment_align: 8
    .kernarg_segment_size: 320
    .language:       OpenCL C
    .language_version:
      - 2
      - 0
    .max_flat_workgroup_size: 1024
    .name:           _ZL24rocblas_dot_kernel_magsqIiLb1ELi1024ELi32ELb0E19rocblas_complex_numIdEPKS1_S1_EviT5_lT_liPT6_PT4_
    .private_segment_fixed_size: 0
    .sgpr_count:     24
    .sgpr_spill_count: 0
    .symbol:         _ZL24rocblas_dot_kernel_magsqIiLb1ELi1024ELi32ELb0E19rocblas_complex_numIdEPKS1_S1_EviT5_lT_liPT6_PT4_.kd
    .uniform_work_group_size: 1
    .uses_dynamic_stack: false
    .vgpr_count:     22
    .vgpr_spill_count: 0
    .wavefront_size: 32
  - .args:
      - .offset:         0
        .size:           4
        .value_kind:     by_value
      - .actual_access:  read_only
        .address_space:  global
        .offset:         8
        .size:           8
        .value_kind:     global_buffer
      - .offset:         16
        .size:           8
        .value_kind:     by_value
      - .offset:         24
        .size:           4
        .value_kind:     by_value
      - .offset:         32
        .size:           8
        .value_kind:     by_value
      - .actual_access:  read_only
        .address_space:  global
        .offset:         40
        .size:           8
        .value_kind:     global_buffer
      - .offset:         48
        .size:           8
        .value_kind:     by_value
      - .offset:         56
        .size:           4
        .value_kind:     by_value
      - .offset:         64
        .size:           8
        .value_kind:     by_value
      - .actual_access:  read_only
        .address_space:  global
        .offset:         72
        .size:           8
        .value_kind:     global_buffer
      - .actual_access:  read_only
        .address_space:  global
        .offset:         80
        .size:           8
        .value_kind:     global_buffer
    .group_segment_fixed_size: 0
    .kernarg_segment_align: 8
    .kernarg_segment_size: 88
    .language:       OpenCL C
    .language_version:
      - 2
      - 0
    .max_flat_workgroup_size: 1024
    .name:           _ZL38rocblas_dot_kernel_gfx942_float_doubleIiLi1024E19rocblas_complex_numIdEPKS1_S1_EviT2_lT_lS4_lS5_lPT3_PT1_
    .private_segment_fixed_size: 0
    .sgpr_count:     0
    .sgpr_spill_count: 0
    .symbol:         _ZL38rocblas_dot_kernel_gfx942_float_doubleIiLi1024E19rocblas_complex_numIdEPKS1_S1_EviT2_lT_lS4_lS5_lPT3_PT1_.kd
    .uniform_work_group_size: 1
    .uses_dynamic_stack: false
    .vgpr_count:     0
    .vgpr_spill_count: 0
    .wavefront_size: 32
  - .args:
      - .offset:         0
        .size:           4
        .value_kind:     by_value
      - .actual_access:  read_only
        .address_space:  global
        .offset:         8
        .size:           8
        .value_kind:     global_buffer
      - .actual_access:  write_only
        .address_space:  global
        .offset:         16
        .size:           8
        .value_kind:     global_buffer
    .group_segment_fixed_size: 512
    .kernarg_segment_align: 8
    .kernarg_segment_size: 24
    .language:       OpenCL C
    .language_version:
      - 2
      - 0
    .max_flat_workgroup_size: 1024
    .name:           _ZL30rocblas_reduction_kernel_part2ILi1024ELi4E25rocblas_finalize_identity19rocblas_complex_numIdES2_EviPT2_PT3_
    .private_segment_fixed_size: 0
    .sgpr_count:     18
    .sgpr_spill_count: 0
    .symbol:         _ZL30rocblas_reduction_kernel_part2ILi1024ELi4E25rocblas_finalize_identity19rocblas_complex_numIdES2_EviPT2_PT3_.kd
    .uniform_work_group_size: 1
    .uses_dynamic_stack: false
    .vgpr_count:     24
    .vgpr_spill_count: 0
    .wavefront_size: 32
  - .args:
      - .offset:         0
        .size:           4
        .value_kind:     by_value
      - .actual_access:  read_only
        .address_space:  global
        .offset:         8
        .size:           8
        .value_kind:     global_buffer
      - .offset:         16
        .size:           8
        .value_kind:     by_value
      - .offset:         24
        .size:           8
        .value_kind:     by_value
      - .actual_access:  read_only
        .address_space:  global
        .offset:         32
        .size:           8
        .value_kind:     global_buffer
      - .offset:         40
        .size:           8
        .value_kind:     by_value
      - .offset:         48
        .size:           8
        .value_kind:     by_value
      - .offset:         56
        .size:           4
        .value_kind:     by_value
      - .actual_access:  write_only
        .address_space:  global
        .offset:         64
        .size:           8
        .value_kind:     global_buffer
      - .actual_access:  write_only
        .address_space:  global
        .offset:         72
        .size:           8
        .value_kind:     global_buffer
      - .offset:         80
        .size:           4
        .value_kind:     hidden_block_count_x
      - .offset:         84
        .size:           4
        .value_kind:     hidden_block_count_y
      - .offset:         88
        .size:           4
        .value_kind:     hidden_block_count_z
      - .offset:         92
        .size:           2
        .value_kind:     hidden_group_size_x
      - .offset:         94
        .size:           2
        .value_kind:     hidden_group_size_y
      - .offset:         96
        .size:           2
        .value_kind:     hidden_group_size_z
      - .offset:         98
        .size:           2
        .value_kind:     hidden_remainder_x
      - .offset:         100
        .size:           2
        .value_kind:     hidden_remainder_y
      - .offset:         102
        .size:           2
        .value_kind:     hidden_remainder_z
      - .offset:         120
        .size:           8
        .value_kind:     hidden_global_offset_x
      - .offset:         128
        .size:           8
        .value_kind:     hidden_global_offset_y
      - .offset:         136
        .size:           8
        .value_kind:     hidden_global_offset_z
      - .offset:         144
        .size:           2
        .value_kind:     hidden_grid_dims
    .group_segment_fixed_size: 512
    .kernarg_segment_align: 8
    .kernarg_segment_size: 336
    .language:       OpenCL C
    .language_version:
      - 2
      - 0
    .max_flat_workgroup_size: 512
    .name:           _ZL23rocblas_dot_kernel_inc1ILb0ELi512ELi2ELb0E19rocblas_complex_numIdEPKS1_S1_EviT4_llS4_lliPT5_PT3_
    .private_segment_fixed_size: 0
    .sgpr_count:     38
    .sgpr_spill_count: 0
    .symbol:         _ZL23rocblas_dot_kernel_inc1ILb0ELi512ELi2ELb0E19rocblas_complex_numIdEPKS1_S1_EviT4_llS4_lliPT5_PT3_.kd
    .uniform_work_group_size: 1
    .uses_dynamic_stack: false
    .vgpr_count:     28
    .vgpr_spill_count: 0
    .wavefront_size: 32
  - .args:
      - .offset:         0
        .size:           4
        .value_kind:     by_value
      - .actual_access:  read_only
        .address_space:  global
        .offset:         8
        .size:           8
        .value_kind:     global_buffer
      - .offset:         16
        .size:           8
        .value_kind:     by_value
      - .offset:         24
        .size:           4
        .value_kind:     by_value
      - .offset:         32
        .size:           8
        .value_kind:     by_value
      - .actual_access:  read_only
        .address_space:  global
        .offset:         40
        .size:           8
        .value_kind:     global_buffer
      - .offset:         48
        .size:           8
        .value_kind:     by_value
      - .offset:         56
        .size:           4
        .value_kind:     by_value
      - .offset:         64
        .size:           8
        .value_kind:     by_value
      - .offset:         72
        .size:           4
        .value_kind:     by_value
      - .actual_access:  write_only
        .address_space:  global
        .offset:         80
        .size:           8
        .value_kind:     global_buffer
      - .actual_access:  write_only
        .address_space:  global
        .offset:         88
        .size:           8
        .value_kind:     global_buffer
      - .offset:         96
        .size:           4
        .value_kind:     hidden_block_count_x
      - .offset:         100
        .size:           4
        .value_kind:     hidden_block_count_y
      - .offset:         104
        .size:           4
        .value_kind:     hidden_block_count_z
      - .offset:         108
        .size:           2
        .value_kind:     hidden_group_size_x
      - .offset:         110
        .size:           2
        .value_kind:     hidden_group_size_y
      - .offset:         112
        .size:           2
        .value_kind:     hidden_group_size_z
      - .offset:         114
        .size:           2
        .value_kind:     hidden_remainder_x
      - .offset:         116
        .size:           2
        .value_kind:     hidden_remainder_y
      - .offset:         118
        .size:           2
        .value_kind:     hidden_remainder_z
      - .offset:         136
        .size:           8
        .value_kind:     hidden_global_offset_x
      - .offset:         144
        .size:           8
        .value_kind:     hidden_global_offset_y
      - .offset:         152
        .size:           8
        .value_kind:     hidden_global_offset_z
      - .offset:         160
        .size:           2
        .value_kind:     hidden_grid_dims
    .group_segment_fixed_size: 512
    .kernarg_segment_align: 8
    .kernarg_segment_size: 352
    .language:       OpenCL C
    .language_version:
      - 2
      - 0
    .max_flat_workgroup_size: 512
    .name:           _ZL18rocblas_dot_kernelIiLb0ELi512ELi2ELb0E19rocblas_complex_numIdEPKS1_S1_EviT5_lT_lS4_lS5_liPT6_PT4_
    .private_segment_fixed_size: 0
    .sgpr_count:     41
    .sgpr_spill_count: 0
    .symbol:         _ZL18rocblas_dot_kernelIiLb0ELi512ELi2ELb0E19rocblas_complex_numIdEPKS1_S1_EviT5_lT_lS4_lS5_liPT6_PT4_.kd
    .uniform_work_group_size: 1
    .uses_dynamic_stack: false
    .vgpr_count:     28
    .vgpr_spill_count: 0
    .wavefront_size: 32
  - .args:
      - .offset:         0
        .size:           4
        .value_kind:     by_value
      - .actual_access:  read_only
        .address_space:  global
        .offset:         8
        .size:           8
        .value_kind:     global_buffer
      - .offset:         16
        .size:           8
        .value_kind:     by_value
      - .offset:         24
        .size:           4
        .value_kind:     by_value
      - .offset:         32
        .size:           8
        .value_kind:     by_value
      - .offset:         40
        .size:           4
        .value_kind:     by_value
      - .actual_access:  write_only
        .address_space:  global
        .offset:         48
        .size:           8
        .value_kind:     global_buffer
      - .actual_access:  write_only
        .address_space:  global
        .offset:         56
        .size:           8
        .value_kind:     global_buffer
      - .offset:         64
        .size:           4
        .value_kind:     hidden_block_count_x
      - .offset:         68
        .size:           4
        .value_kind:     hidden_block_count_y
      - .offset:         72
        .size:           4
        .value_kind:     hidden_block_count_z
      - .offset:         76
        .size:           2
        .value_kind:     hidden_group_size_x
      - .offset:         78
        .size:           2
        .value_kind:     hidden_group_size_y
      - .offset:         80
        .size:           2
        .value_kind:     hidden_group_size_z
      - .offset:         82
        .size:           2
        .value_kind:     hidden_remainder_x
      - .offset:         84
        .size:           2
        .value_kind:     hidden_remainder_y
      - .offset:         86
        .size:           2
        .value_kind:     hidden_remainder_z
      - .offset:         104
        .size:           8
        .value_kind:     hidden_global_offset_x
      - .offset:         112
        .size:           8
        .value_kind:     hidden_global_offset_y
      - .offset:         120
        .size:           8
        .value_kind:     hidden_global_offset_z
      - .offset:         128
        .size:           2
        .value_kind:     hidden_grid_dims
    .group_segment_fixed_size: 512
    .kernarg_segment_align: 8
    .kernarg_segment_size: 320
    .language:       OpenCL C
    .language_version:
      - 2
      - 0
    .max_flat_workgroup_size: 512
    .name:           _ZL24rocblas_dot_kernel_magsqIiLb0ELi512ELi2ELb0E19rocblas_complex_numIdEPKS1_S1_EviT5_lT_liPT6_PT4_
    .private_segment_fixed_size: 0
    .sgpr_count:     28
    .sgpr_spill_count: 0
    .symbol:         _ZL24rocblas_dot_kernel_magsqIiLb0ELi512ELi2ELb0E19rocblas_complex_numIdEPKS1_S1_EviT5_lT_liPT6_PT4_.kd
    .uniform_work_group_size: 1
    .uses_dynamic_stack: false
    .vgpr_count:     24
    .vgpr_spill_count: 0
    .wavefront_size: 32
  - .args:
      - .offset:         0
        .size:           4
        .value_kind:     by_value
      - .actual_access:  read_only
        .address_space:  global
        .offset:         8
        .size:           8
        .value_kind:     global_buffer
      - .actual_access:  write_only
        .address_space:  global
        .offset:         16
        .size:           8
        .value_kind:     global_buffer
    .group_segment_fixed_size: 512
    .kernarg_segment_align: 8
    .kernarg_segment_size: 24
    .language:       OpenCL C
    .language_version:
      - 2
      - 0
    .max_flat_workgroup_size: 512
    .name:           _ZL30rocblas_reduction_kernel_part2ILi512ELi2E25rocblas_finalize_identity19rocblas_complex_numIdES2_EviPT2_PT3_
    .private_segment_fixed_size: 0
    .sgpr_count:     18
    .sgpr_spill_count: 0
    .symbol:         _ZL30rocblas_reduction_kernel_part2ILi512ELi2E25rocblas_finalize_identity19rocblas_complex_numIdES2_EviPT2_PT3_.kd
    .uniform_work_group_size: 1
    .uses_dynamic_stack: false
    .vgpr_count:     16
    .vgpr_spill_count: 0
    .wavefront_size: 32
  - .args:
      - .offset:         0
        .size:           4
        .value_kind:     by_value
      - .actual_access:  read_only
        .address_space:  global
        .offset:         8
        .size:           8
        .value_kind:     global_buffer
      - .offset:         16
        .size:           8
        .value_kind:     by_value
      - .offset:         24
        .size:           4
        .value_kind:     by_value
      - .offset:         32
        .size:           8
        .value_kind:     by_value
      - .actual_access:  read_only
        .address_space:  global
        .offset:         40
        .size:           8
        .value_kind:     global_buffer
      - .offset:         48
        .size:           8
        .value_kind:     by_value
      - .offset:         56
        .size:           4
        .value_kind:     by_value
      - .offset:         64
        .size:           8
        .value_kind:     by_value
      - .offset:         72
        .size:           4
        .value_kind:     by_value
      - .actual_access:  write_only
        .address_space:  global
        .offset:         80
        .size:           8
        .value_kind:     global_buffer
    .group_segment_fixed_size: 0
    .kernarg_segment_align: 8
    .kernarg_segment_size: 88
    .language:       OpenCL C
    .language_version:
      - 2
      - 0
    .max_flat_workgroup_size: 128
    .name:           _ZL28rocblas_dot_batched_4_kernelIiLi32ELi4ELb1E19rocblas_complex_numIfES1_PKS1_EviT5_lT_lS4_lS5_liPT4_
    .private_segment_fixed_size: 0
    .sgpr_count:     21
    .sgpr_spill_count: 0
    .symbol:         _ZL28rocblas_dot_batched_4_kernelIiLi32ELi4ELb1E19rocblas_complex_numIfES1_PKS1_EviT5_lT_lS4_lS5_liPT4_.kd
    .uniform_work_group_size: 1
    .uses_dynamic_stack: false
    .vgpr_count:     20
    .vgpr_spill_count: 0
    .wavefront_size: 32
  - .args:
      - .offset:         0
        .size:           4
        .value_kind:     by_value
      - .actual_access:  read_only
        .address_space:  global
        .offset:         8
        .size:           8
        .value_kind:     global_buffer
      - .offset:         16
        .size:           8
        .value_kind:     by_value
      - .offset:         24
        .size:           4
        .value_kind:     by_value
      - .offset:         32
        .size:           8
        .value_kind:     by_value
      - .actual_access:  read_only
        .address_space:  global
        .offset:         40
        .size:           8
        .value_kind:     global_buffer
      - .offset:         48
        .size:           8
        .value_kind:     by_value
      - .offset:         56
        .size:           4
        .value_kind:     by_value
      - .offset:         64
        .size:           8
        .value_kind:     by_value
      - .offset:         72
        .size:           4
        .value_kind:     by_value
      - .actual_access:  write_only
        .address_space:  global
        .offset:         80
        .size:           8
        .value_kind:     global_buffer
    .group_segment_fixed_size: 0
    .kernarg_segment_align: 8
    .kernarg_segment_size: 88
    .language:       OpenCL C
    .language_version:
      - 2
      - 0
    .max_flat_workgroup_size: 256
    .name:           _ZL28rocblas_dot_batched_4_kernelIiLi64ELi4ELb1E19rocblas_complex_numIfES1_PKS1_EviT5_lT_lS4_lS5_liPT4_
    .private_segment_fixed_size: 0
    .sgpr_count:     21
    .sgpr_spill_count: 0
    .symbol:         _ZL28rocblas_dot_batched_4_kernelIiLi64ELi4ELb1E19rocblas_complex_numIfES1_PKS1_EviT5_lT_lS4_lS5_liPT4_.kd
    .uniform_work_group_size: 1
    .uses_dynamic_stack: false
    .vgpr_count:     20
    .vgpr_spill_count: 0
    .wavefront_size: 32
  - .args:
      - .offset:         0
        .size:           4
        .value_kind:     by_value
      - .actual_access:  read_only
        .address_space:  global
        .offset:         8
        .size:           8
        .value_kind:     global_buffer
      - .offset:         16
        .size:           8
        .value_kind:     by_value
      - .offset:         24
        .size:           8
        .value_kind:     by_value
      - .actual_access:  read_only
        .address_space:  global
        .offset:         32
        .size:           8
        .value_kind:     global_buffer
      - .offset:         40
        .size:           8
        .value_kind:     by_value
      - .offset:         48
        .size:           8
        .value_kind:     by_value
      - .offset:         56
        .size:           4
        .value_kind:     by_value
      - .actual_access:  read_only
        .address_space:  global
        .offset:         64
        .size:           8
        .value_kind:     global_buffer
      - .actual_access:  write_only
        .address_space:  global
        .offset:         72
        .size:           8
        .value_kind:     global_buffer
    .group_segment_fixed_size: 256
    .kernarg_segment_align: 8
    .kernarg_segment_size: 80
    .language:       OpenCL C
    .language_version:
      - 2
      - 0
    .max_flat_workgroup_size: 1024
    .name:           _ZL26rocblas_dot_kernel_inc1by2ILb1ELi1024ELi32ELb1E19rocblas_complex_numIfEPKS1_S1_EviT4_llS4_lliPT5_PT3_
    .private_segment_fixed_size: 0
    .sgpr_count:     24
    .sgpr_spill_count: 0
    .symbol:         _ZL26rocblas_dot_kernel_inc1by2ILb1ELi1024ELi32ELb1E19rocblas_complex_numIfEPKS1_S1_EviT4_llS4_lliPT5_PT3_.kd
    .uniform_work_group_size: 1
    .uses_dynamic_stack: false
    .vgpr_count:     26
    .vgpr_spill_count: 0
    .wavefront_size: 32
  - .args:
      - .offset:         0
        .size:           4
        .value_kind:     by_value
      - .actual_access:  read_only
        .address_space:  global
        .offset:         8
        .size:           8
        .value_kind:     global_buffer
      - .offset:         16
        .size:           8
        .value_kind:     by_value
      - .offset:         24
        .size:           4
        .value_kind:     by_value
      - .offset:         32
        .size:           8
        .value_kind:     by_value
      - .actual_access:  read_only
        .address_space:  global
        .offset:         40
        .size:           8
        .value_kind:     global_buffer
      - .offset:         48
        .size:           8
        .value_kind:     by_value
      - .offset:         56
        .size:           4
        .value_kind:     by_value
      - .offset:         64
        .size:           8
        .value_kind:     by_value
      - .offset:         72
        .size:           4
        .value_kind:     by_value
      - .actual_access:  read_only
        .address_space:  global
        .offset:         80
        .size:           8
        .value_kind:     global_buffer
      - .actual_access:  write_only
        .address_space:  global
        .offset:         88
        .size:           8
        .value_kind:     global_buffer
      - .offset:         96
        .size:           4
        .value_kind:     hidden_block_count_x
      - .offset:         100
        .size:           4
        .value_kind:     hidden_block_count_y
      - .offset:         104
        .size:           4
        .value_kind:     hidden_block_count_z
      - .offset:         108
        .size:           2
        .value_kind:     hidden_group_size_x
      - .offset:         110
        .size:           2
        .value_kind:     hidden_group_size_y
      - .offset:         112
        .size:           2
        .value_kind:     hidden_group_size_z
      - .offset:         114
        .size:           2
        .value_kind:     hidden_remainder_x
      - .offset:         116
        .size:           2
        .value_kind:     hidden_remainder_y
      - .offset:         118
        .size:           2
        .value_kind:     hidden_remainder_z
      - .offset:         136
        .size:           8
        .value_kind:     hidden_global_offset_x
      - .offset:         144
        .size:           8
        .value_kind:     hidden_global_offset_y
      - .offset:         152
        .size:           8
        .value_kind:     hidden_global_offset_z
      - .offset:         160
        .size:           2
        .value_kind:     hidden_grid_dims
    .group_segment_fixed_size: 256
    .kernarg_segment_align: 8
    .kernarg_segment_size: 352
    .language:       OpenCL C
    .language_version:
      - 2
      - 0
    .max_flat_workgroup_size: 1024
    .name:           _ZL18rocblas_dot_kernelIiLb1ELi1024ELi32ELb1E19rocblas_complex_numIfEPKS1_S1_EviT5_lT_lS4_lS5_liPT6_PT4_
    .private_segment_fixed_size: 0
    .sgpr_count:     34
    .sgpr_spill_count: 0
    .symbol:         _ZL18rocblas_dot_kernelIiLb1ELi1024ELi32ELb1E19rocblas_complex_numIfEPKS1_S1_EviT5_lT_lS4_lS5_liPT6_PT4_.kd
    .uniform_work_group_size: 1
    .uses_dynamic_stack: false
    .vgpr_count:     26
    .vgpr_spill_count: 0
    .wavefront_size: 32
  - .args:
      - .offset:         0
        .size:           4
        .value_kind:     by_value
      - .actual_access:  read_only
        .address_space:  global
        .offset:         8
        .size:           8
        .value_kind:     global_buffer
      - .offset:         16
        .size:           8
        .value_kind:     by_value
      - .offset:         24
        .size:           4
        .value_kind:     by_value
      - .offset:         32
        .size:           8
        .value_kind:     by_value
      - .offset:         40
        .size:           4
        .value_kind:     by_value
      - .actual_access:  read_only
        .address_space:  global
        .offset:         48
        .size:           8
        .value_kind:     global_buffer
      - .actual_access:  write_only
        .address_space:  global
        .offset:         56
        .size:           8
        .value_kind:     global_buffer
      - .offset:         64
        .size:           4
        .value_kind:     hidden_block_count_x
      - .offset:         68
        .size:           4
        .value_kind:     hidden_block_count_y
      - .offset:         72
        .size:           4
        .value_kind:     hidden_block_count_z
      - .offset:         76
        .size:           2
        .value_kind:     hidden_group_size_x
      - .offset:         78
        .size:           2
        .value_kind:     hidden_group_size_y
      - .offset:         80
        .size:           2
        .value_kind:     hidden_group_size_z
      - .offset:         82
        .size:           2
        .value_kind:     hidden_remainder_x
      - .offset:         84
        .size:           2
        .value_kind:     hidden_remainder_y
      - .offset:         86
        .size:           2
        .value_kind:     hidden_remainder_z
      - .offset:         104
        .size:           8
        .value_kind:     hidden_global_offset_x
      - .offset:         112
        .size:           8
        .value_kind:     hidden_global_offset_y
      - .offset:         120
        .size:           8
        .value_kind:     hidden_global_offset_z
      - .offset:         128
        .size:           2
        .value_kind:     hidden_grid_dims
    .group_segment_fixed_size: 256
    .kernarg_segment_align: 8
    .kernarg_segment_size: 320
    .language:       OpenCL C
    .language_version:
      - 2
      - 0
    .max_flat_workgroup_size: 1024
    .name:           _ZL24rocblas_dot_kernel_magsqIiLb1ELi1024ELi32ELb1E19rocblas_complex_numIfEPKS1_S1_EviT5_lT_liPT6_PT4_
    .private_segment_fixed_size: 0
    .sgpr_count:     24
    .sgpr_spill_count: 0
    .symbol:         _ZL24rocblas_dot_kernel_magsqIiLb1ELi1024ELi32ELb1E19rocblas_complex_numIfEPKS1_S1_EviT5_lT_liPT6_PT4_.kd
    .uniform_work_group_size: 1
    .uses_dynamic_stack: false
    .vgpr_count:     22
    .vgpr_spill_count: 0
    .wavefront_size: 32
  - .args:
      - .offset:         0
        .size:           4
        .value_kind:     by_value
      - .actual_access:  read_only
        .address_space:  global
        .offset:         8
        .size:           8
        .value_kind:     global_buffer
      - .offset:         16
        .size:           8
        .value_kind:     by_value
      - .offset:         24
        .size:           8
        .value_kind:     by_value
      - .actual_access:  read_only
        .address_space:  global
        .offset:         32
        .size:           8
        .value_kind:     global_buffer
      - .offset:         40
        .size:           8
        .value_kind:     by_value
      - .offset:         48
        .size:           8
        .value_kind:     by_value
      - .offset:         56
        .size:           4
        .value_kind:     by_value
      - .actual_access:  write_only
        .address_space:  global
        .offset:         64
        .size:           8
        .value_kind:     global_buffer
      - .actual_access:  write_only
        .address_space:  global
        .offset:         72
        .size:           8
        .value_kind:     global_buffer
      - .offset:         80
        .size:           4
        .value_kind:     hidden_block_count_x
      - .offset:         84
        .size:           4
        .value_kind:     hidden_block_count_y
      - .offset:         88
        .size:           4
        .value_kind:     hidden_block_count_z
      - .offset:         92
        .size:           2
        .value_kind:     hidden_group_size_x
      - .offset:         94
        .size:           2
        .value_kind:     hidden_group_size_y
      - .offset:         96
        .size:           2
        .value_kind:     hidden_group_size_z
      - .offset:         98
        .size:           2
        .value_kind:     hidden_remainder_x
      - .offset:         100
        .size:           2
        .value_kind:     hidden_remainder_y
      - .offset:         102
        .size:           2
        .value_kind:     hidden_remainder_z
      - .offset:         120
        .size:           8
        .value_kind:     hidden_global_offset_x
      - .offset:         128
        .size:           8
        .value_kind:     hidden_global_offset_y
      - .offset:         136
        .size:           8
        .value_kind:     hidden_global_offset_z
      - .offset:         144
        .size:           2
        .value_kind:     hidden_grid_dims
    .group_segment_fixed_size: 256
    .kernarg_segment_align: 8
    .kernarg_segment_size: 336
    .language:       OpenCL C
    .language_version:
      - 2
      - 0
    .max_flat_workgroup_size: 512
    .name:           _ZL23rocblas_dot_kernel_inc1ILb0ELi512ELi2ELb1E19rocblas_complex_numIfEPKS1_S1_EviT4_llS4_lliPT5_PT3_
    .private_segment_fixed_size: 0
    .sgpr_count:     34
    .sgpr_spill_count: 0
    .symbol:         _ZL23rocblas_dot_kernel_inc1ILb0ELi512ELi2ELb1E19rocblas_complex_numIfEPKS1_S1_EviT4_llS4_lliPT5_PT3_.kd
    .uniform_work_group_size: 1
    .uses_dynamic_stack: false
    .vgpr_count:     22
    .vgpr_spill_count: 0
    .wavefront_size: 32
  - .args:
      - .offset:         0
        .size:           4
        .value_kind:     by_value
      - .actual_access:  read_only
        .address_space:  global
        .offset:         8
        .size:           8
        .value_kind:     global_buffer
      - .offset:         16
        .size:           8
        .value_kind:     by_value
      - .offset:         24
        .size:           4
        .value_kind:     by_value
      - .offset:         32
        .size:           8
        .value_kind:     by_value
      - .actual_access:  read_only
        .address_space:  global
        .offset:         40
        .size:           8
        .value_kind:     global_buffer
      - .offset:         48
        .size:           8
        .value_kind:     by_value
      - .offset:         56
        .size:           4
        .value_kind:     by_value
      - .offset:         64
        .size:           8
        .value_kind:     by_value
      - .offset:         72
        .size:           4
        .value_kind:     by_value
      - .actual_access:  write_only
        .address_space:  global
        .offset:         80
        .size:           8
        .value_kind:     global_buffer
      - .actual_access:  write_only
        .address_space:  global
        .offset:         88
        .size:           8
        .value_kind:     global_buffer
      - .offset:         96
        .size:           4
        .value_kind:     hidden_block_count_x
      - .offset:         100
        .size:           4
        .value_kind:     hidden_block_count_y
      - .offset:         104
        .size:           4
        .value_kind:     hidden_block_count_z
      - .offset:         108
        .size:           2
        .value_kind:     hidden_group_size_x
      - .offset:         110
        .size:           2
        .value_kind:     hidden_group_size_y
      - .offset:         112
        .size:           2
        .value_kind:     hidden_group_size_z
      - .offset:         114
        .size:           2
        .value_kind:     hidden_remainder_x
      - .offset:         116
        .size:           2
        .value_kind:     hidden_remainder_y
      - .offset:         118
        .size:           2
        .value_kind:     hidden_remainder_z
      - .offset:         136
        .size:           8
        .value_kind:     hidden_global_offset_x
      - .offset:         144
        .size:           8
        .value_kind:     hidden_global_offset_y
      - .offset:         152
        .size:           8
        .value_kind:     hidden_global_offset_z
      - .offset:         160
        .size:           2
        .value_kind:     hidden_grid_dims
    .group_segment_fixed_size: 256
    .kernarg_segment_align: 8
    .kernarg_segment_size: 352
    .language:       OpenCL C
    .language_version:
      - 2
      - 0
    .max_flat_workgroup_size: 512
    .name:           _ZL18rocblas_dot_kernelIiLb0ELi512ELi2ELb1E19rocblas_complex_numIfEPKS1_S1_EviT5_lT_lS4_lS5_liPT6_PT4_
    .private_segment_fixed_size: 0
    .sgpr_count:     41
    .sgpr_spill_count: 0
    .symbol:         _ZL18rocblas_dot_kernelIiLb0ELi512ELi2ELb1E19rocblas_complex_numIfEPKS1_S1_EviT5_lT_lS4_lS5_liPT6_PT4_.kd
    .uniform_work_group_size: 1
    .uses_dynamic_stack: false
    .vgpr_count:     22
    .vgpr_spill_count: 0
    .wavefront_size: 32
  - .args:
      - .offset:         0
        .size:           4
        .value_kind:     by_value
      - .actual_access:  read_only
        .address_space:  global
        .offset:         8
        .size:           8
        .value_kind:     global_buffer
      - .offset:         16
        .size:           8
        .value_kind:     by_value
      - .offset:         24
        .size:           4
        .value_kind:     by_value
      - .offset:         32
        .size:           8
        .value_kind:     by_value
      - .offset:         40
        .size:           4
        .value_kind:     by_value
      - .actual_access:  write_only
        .address_space:  global
        .offset:         48
        .size:           8
        .value_kind:     global_buffer
      - .actual_access:  write_only
        .address_space:  global
        .offset:         56
        .size:           8
        .value_kind:     global_buffer
      - .offset:         64
        .size:           4
        .value_kind:     hidden_block_count_x
      - .offset:         68
        .size:           4
        .value_kind:     hidden_block_count_y
      - .offset:         72
        .size:           4
        .value_kind:     hidden_block_count_z
      - .offset:         76
        .size:           2
        .value_kind:     hidden_group_size_x
      - .offset:         78
        .size:           2
        .value_kind:     hidden_group_size_y
      - .offset:         80
        .size:           2
        .value_kind:     hidden_group_size_z
      - .offset:         82
        .size:           2
        .value_kind:     hidden_remainder_x
      - .offset:         84
        .size:           2
        .value_kind:     hidden_remainder_y
      - .offset:         86
        .size:           2
        .value_kind:     hidden_remainder_z
      - .offset:         104
        .size:           8
        .value_kind:     hidden_global_offset_x
      - .offset:         112
        .size:           8
        .value_kind:     hidden_global_offset_y
      - .offset:         120
        .size:           8
        .value_kind:     hidden_global_offset_z
      - .offset:         128
        .size:           2
        .value_kind:     hidden_grid_dims
    .group_segment_fixed_size: 256
    .kernarg_segment_align: 8
    .kernarg_segment_size: 320
    .language:       OpenCL C
    .language_version:
      - 2
      - 0
    .max_flat_workgroup_size: 512
    .name:           _ZL24rocblas_dot_kernel_magsqIiLb0ELi512ELi2ELb1E19rocblas_complex_numIfEPKS1_S1_EviT5_lT_liPT6_PT4_
    .private_segment_fixed_size: 0
    .sgpr_count:     28
    .sgpr_spill_count: 0
    .symbol:         _ZL24rocblas_dot_kernel_magsqIiLb0ELi512ELi2ELb1E19rocblas_complex_numIfEPKS1_S1_EviT5_lT_liPT6_PT4_.kd
    .uniform_work_group_size: 1
    .uses_dynamic_stack: false
    .vgpr_count:     20
    .vgpr_spill_count: 0
    .wavefront_size: 32
  - .args:
      - .offset:         0
        .size:           4
        .value_kind:     by_value
      - .actual_access:  read_only
        .address_space:  global
        .offset:         8
        .size:           8
        .value_kind:     global_buffer
      - .offset:         16
        .size:           8
        .value_kind:     by_value
      - .offset:         24
        .size:           4
        .value_kind:     by_value
      - .offset:         32
        .size:           8
        .value_kind:     by_value
      - .actual_access:  read_only
        .address_space:  global
        .offset:         40
        .size:           8
        .value_kind:     global_buffer
      - .offset:         48
        .size:           8
        .value_kind:     by_value
      - .offset:         56
        .size:           4
        .value_kind:     by_value
      - .offset:         64
        .size:           8
        .value_kind:     by_value
      - .offset:         72
        .size:           4
        .value_kind:     by_value
      - .actual_access:  write_only
        .address_space:  global
        .offset:         80
        .size:           8
        .value_kind:     global_buffer
    .group_segment_fixed_size: 0
    .kernarg_segment_align: 8
    .kernarg_segment_size: 88
    .language:       OpenCL C
    .language_version:
      - 2
      - 0
    .max_flat_workgroup_size: 128
    .name:           _ZL28rocblas_dot_batched_4_kernelIiLi32ELi4ELb1E19rocblas_complex_numIdES1_PKS1_EviT5_lT_lS4_lS5_liPT4_
    .private_segment_fixed_size: 0
    .sgpr_count:     21
    .sgpr_spill_count: 0
    .symbol:         _ZL28rocblas_dot_batched_4_kernelIiLi32ELi4ELb1E19rocblas_complex_numIdES1_PKS1_EviT5_lT_lS4_lS5_liPT4_.kd
    .uniform_work_group_size: 1
    .uses_dynamic_stack: false
    .vgpr_count:     22
    .vgpr_spill_count: 0
    .wavefront_size: 32
  - .args:
      - .offset:         0
        .size:           4
        .value_kind:     by_value
      - .actual_access:  read_only
        .address_space:  global
        .offset:         8
        .size:           8
        .value_kind:     global_buffer
      - .offset:         16
        .size:           8
        .value_kind:     by_value
      - .offset:         24
        .size:           4
        .value_kind:     by_value
      - .offset:         32
        .size:           8
        .value_kind:     by_value
      - .actual_access:  read_only
        .address_space:  global
        .offset:         40
        .size:           8
        .value_kind:     global_buffer
      - .offset:         48
        .size:           8
        .value_kind:     by_value
      - .offset:         56
        .size:           4
        .value_kind:     by_value
      - .offset:         64
        .size:           8
        .value_kind:     by_value
      - .offset:         72
        .size:           4
        .value_kind:     by_value
      - .actual_access:  write_only
        .address_space:  global
        .offset:         80
        .size:           8
        .value_kind:     global_buffer
    .group_segment_fixed_size: 0
    .kernarg_segment_align: 8
    .kernarg_segment_size: 88
    .language:       OpenCL C
    .language_version:
      - 2
      - 0
    .max_flat_workgroup_size: 256
    .name:           _ZL28rocblas_dot_batched_4_kernelIiLi64ELi4ELb1E19rocblas_complex_numIdES1_PKS1_EviT5_lT_lS4_lS5_liPT4_
    .private_segment_fixed_size: 0
    .sgpr_count:     21
    .sgpr_spill_count: 0
    .symbol:         _ZL28rocblas_dot_batched_4_kernelIiLi64ELi4ELb1E19rocblas_complex_numIdES1_PKS1_EviT5_lT_lS4_lS5_liPT4_.kd
    .uniform_work_group_size: 1
    .uses_dynamic_stack: false
    .vgpr_count:     22
    .vgpr_spill_count: 0
    .wavefront_size: 32
  - .args:
      - .offset:         0
        .size:           4
        .value_kind:     by_value
      - .actual_access:  read_only
        .address_space:  global
        .offset:         8
        .size:           8
        .value_kind:     global_buffer
      - .offset:         16
        .size:           8
        .value_kind:     by_value
      - .offset:         24
        .size:           8
        .value_kind:     by_value
      - .actual_access:  read_only
        .address_space:  global
        .offset:         32
        .size:           8
        .value_kind:     global_buffer
      - .offset:         40
        .size:           8
        .value_kind:     by_value
      - .offset:         48
        .size:           8
        .value_kind:     by_value
      - .offset:         56
        .size:           4
        .value_kind:     by_value
      - .actual_access:  read_only
        .address_space:  global
        .offset:         64
        .size:           8
        .value_kind:     global_buffer
      - .actual_access:  write_only
        .address_space:  global
        .offset:         72
        .size:           8
        .value_kind:     global_buffer
    .group_segment_fixed_size: 512
    .kernarg_segment_align: 8
    .kernarg_segment_size: 80
    .language:       OpenCL C
    .language_version:
      - 2
      - 0
    .max_flat_workgroup_size: 1024
    .name:           _ZL26rocblas_dot_kernel_inc1by2ILb1ELi1024ELi32ELb1E19rocblas_complex_numIdEPKS1_S1_EviT4_llS4_lliPT5_PT3_
    .private_segment_fixed_size: 0
    .sgpr_count:     24
    .sgpr_spill_count: 0
    .symbol:         _ZL26rocblas_dot_kernel_inc1by2ILb1ELi1024ELi32ELb1E19rocblas_complex_numIdEPKS1_S1_EviT4_llS4_lliPT5_PT3_.kd
    .uniform_work_group_size: 1
    .uses_dynamic_stack: false
    .vgpr_count:     30
    .vgpr_spill_count: 0
    .wavefront_size: 32
  - .args:
      - .offset:         0
        .size:           4
        .value_kind:     by_value
      - .actual_access:  read_only
        .address_space:  global
        .offset:         8
        .size:           8
        .value_kind:     global_buffer
      - .offset:         16
        .size:           8
        .value_kind:     by_value
      - .offset:         24
        .size:           4
        .value_kind:     by_value
      - .offset:         32
        .size:           8
        .value_kind:     by_value
      - .actual_access:  read_only
        .address_space:  global
        .offset:         40
        .size:           8
        .value_kind:     global_buffer
      - .offset:         48
        .size:           8
        .value_kind:     by_value
      - .offset:         56
        .size:           4
        .value_kind:     by_value
      - .offset:         64
        .size:           8
        .value_kind:     by_value
      - .offset:         72
        .size:           4
        .value_kind:     by_value
      - .actual_access:  read_only
        .address_space:  global
        .offset:         80
        .size:           8
        .value_kind:     global_buffer
      - .actual_access:  write_only
        .address_space:  global
        .offset:         88
        .size:           8
        .value_kind:     global_buffer
      - .offset:         96
        .size:           4
        .value_kind:     hidden_block_count_x
      - .offset:         100
        .size:           4
        .value_kind:     hidden_block_count_y
      - .offset:         104
        .size:           4
        .value_kind:     hidden_block_count_z
      - .offset:         108
        .size:           2
        .value_kind:     hidden_group_size_x
      - .offset:         110
        .size:           2
        .value_kind:     hidden_group_size_y
      - .offset:         112
        .size:           2
        .value_kind:     hidden_group_size_z
      - .offset:         114
        .size:           2
        .value_kind:     hidden_remainder_x
      - .offset:         116
        .size:           2
        .value_kind:     hidden_remainder_y
      - .offset:         118
        .size:           2
        .value_kind:     hidden_remainder_z
      - .offset:         136
        .size:           8
        .value_kind:     hidden_global_offset_x
      - .offset:         144
        .size:           8
        .value_kind:     hidden_global_offset_y
      - .offset:         152
        .size:           8
        .value_kind:     hidden_global_offset_z
      - .offset:         160
        .size:           2
        .value_kind:     hidden_grid_dims
    .group_segment_fixed_size: 512
    .kernarg_segment_align: 8
    .kernarg_segment_size: 352
    .language:       OpenCL C
    .language_version:
      - 2
      - 0
    .max_flat_workgroup_size: 1024
    .name:           _ZL18rocblas_dot_kernelIiLb1ELi1024ELi32ELb1E19rocblas_complex_numIdEPKS1_S1_EviT5_lT_lS4_lS5_liPT6_PT4_
    .private_segment_fixed_size: 0
    .sgpr_count:     34
    .sgpr_spill_count: 0
    .symbol:         _ZL18rocblas_dot_kernelIiLb1ELi1024ELi32ELb1E19rocblas_complex_numIdEPKS1_S1_EviT5_lT_lS4_lS5_liPT6_PT4_.kd
    .uniform_work_group_size: 1
    .uses_dynamic_stack: false
    .vgpr_count:     28
    .vgpr_spill_count: 0
    .wavefront_size: 32
  - .args:
      - .offset:         0
        .size:           4
        .value_kind:     by_value
      - .actual_access:  read_only
        .address_space:  global
        .offset:         8
        .size:           8
        .value_kind:     global_buffer
      - .offset:         16
        .size:           8
        .value_kind:     by_value
      - .offset:         24
        .size:           4
        .value_kind:     by_value
      - .offset:         32
        .size:           8
        .value_kind:     by_value
      - .offset:         40
        .size:           4
        .value_kind:     by_value
      - .actual_access:  read_only
        .address_space:  global
        .offset:         48
        .size:           8
        .value_kind:     global_buffer
      - .actual_access:  write_only
        .address_space:  global
        .offset:         56
        .size:           8
        .value_kind:     global_buffer
      - .offset:         64
        .size:           4
        .value_kind:     hidden_block_count_x
      - .offset:         68
        .size:           4
        .value_kind:     hidden_block_count_y
      - .offset:         72
        .size:           4
        .value_kind:     hidden_block_count_z
      - .offset:         76
        .size:           2
        .value_kind:     hidden_group_size_x
      - .offset:         78
        .size:           2
        .value_kind:     hidden_group_size_y
      - .offset:         80
        .size:           2
        .value_kind:     hidden_group_size_z
      - .offset:         82
        .size:           2
        .value_kind:     hidden_remainder_x
      - .offset:         84
        .size:           2
        .value_kind:     hidden_remainder_y
      - .offset:         86
        .size:           2
        .value_kind:     hidden_remainder_z
      - .offset:         104
        .size:           8
        .value_kind:     hidden_global_offset_x
      - .offset:         112
        .size:           8
        .value_kind:     hidden_global_offset_y
      - .offset:         120
        .size:           8
        .value_kind:     hidden_global_offset_z
      - .offset:         128
        .size:           2
        .value_kind:     hidden_grid_dims
    .group_segment_fixed_size: 512
    .kernarg_segment_align: 8
    .kernarg_segment_size: 320
    .language:       OpenCL C
    .language_version:
      - 2
      - 0
    .max_flat_workgroup_size: 1024
    .name:           _ZL24rocblas_dot_kernel_magsqIiLb1ELi1024ELi32ELb1E19rocblas_complex_numIdEPKS1_S1_EviT5_lT_liPT6_PT4_
    .private_segment_fixed_size: 0
    .sgpr_count:     24
    .sgpr_spill_count: 0
    .symbol:         _ZL24rocblas_dot_kernel_magsqIiLb1ELi1024ELi32ELb1E19rocblas_complex_numIdEPKS1_S1_EviT5_lT_liPT6_PT4_.kd
    .uniform_work_group_size: 1
    .uses_dynamic_stack: false
    .vgpr_count:     24
    .vgpr_spill_count: 0
    .wavefront_size: 32
  - .args:
      - .offset:         0
        .size:           4
        .value_kind:     by_value
      - .actual_access:  read_only
        .address_space:  global
        .offset:         8
        .size:           8
        .value_kind:     global_buffer
      - .offset:         16
        .size:           8
        .value_kind:     by_value
      - .offset:         24
        .size:           8
        .value_kind:     by_value
      - .actual_access:  read_only
        .address_space:  global
        .offset:         32
        .size:           8
        .value_kind:     global_buffer
      - .offset:         40
        .size:           8
        .value_kind:     by_value
      - .offset:         48
        .size:           8
        .value_kind:     by_value
      - .offset:         56
        .size:           4
        .value_kind:     by_value
      - .actual_access:  write_only
        .address_space:  global
        .offset:         64
        .size:           8
        .value_kind:     global_buffer
      - .actual_access:  write_only
        .address_space:  global
        .offset:         72
        .size:           8
        .value_kind:     global_buffer
      - .offset:         80
        .size:           4
        .value_kind:     hidden_block_count_x
      - .offset:         84
        .size:           4
        .value_kind:     hidden_block_count_y
      - .offset:         88
        .size:           4
        .value_kind:     hidden_block_count_z
      - .offset:         92
        .size:           2
        .value_kind:     hidden_group_size_x
      - .offset:         94
        .size:           2
        .value_kind:     hidden_group_size_y
      - .offset:         96
        .size:           2
        .value_kind:     hidden_group_size_z
      - .offset:         98
        .size:           2
        .value_kind:     hidden_remainder_x
      - .offset:         100
        .size:           2
        .value_kind:     hidden_remainder_y
      - .offset:         102
        .size:           2
        .value_kind:     hidden_remainder_z
      - .offset:         120
        .size:           8
        .value_kind:     hidden_global_offset_x
      - .offset:         128
        .size:           8
        .value_kind:     hidden_global_offset_y
      - .offset:         136
        .size:           8
        .value_kind:     hidden_global_offset_z
      - .offset:         144
        .size:           2
        .value_kind:     hidden_grid_dims
    .group_segment_fixed_size: 512
    .kernarg_segment_align: 8
    .kernarg_segment_size: 336
    .language:       OpenCL C
    .language_version:
      - 2
      - 0
    .max_flat_workgroup_size: 512
    .name:           _ZL23rocblas_dot_kernel_inc1ILb0ELi512ELi2ELb1E19rocblas_complex_numIdEPKS1_S1_EviT4_llS4_lliPT5_PT3_
    .private_segment_fixed_size: 0
    .sgpr_count:     38
    .sgpr_spill_count: 0
    .symbol:         _ZL23rocblas_dot_kernel_inc1ILb0ELi512ELi2ELb1E19rocblas_complex_numIdEPKS1_S1_EviT4_llS4_lliPT5_PT3_.kd
    .uniform_work_group_size: 1
    .uses_dynamic_stack: false
    .vgpr_count:     28
    .vgpr_spill_count: 0
    .wavefront_size: 32
  - .args:
      - .offset:         0
        .size:           4
        .value_kind:     by_value
      - .actual_access:  read_only
        .address_space:  global
        .offset:         8
        .size:           8
        .value_kind:     global_buffer
      - .offset:         16
        .size:           8
        .value_kind:     by_value
      - .offset:         24
        .size:           4
        .value_kind:     by_value
      - .offset:         32
        .size:           8
        .value_kind:     by_value
      - .actual_access:  read_only
        .address_space:  global
        .offset:         40
        .size:           8
        .value_kind:     global_buffer
      - .offset:         48
        .size:           8
        .value_kind:     by_value
      - .offset:         56
        .size:           4
        .value_kind:     by_value
      - .offset:         64
        .size:           8
        .value_kind:     by_value
      - .offset:         72
        .size:           4
        .value_kind:     by_value
      - .actual_access:  write_only
        .address_space:  global
        .offset:         80
        .size:           8
        .value_kind:     global_buffer
      - .actual_access:  write_only
        .address_space:  global
        .offset:         88
        .size:           8
        .value_kind:     global_buffer
      - .offset:         96
        .size:           4
        .value_kind:     hidden_block_count_x
      - .offset:         100
        .size:           4
        .value_kind:     hidden_block_count_y
      - .offset:         104
        .size:           4
        .value_kind:     hidden_block_count_z
      - .offset:         108
        .size:           2
        .value_kind:     hidden_group_size_x
      - .offset:         110
        .size:           2
        .value_kind:     hidden_group_size_y
      - .offset:         112
        .size:           2
        .value_kind:     hidden_group_size_z
      - .offset:         114
        .size:           2
        .value_kind:     hidden_remainder_x
      - .offset:         116
        .size:           2
        .value_kind:     hidden_remainder_y
      - .offset:         118
        .size:           2
        .value_kind:     hidden_remainder_z
      - .offset:         136
        .size:           8
        .value_kind:     hidden_global_offset_x
      - .offset:         144
        .size:           8
        .value_kind:     hidden_global_offset_y
      - .offset:         152
        .size:           8
        .value_kind:     hidden_global_offset_z
      - .offset:         160
        .size:           2
        .value_kind:     hidden_grid_dims
    .group_segment_fixed_size: 512
    .kernarg_segment_align: 8
    .kernarg_segment_size: 352
    .language:       OpenCL C
    .language_version:
      - 2
      - 0
    .max_flat_workgroup_size: 512
    .name:           _ZL18rocblas_dot_kernelIiLb0ELi512ELi2ELb1E19rocblas_complex_numIdEPKS1_S1_EviT5_lT_lS4_lS5_liPT6_PT4_
    .private_segment_fixed_size: 0
    .sgpr_count:     41
    .sgpr_spill_count: 0
    .symbol:         _ZL18rocblas_dot_kernelIiLb0ELi512ELi2ELb1E19rocblas_complex_numIdEPKS1_S1_EviT5_lT_lS4_lS5_liPT6_PT4_.kd
    .uniform_work_group_size: 1
    .uses_dynamic_stack: false
    .vgpr_count:     28
    .vgpr_spill_count: 0
    .wavefront_size: 32
  - .args:
      - .offset:         0
        .size:           4
        .value_kind:     by_value
      - .actual_access:  read_only
        .address_space:  global
        .offset:         8
        .size:           8
        .value_kind:     global_buffer
      - .offset:         16
        .size:           8
        .value_kind:     by_value
      - .offset:         24
        .size:           4
        .value_kind:     by_value
      - .offset:         32
        .size:           8
        .value_kind:     by_value
      - .offset:         40
        .size:           4
        .value_kind:     by_value
      - .actual_access:  write_only
        .address_space:  global
        .offset:         48
        .size:           8
        .value_kind:     global_buffer
      - .actual_access:  write_only
        .address_space:  global
        .offset:         56
        .size:           8
        .value_kind:     global_buffer
      - .offset:         64
        .size:           4
        .value_kind:     hidden_block_count_x
      - .offset:         68
        .size:           4
        .value_kind:     hidden_block_count_y
      - .offset:         72
        .size:           4
        .value_kind:     hidden_block_count_z
      - .offset:         76
        .size:           2
        .value_kind:     hidden_group_size_x
      - .offset:         78
        .size:           2
        .value_kind:     hidden_group_size_y
      - .offset:         80
        .size:           2
        .value_kind:     hidden_group_size_z
      - .offset:         82
        .size:           2
        .value_kind:     hidden_remainder_x
      - .offset:         84
        .size:           2
        .value_kind:     hidden_remainder_y
      - .offset:         86
        .size:           2
        .value_kind:     hidden_remainder_z
      - .offset:         104
        .size:           8
        .value_kind:     hidden_global_offset_x
      - .offset:         112
        .size:           8
        .value_kind:     hidden_global_offset_y
      - .offset:         120
        .size:           8
        .value_kind:     hidden_global_offset_z
      - .offset:         128
        .size:           2
        .value_kind:     hidden_grid_dims
    .group_segment_fixed_size: 512
    .kernarg_segment_align: 8
    .kernarg_segment_size: 320
    .language:       OpenCL C
    .language_version:
      - 2
      - 0
    .max_flat_workgroup_size: 512
    .name:           _ZL24rocblas_dot_kernel_magsqIiLb0ELi512ELi2ELb1E19rocblas_complex_numIdEPKS1_S1_EviT5_lT_liPT6_PT4_
    .private_segment_fixed_size: 0
    .sgpr_count:     28
    .sgpr_spill_count: 0
    .symbol:         _ZL24rocblas_dot_kernel_magsqIiLb0ELi512ELi2ELb1E19rocblas_complex_numIdEPKS1_S1_EviT5_lT_liPT6_PT4_.kd
    .uniform_work_group_size: 1
    .uses_dynamic_stack: false
    .vgpr_count:     24
    .vgpr_spill_count: 0
    .wavefront_size: 32
  - .args:
      - .offset:         0
        .size:           4
        .value_kind:     by_value
      - .actual_access:  read_only
        .address_space:  global
        .offset:         8
        .size:           8
        .value_kind:     global_buffer
      - .offset:         16
        .size:           8
        .value_kind:     by_value
      - .offset:         24
        .size:           4
        .value_kind:     by_value
      - .offset:         32
        .size:           8
        .value_kind:     by_value
      - .actual_access:  read_only
        .address_space:  global
        .offset:         40
        .size:           8
        .value_kind:     global_buffer
      - .offset:         48
        .size:           8
        .value_kind:     by_value
      - .offset:         56
        .size:           4
        .value_kind:     by_value
      - .offset:         64
        .size:           8
        .value_kind:     by_value
      - .offset:         72
        .size:           4
        .value_kind:     by_value
      - .actual_access:  write_only
        .address_space:  global
        .offset:         80
        .size:           8
        .value_kind:     global_buffer
    .group_segment_fixed_size: 0
    .kernarg_segment_align: 8
    .kernarg_segment_size: 88
    .language:       OpenCL C
    .language_version:
      - 2
      - 0
    .max_flat_workgroup_size: 128
    .name:           _ZL28rocblas_dot_batched_4_kernelIiLi32ELi4ELb0EDF16_DF16_PKPKDF16_EviT5_lT_lS4_lS5_liPT4_
    .private_segment_fixed_size: 0
    .sgpr_count:     18
    .sgpr_spill_count: 0
    .symbol:         _ZL28rocblas_dot_batched_4_kernelIiLi32ELi4ELb0EDF16_DF16_PKPKDF16_EviT5_lT_lS4_lS5_liPT4_.kd
    .uniform_work_group_size: 1
    .uses_dynamic_stack: false
    .vgpr_count:     12
    .vgpr_spill_count: 0
    .wavefront_size: 32
  - .args:
      - .offset:         0
        .size:           4
        .value_kind:     by_value
      - .actual_access:  read_only
        .address_space:  global
        .offset:         8
        .size:           8
        .value_kind:     global_buffer
      - .offset:         16
        .size:           8
        .value_kind:     by_value
      - .offset:         24
        .size:           4
        .value_kind:     by_value
      - .offset:         32
        .size:           8
        .value_kind:     by_value
      - .actual_access:  read_only
        .address_space:  global
        .offset:         40
        .size:           8
        .value_kind:     global_buffer
      - .offset:         48
        .size:           8
        .value_kind:     by_value
      - .offset:         56
        .size:           4
        .value_kind:     by_value
      - .offset:         64
        .size:           8
        .value_kind:     by_value
      - .offset:         72
        .size:           4
        .value_kind:     by_value
      - .actual_access:  write_only
        .address_space:  global
        .offset:         80
        .size:           8
        .value_kind:     global_buffer
    .group_segment_fixed_size: 0
    .kernarg_segment_align: 8
    .kernarg_segment_size: 88
    .language:       OpenCL C
    .language_version:
      - 2
      - 0
    .max_flat_workgroup_size: 256
    .name:           _ZL28rocblas_dot_batched_4_kernelIiLi64ELi4ELb0EDF16_DF16_PKPKDF16_EviT5_lT_lS4_lS5_liPT4_
    .private_segment_fixed_size: 0
    .sgpr_count:     18
    .sgpr_spill_count: 0
    .symbol:         _ZL28rocblas_dot_batched_4_kernelIiLi64ELi4ELb0EDF16_DF16_PKPKDF16_EviT5_lT_lS4_lS5_liPT4_.kd
    .uniform_work_group_size: 1
    .uses_dynamic_stack: false
    .vgpr_count:     12
    .vgpr_spill_count: 0
    .wavefront_size: 32
  - .args:
      - .offset:         0
        .size:           4
        .value_kind:     by_value
      - .actual_access:  read_only
        .address_space:  global
        .offset:         8
        .size:           8
        .value_kind:     global_buffer
      - .offset:         16
        .size:           8
        .value_kind:     by_value
      - .offset:         24
        .size:           8
        .value_kind:     by_value
      - .actual_access:  read_only
        .address_space:  global
        .offset:         32
        .size:           8
        .value_kind:     global_buffer
      - .offset:         40
        .size:           8
        .value_kind:     by_value
      - .offset:         48
        .size:           8
        .value_kind:     by_value
      - .offset:         56
        .size:           4
        .value_kind:     by_value
      - .actual_access:  read_only
        .address_space:  global
        .offset:         64
        .size:           8
        .value_kind:     global_buffer
      - .actual_access:  write_only
        .address_space:  global
        .offset:         72
        .size:           8
        .value_kind:     global_buffer
    .group_segment_fixed_size: 64
    .kernarg_segment_align: 8
    .kernarg_segment_size: 80
    .language:       OpenCL C
    .language_version:
      - 2
      - 0
    .max_flat_workgroup_size: 1024
    .name:           _ZL26rocblas_dot_kernel_inc1by2ILb1ELi1024ELi32ELb0EDF16_PKPKDF16_DF16_EviT4_llS4_lliPT5_PT3_
    .private_segment_fixed_size: 0
    .sgpr_count:     30
    .sgpr_spill_count: 0
    .symbol:         _ZL26rocblas_dot_kernel_inc1by2ILb1ELi1024ELi32ELb0EDF16_PKPKDF16_DF16_EviT4_llS4_lliPT5_PT3_.kd
    .uniform_work_group_size: 1
    .uses_dynamic_stack: false
    .vgpr_count:     16
    .vgpr_spill_count: 0
    .wavefront_size: 32
  - .args:
      - .offset:         0
        .size:           4
        .value_kind:     by_value
      - .actual_access:  read_only
        .address_space:  global
        .offset:         8
        .size:           8
        .value_kind:     global_buffer
      - .offset:         16
        .size:           8
        .value_kind:     by_value
      - .offset:         24
        .size:           4
        .value_kind:     by_value
      - .offset:         32
        .size:           8
        .value_kind:     by_value
      - .actual_access:  read_only
        .address_space:  global
        .offset:         40
        .size:           8
        .value_kind:     global_buffer
      - .offset:         48
        .size:           8
        .value_kind:     by_value
      - .offset:         56
        .size:           4
        .value_kind:     by_value
      - .offset:         64
        .size:           8
        .value_kind:     by_value
      - .offset:         72
        .size:           4
        .value_kind:     by_value
      - .actual_access:  read_only
        .address_space:  global
        .offset:         80
        .size:           8
        .value_kind:     global_buffer
      - .actual_access:  write_only
        .address_space:  global
        .offset:         88
        .size:           8
        .value_kind:     global_buffer
      - .offset:         96
        .size:           4
        .value_kind:     hidden_block_count_x
      - .offset:         100
        .size:           4
        .value_kind:     hidden_block_count_y
      - .offset:         104
        .size:           4
        .value_kind:     hidden_block_count_z
      - .offset:         108
        .size:           2
        .value_kind:     hidden_group_size_x
      - .offset:         110
        .size:           2
        .value_kind:     hidden_group_size_y
      - .offset:         112
        .size:           2
        .value_kind:     hidden_group_size_z
      - .offset:         114
        .size:           2
        .value_kind:     hidden_remainder_x
      - .offset:         116
        .size:           2
        .value_kind:     hidden_remainder_y
      - .offset:         118
        .size:           2
        .value_kind:     hidden_remainder_z
      - .offset:         136
        .size:           8
        .value_kind:     hidden_global_offset_x
      - .offset:         144
        .size:           8
        .value_kind:     hidden_global_offset_y
      - .offset:         152
        .size:           8
        .value_kind:     hidden_global_offset_z
      - .offset:         160
        .size:           2
        .value_kind:     hidden_grid_dims
    .group_segment_fixed_size: 64
    .kernarg_segment_align: 8
    .kernarg_segment_size: 352
    .language:       OpenCL C
    .language_version:
      - 2
      - 0
    .max_flat_workgroup_size: 1024
    .name:           _ZL18rocblas_dot_kernelIiLb1ELi1024ELi32ELb0EDF16_PKPKDF16_DF16_EviT5_lT_lS4_lS5_liPT6_PT4_
    .private_segment_fixed_size: 0
    .sgpr_count:     40
    .sgpr_spill_count: 0
    .symbol:         _ZL18rocblas_dot_kernelIiLb1ELi1024ELi32ELb0EDF16_PKPKDF16_DF16_EviT5_lT_lS4_lS5_liPT6_PT4_.kd
    .uniform_work_group_size: 1
    .uses_dynamic_stack: false
    .vgpr_count:     16
    .vgpr_spill_count: 0
    .wavefront_size: 32
  - .args:
      - .offset:         0
        .size:           4
        .value_kind:     by_value
      - .actual_access:  read_only
        .address_space:  global
        .offset:         8
        .size:           8
        .value_kind:     global_buffer
      - .offset:         16
        .size:           8
        .value_kind:     by_value
      - .offset:         24
        .size:           4
        .value_kind:     by_value
      - .offset:         32
        .size:           8
        .value_kind:     by_value
      - .offset:         40
        .size:           4
        .value_kind:     by_value
      - .actual_access:  read_only
        .address_space:  global
        .offset:         48
        .size:           8
        .value_kind:     global_buffer
      - .actual_access:  write_only
        .address_space:  global
        .offset:         56
        .size:           8
        .value_kind:     global_buffer
      - .offset:         64
        .size:           4
        .value_kind:     hidden_block_count_x
      - .offset:         68
        .size:           4
        .value_kind:     hidden_block_count_y
      - .offset:         72
        .size:           4
        .value_kind:     hidden_block_count_z
      - .offset:         76
        .size:           2
        .value_kind:     hidden_group_size_x
      - .offset:         78
        .size:           2
        .value_kind:     hidden_group_size_y
      - .offset:         80
        .size:           2
        .value_kind:     hidden_group_size_z
      - .offset:         82
        .size:           2
        .value_kind:     hidden_remainder_x
      - .offset:         84
        .size:           2
        .value_kind:     hidden_remainder_y
      - .offset:         86
        .size:           2
        .value_kind:     hidden_remainder_z
      - .offset:         104
        .size:           8
        .value_kind:     hidden_global_offset_x
      - .offset:         112
        .size:           8
        .value_kind:     hidden_global_offset_y
      - .offset:         120
        .size:           8
        .value_kind:     hidden_global_offset_z
      - .offset:         128
        .size:           2
        .value_kind:     hidden_grid_dims
    .group_segment_fixed_size: 64
    .kernarg_segment_align: 8
    .kernarg_segment_size: 320
    .language:       OpenCL C
    .language_version:
      - 2
      - 0
    .max_flat_workgroup_size: 1024
    .name:           _ZL24rocblas_dot_kernel_magsqIiLb1ELi1024ELi32ELb0EDF16_PKPKDF16_DF16_EviT5_lT_liPT6_PT4_
    .private_segment_fixed_size: 0
    .sgpr_count:     24
    .sgpr_spill_count: 0
    .symbol:         _ZL24rocblas_dot_kernel_magsqIiLb1ELi1024ELi32ELb0EDF16_PKPKDF16_DF16_EviT5_lT_liPT6_PT4_.kd
    .uniform_work_group_size: 1
    .uses_dynamic_stack: false
    .vgpr_count:     13
    .vgpr_spill_count: 0
    .wavefront_size: 32
  - .args:
      - .offset:         0
        .size:           4
        .value_kind:     by_value
      - .actual_access:  read_only
        .address_space:  global
        .offset:         8
        .size:           8
        .value_kind:     global_buffer
      - .offset:         16
        .size:           8
        .value_kind:     by_value
      - .offset:         24
        .size:           8
        .value_kind:     by_value
      - .actual_access:  read_only
        .address_space:  global
        .offset:         32
        .size:           8
        .value_kind:     global_buffer
      - .offset:         40
        .size:           8
        .value_kind:     by_value
      - .offset:         48
        .size:           8
        .value_kind:     by_value
      - .offset:         56
        .size:           4
        .value_kind:     by_value
      - .actual_access:  write_only
        .address_space:  global
        .offset:         64
        .size:           8
        .value_kind:     global_buffer
      - .actual_access:  write_only
        .address_space:  global
        .offset:         72
        .size:           8
        .value_kind:     global_buffer
      - .offset:         80
        .size:           4
        .value_kind:     hidden_block_count_x
      - .offset:         84
        .size:           4
        .value_kind:     hidden_block_count_y
      - .offset:         88
        .size:           4
        .value_kind:     hidden_block_count_z
      - .offset:         92
        .size:           2
        .value_kind:     hidden_group_size_x
      - .offset:         94
        .size:           2
        .value_kind:     hidden_group_size_y
      - .offset:         96
        .size:           2
        .value_kind:     hidden_group_size_z
      - .offset:         98
        .size:           2
        .value_kind:     hidden_remainder_x
      - .offset:         100
        .size:           2
        .value_kind:     hidden_remainder_y
      - .offset:         102
        .size:           2
        .value_kind:     hidden_remainder_z
      - .offset:         120
        .size:           8
        .value_kind:     hidden_global_offset_x
      - .offset:         128
        .size:           8
        .value_kind:     hidden_global_offset_y
      - .offset:         136
        .size:           8
        .value_kind:     hidden_global_offset_z
      - .offset:         144
        .size:           2
        .value_kind:     hidden_grid_dims
    .group_segment_fixed_size: 64
    .kernarg_segment_align: 8
    .kernarg_segment_size: 336
    .language:       OpenCL C
    .language_version:
      - 2
      - 0
    .max_flat_workgroup_size: 512
    .name:           _ZL23rocblas_dot_kernel_inc1ILb0ELi512ELi8ELb0EDF16_PKPKDF16_DF16_EviT4_llS4_lliPT5_PT3_
    .private_segment_fixed_size: 0
    .sgpr_count:     40
    .sgpr_spill_count: 0
    .symbol:         _ZL23rocblas_dot_kernel_inc1ILb0ELi512ELi8ELb0EDF16_PKPKDF16_DF16_EviT4_llS4_lliPT5_PT3_.kd
    .uniform_work_group_size: 1
    .uses_dynamic_stack: false
    .vgpr_count:     18
    .vgpr_spill_count: 0
    .wavefront_size: 32
  - .args:
      - .offset:         0
        .size:           4
        .value_kind:     by_value
      - .actual_access:  read_only
        .address_space:  global
        .offset:         8
        .size:           8
        .value_kind:     global_buffer
      - .offset:         16
        .size:           8
        .value_kind:     by_value
      - .offset:         24
        .size:           4
        .value_kind:     by_value
      - .offset:         32
        .size:           8
        .value_kind:     by_value
      - .actual_access:  read_only
        .address_space:  global
        .offset:         40
        .size:           8
        .value_kind:     global_buffer
      - .offset:         48
        .size:           8
        .value_kind:     by_value
      - .offset:         56
        .size:           4
        .value_kind:     by_value
      - .offset:         64
        .size:           8
        .value_kind:     by_value
      - .offset:         72
        .size:           4
        .value_kind:     by_value
      - .actual_access:  write_only
        .address_space:  global
        .offset:         80
        .size:           8
        .value_kind:     global_buffer
      - .actual_access:  write_only
        .address_space:  global
        .offset:         88
        .size:           8
        .value_kind:     global_buffer
      - .offset:         96
        .size:           4
        .value_kind:     hidden_block_count_x
      - .offset:         100
        .size:           4
        .value_kind:     hidden_block_count_y
      - .offset:         104
        .size:           4
        .value_kind:     hidden_block_count_z
      - .offset:         108
        .size:           2
        .value_kind:     hidden_group_size_x
      - .offset:         110
        .size:           2
        .value_kind:     hidden_group_size_y
      - .offset:         112
        .size:           2
        .value_kind:     hidden_group_size_z
      - .offset:         114
        .size:           2
        .value_kind:     hidden_remainder_x
      - .offset:         116
        .size:           2
        .value_kind:     hidden_remainder_y
      - .offset:         118
        .size:           2
        .value_kind:     hidden_remainder_z
      - .offset:         136
        .size:           8
        .value_kind:     hidden_global_offset_x
      - .offset:         144
        .size:           8
        .value_kind:     hidden_global_offset_y
      - .offset:         152
        .size:           8
        .value_kind:     hidden_global_offset_z
      - .offset:         160
        .size:           2
        .value_kind:     hidden_grid_dims
    .group_segment_fixed_size: 64
    .kernarg_segment_align: 8
    .kernarg_segment_size: 352
    .language:       OpenCL C
    .language_version:
      - 2
      - 0
    .max_flat_workgroup_size: 512
    .name:           _ZL18rocblas_dot_kernelIiLb0ELi512ELi8ELb0EDF16_PKPKDF16_DF16_EviT5_lT_lS4_lS5_liPT6_PT4_
    .private_segment_fixed_size: 0
    .sgpr_count:     44
    .sgpr_spill_count: 0
    .symbol:         _ZL18rocblas_dot_kernelIiLb0ELi512ELi8ELb0EDF16_PKPKDF16_DF16_EviT5_lT_lS4_lS5_liPT6_PT4_.kd
    .uniform_work_group_size: 1
    .uses_dynamic_stack: false
    .vgpr_count:     16
    .vgpr_spill_count: 0
    .wavefront_size: 32
  - .args:
      - .offset:         0
        .size:           4
        .value_kind:     by_value
      - .actual_access:  read_only
        .address_space:  global
        .offset:         8
        .size:           8
        .value_kind:     global_buffer
      - .offset:         16
        .size:           8
        .value_kind:     by_value
      - .offset:         24
        .size:           4
        .value_kind:     by_value
      - .offset:         32
        .size:           8
        .value_kind:     by_value
      - .offset:         40
        .size:           4
        .value_kind:     by_value
      - .actual_access:  write_only
        .address_space:  global
        .offset:         48
        .size:           8
        .value_kind:     global_buffer
      - .actual_access:  write_only
        .address_space:  global
        .offset:         56
        .size:           8
        .value_kind:     global_buffer
      - .offset:         64
        .size:           4
        .value_kind:     hidden_block_count_x
      - .offset:         68
        .size:           4
        .value_kind:     hidden_block_count_y
      - .offset:         72
        .size:           4
        .value_kind:     hidden_block_count_z
      - .offset:         76
        .size:           2
        .value_kind:     hidden_group_size_x
      - .offset:         78
        .size:           2
        .value_kind:     hidden_group_size_y
      - .offset:         80
        .size:           2
        .value_kind:     hidden_group_size_z
      - .offset:         82
        .size:           2
        .value_kind:     hidden_remainder_x
      - .offset:         84
        .size:           2
        .value_kind:     hidden_remainder_y
      - .offset:         86
        .size:           2
        .value_kind:     hidden_remainder_z
      - .offset:         104
        .size:           8
        .value_kind:     hidden_global_offset_x
      - .offset:         112
        .size:           8
        .value_kind:     hidden_global_offset_y
      - .offset:         120
        .size:           8
        .value_kind:     hidden_global_offset_z
      - .offset:         128
        .size:           2
        .value_kind:     hidden_grid_dims
    .group_segment_fixed_size: 64
    .kernarg_segment_align: 8
    .kernarg_segment_size: 320
    .language:       OpenCL C
    .language_version:
      - 2
      - 0
    .max_flat_workgroup_size: 512
    .name:           _ZL24rocblas_dot_kernel_magsqIiLb0ELi512ELi8ELb0EDF16_PKPKDF16_DF16_EviT5_lT_liPT6_PT4_
    .private_segment_fixed_size: 0
    .sgpr_count:     30
    .sgpr_spill_count: 0
    .symbol:         _ZL24rocblas_dot_kernel_magsqIiLb0ELi512ELi8ELb0EDF16_PKPKDF16_DF16_EviT5_lT_liPT6_PT4_.kd
    .uniform_work_group_size: 1
    .uses_dynamic_stack: false
    .vgpr_count:     13
    .vgpr_spill_count: 0
    .wavefront_size: 32
  - .args:
      - .offset:         0
        .size:           4
        .value_kind:     by_value
      - .actual_access:  read_only
        .address_space:  global
        .offset:         8
        .size:           8
        .value_kind:     global_buffer
      - .offset:         16
        .size:           8
        .value_kind:     by_value
      - .offset:         24
        .size:           4
        .value_kind:     by_value
      - .offset:         32
        .size:           8
        .value_kind:     by_value
      - .actual_access:  read_only
        .address_space:  global
        .offset:         40
        .size:           8
        .value_kind:     global_buffer
      - .offset:         48
        .size:           8
        .value_kind:     by_value
      - .offset:         56
        .size:           4
        .value_kind:     by_value
      - .offset:         64
        .size:           8
        .value_kind:     by_value
      - .offset:         72
        .size:           4
        .value_kind:     by_value
      - .actual_access:  write_only
        .address_space:  global
        .offset:         80
        .size:           8
        .value_kind:     global_buffer
    .group_segment_fixed_size: 0
    .kernarg_segment_align: 8
    .kernarg_segment_size: 88
    .language:       OpenCL C
    .language_version:
      - 2
      - 0
    .max_flat_workgroup_size: 128
    .name:           _ZL28rocblas_dot_batched_4_kernelIiLi32ELi4ELb0Ef16rocblas_bfloat16PKPKS0_EviT5_lT_lS5_lS6_liPT4_
    .private_segment_fixed_size: 0
    .sgpr_count:     18
    .sgpr_spill_count: 0
    .symbol:         _ZL28rocblas_dot_batched_4_kernelIiLi32ELi4ELb0Ef16rocblas_bfloat16PKPKS0_EviT5_lT_lS5_lS6_liPT4_.kd
    .uniform_work_group_size: 1
    .uses_dynamic_stack: false
    .vgpr_count:     12
    .vgpr_spill_count: 0
    .wavefront_size: 32
  - .args:
      - .offset:         0
        .size:           4
        .value_kind:     by_value
      - .actual_access:  read_only
        .address_space:  global
        .offset:         8
        .size:           8
        .value_kind:     global_buffer
      - .offset:         16
        .size:           8
        .value_kind:     by_value
      - .offset:         24
        .size:           4
        .value_kind:     by_value
      - .offset:         32
        .size:           8
        .value_kind:     by_value
      - .actual_access:  read_only
        .address_space:  global
        .offset:         40
        .size:           8
        .value_kind:     global_buffer
      - .offset:         48
        .size:           8
        .value_kind:     by_value
      - .offset:         56
        .size:           4
        .value_kind:     by_value
      - .offset:         64
        .size:           8
        .value_kind:     by_value
      - .offset:         72
        .size:           4
        .value_kind:     by_value
      - .actual_access:  write_only
        .address_space:  global
        .offset:         80
        .size:           8
        .value_kind:     global_buffer
    .group_segment_fixed_size: 0
    .kernarg_segment_align: 8
    .kernarg_segment_size: 88
    .language:       OpenCL C
    .language_version:
      - 2
      - 0
    .max_flat_workgroup_size: 256
    .name:           _ZL28rocblas_dot_batched_4_kernelIiLi64ELi4ELb0Ef16rocblas_bfloat16PKPKS0_EviT5_lT_lS5_lS6_liPT4_
    .private_segment_fixed_size: 0
    .sgpr_count:     18
    .sgpr_spill_count: 0
    .symbol:         _ZL28rocblas_dot_batched_4_kernelIiLi64ELi4ELb0Ef16rocblas_bfloat16PKPKS0_EviT5_lT_lS5_lS6_liPT4_.kd
    .uniform_work_group_size: 1
    .uses_dynamic_stack: false
    .vgpr_count:     12
    .vgpr_spill_count: 0
    .wavefront_size: 32
  - .args:
      - .offset:         0
        .size:           4
        .value_kind:     by_value
      - .actual_access:  read_only
        .address_space:  global
        .offset:         8
        .size:           8
        .value_kind:     global_buffer
      - .offset:         16
        .size:           8
        .value_kind:     by_value
      - .offset:         24
        .size:           8
        .value_kind:     by_value
      - .actual_access:  read_only
        .address_space:  global
        .offset:         32
        .size:           8
        .value_kind:     global_buffer
      - .offset:         40
        .size:           8
        .value_kind:     by_value
      - .offset:         48
        .size:           8
        .value_kind:     by_value
      - .offset:         56
        .size:           4
        .value_kind:     by_value
      - .actual_access:  read_only
        .address_space:  global
        .offset:         64
        .size:           8
        .value_kind:     global_buffer
      - .actual_access:  write_only
        .address_space:  global
        .offset:         72
        .size:           8
        .value_kind:     global_buffer
    .group_segment_fixed_size: 128
    .kernarg_segment_align: 8
    .kernarg_segment_size: 80
    .language:       OpenCL C
    .language_version:
      - 2
      - 0
    .max_flat_workgroup_size: 1024
    .name:           _ZL26rocblas_dot_kernel_inc1by2ILb1ELi1024ELi32ELb0E16rocblas_bfloat16PKPKS0_fEviT4_llS5_lliPT5_PT3_
    .private_segment_fixed_size: 0
    .sgpr_count:     30
    .sgpr_spill_count: 0
    .symbol:         _ZL26rocblas_dot_kernel_inc1by2ILb1ELi1024ELi32ELb0E16rocblas_bfloat16PKPKS0_fEviT4_llS5_lliPT5_PT3_.kd
    .uniform_work_group_size: 1
    .uses_dynamic_stack: false
    .vgpr_count:     18
    .vgpr_spill_count: 0
    .wavefront_size: 32
  - .args:
      - .offset:         0
        .size:           4
        .value_kind:     by_value
      - .actual_access:  read_only
        .address_space:  global
        .offset:         8
        .size:           8
        .value_kind:     global_buffer
      - .offset:         16
        .size:           8
        .value_kind:     by_value
      - .offset:         24
        .size:           4
        .value_kind:     by_value
      - .offset:         32
        .size:           8
        .value_kind:     by_value
      - .actual_access:  read_only
        .address_space:  global
        .offset:         40
        .size:           8
        .value_kind:     global_buffer
      - .offset:         48
        .size:           8
        .value_kind:     by_value
      - .offset:         56
        .size:           4
        .value_kind:     by_value
      - .offset:         64
        .size:           8
        .value_kind:     by_value
      - .offset:         72
        .size:           4
        .value_kind:     by_value
      - .actual_access:  read_only
        .address_space:  global
        .offset:         80
        .size:           8
        .value_kind:     global_buffer
      - .actual_access:  write_only
        .address_space:  global
        .offset:         88
        .size:           8
        .value_kind:     global_buffer
      - .offset:         96
        .size:           4
        .value_kind:     hidden_block_count_x
      - .offset:         100
        .size:           4
        .value_kind:     hidden_block_count_y
      - .offset:         104
        .size:           4
        .value_kind:     hidden_block_count_z
      - .offset:         108
        .size:           2
        .value_kind:     hidden_group_size_x
      - .offset:         110
        .size:           2
        .value_kind:     hidden_group_size_y
      - .offset:         112
        .size:           2
        .value_kind:     hidden_group_size_z
      - .offset:         114
        .size:           2
        .value_kind:     hidden_remainder_x
      - .offset:         116
        .size:           2
        .value_kind:     hidden_remainder_y
      - .offset:         118
        .size:           2
        .value_kind:     hidden_remainder_z
      - .offset:         136
        .size:           8
        .value_kind:     hidden_global_offset_x
      - .offset:         144
        .size:           8
        .value_kind:     hidden_global_offset_y
      - .offset:         152
        .size:           8
        .value_kind:     hidden_global_offset_z
      - .offset:         160
        .size:           2
        .value_kind:     hidden_grid_dims
    .group_segment_fixed_size: 128
    .kernarg_segment_align: 8
    .kernarg_segment_size: 352
    .language:       OpenCL C
    .language_version:
      - 2
      - 0
    .max_flat_workgroup_size: 1024
    .name:           _ZL18rocblas_dot_kernelIiLb1ELi1024ELi32ELb0E16rocblas_bfloat16PKPKS0_fEviT5_lT_lS5_lS6_liPT6_PT4_
    .private_segment_fixed_size: 0
    .sgpr_count:     40
    .sgpr_spill_count: 0
    .symbol:         _ZL18rocblas_dot_kernelIiLb1ELi1024ELi32ELb0E16rocblas_bfloat16PKPKS0_fEviT5_lT_lS5_lS6_liPT6_PT4_.kd
    .uniform_work_group_size: 1
    .uses_dynamic_stack: false
    .vgpr_count:     16
    .vgpr_spill_count: 0
    .wavefront_size: 32
  - .args:
      - .offset:         0
        .size:           4
        .value_kind:     by_value
      - .actual_access:  read_only
        .address_space:  global
        .offset:         8
        .size:           8
        .value_kind:     global_buffer
      - .offset:         16
        .size:           8
        .value_kind:     by_value
      - .offset:         24
        .size:           4
        .value_kind:     by_value
      - .offset:         32
        .size:           8
        .value_kind:     by_value
      - .offset:         40
        .size:           4
        .value_kind:     by_value
      - .actual_access:  read_only
        .address_space:  global
        .offset:         48
        .size:           8
        .value_kind:     global_buffer
      - .actual_access:  write_only
        .address_space:  global
        .offset:         56
        .size:           8
        .value_kind:     global_buffer
      - .offset:         64
        .size:           4
        .value_kind:     hidden_block_count_x
      - .offset:         68
        .size:           4
        .value_kind:     hidden_block_count_y
      - .offset:         72
        .size:           4
        .value_kind:     hidden_block_count_z
      - .offset:         76
        .size:           2
        .value_kind:     hidden_group_size_x
      - .offset:         78
        .size:           2
        .value_kind:     hidden_group_size_y
      - .offset:         80
        .size:           2
        .value_kind:     hidden_group_size_z
      - .offset:         82
        .size:           2
        .value_kind:     hidden_remainder_x
      - .offset:         84
        .size:           2
        .value_kind:     hidden_remainder_y
      - .offset:         86
        .size:           2
        .value_kind:     hidden_remainder_z
      - .offset:         104
        .size:           8
        .value_kind:     hidden_global_offset_x
      - .offset:         112
        .size:           8
        .value_kind:     hidden_global_offset_y
      - .offset:         120
        .size:           8
        .value_kind:     hidden_global_offset_z
      - .offset:         128
        .size:           2
        .value_kind:     hidden_grid_dims
    .group_segment_fixed_size: 128
    .kernarg_segment_align: 8
    .kernarg_segment_size: 320
    .language:       OpenCL C
    .language_version:
      - 2
      - 0
    .max_flat_workgroup_size: 1024
    .name:           _ZL24rocblas_dot_kernel_magsqIiLb1ELi1024ELi32ELb0E16rocblas_bfloat16PKPKS0_fEviT5_lT_liPT6_PT4_
    .private_segment_fixed_size: 0
    .sgpr_count:     24
    .sgpr_spill_count: 0
    .symbol:         _ZL24rocblas_dot_kernel_magsqIiLb1ELi1024ELi32ELb0E16rocblas_bfloat16PKPKS0_fEviT5_lT_liPT6_PT4_.kd
    .uniform_work_group_size: 1
    .uses_dynamic_stack: false
    .vgpr_count:     13
    .vgpr_spill_count: 0
    .wavefront_size: 32
  - .args:
      - .offset:         0
        .size:           4
        .value_kind:     by_value
      - .actual_access:  read_only
        .address_space:  global
        .offset:         8
        .size:           8
        .value_kind:     global_buffer
      - .offset:         16
        .size:           8
        .value_kind:     by_value
      - .offset:         24
        .size:           8
        .value_kind:     by_value
      - .actual_access:  read_only
        .address_space:  global
        .offset:         32
        .size:           8
        .value_kind:     global_buffer
      - .offset:         40
        .size:           8
        .value_kind:     by_value
      - .offset:         48
        .size:           8
        .value_kind:     by_value
      - .offset:         56
        .size:           4
        .value_kind:     by_value
      - .actual_access:  write_only
        .address_space:  global
        .offset:         64
        .size:           8
        .value_kind:     global_buffer
      - .actual_access:  write_only
        .address_space:  global
        .offset:         72
        .size:           8
        .value_kind:     global_buffer
      - .offset:         80
        .size:           4
        .value_kind:     hidden_block_count_x
      - .offset:         84
        .size:           4
        .value_kind:     hidden_block_count_y
      - .offset:         88
        .size:           4
        .value_kind:     hidden_block_count_z
      - .offset:         92
        .size:           2
        .value_kind:     hidden_group_size_x
      - .offset:         94
        .size:           2
        .value_kind:     hidden_group_size_y
      - .offset:         96
        .size:           2
        .value_kind:     hidden_group_size_z
      - .offset:         98
        .size:           2
        .value_kind:     hidden_remainder_x
      - .offset:         100
        .size:           2
        .value_kind:     hidden_remainder_y
      - .offset:         102
        .size:           2
        .value_kind:     hidden_remainder_z
      - .offset:         120
        .size:           8
        .value_kind:     hidden_global_offset_x
      - .offset:         128
        .size:           8
        .value_kind:     hidden_global_offset_y
      - .offset:         136
        .size:           8
        .value_kind:     hidden_global_offset_z
      - .offset:         144
        .size:           2
        .value_kind:     hidden_grid_dims
    .group_segment_fixed_size: 128
    .kernarg_segment_align: 8
    .kernarg_segment_size: 336
    .language:       OpenCL C
    .language_version:
      - 2
      - 0
    .max_flat_workgroup_size: 512
    .name:           _ZL23rocblas_dot_kernel_inc1ILb0ELi512ELi8ELb0E16rocblas_bfloat16PKPKS0_fEviT4_llS5_lliPT5_PT3_
    .private_segment_fixed_size: 0
    .sgpr_count:     40
    .sgpr_spill_count: 0
    .symbol:         _ZL23rocblas_dot_kernel_inc1ILb0ELi512ELi8ELb0E16rocblas_bfloat16PKPKS0_fEviT4_llS5_lliPT5_PT3_.kd
    .uniform_work_group_size: 1
    .uses_dynamic_stack: false
    .vgpr_count:     18
    .vgpr_spill_count: 0
    .wavefront_size: 32
  - .args:
      - .offset:         0
        .size:           4
        .value_kind:     by_value
      - .actual_access:  read_only
        .address_space:  global
        .offset:         8
        .size:           8
        .value_kind:     global_buffer
      - .offset:         16
        .size:           8
        .value_kind:     by_value
      - .offset:         24
        .size:           4
        .value_kind:     by_value
      - .offset:         32
        .size:           8
        .value_kind:     by_value
      - .actual_access:  read_only
        .address_space:  global
        .offset:         40
        .size:           8
        .value_kind:     global_buffer
      - .offset:         48
        .size:           8
        .value_kind:     by_value
      - .offset:         56
        .size:           4
        .value_kind:     by_value
      - .offset:         64
        .size:           8
        .value_kind:     by_value
      - .offset:         72
        .size:           4
        .value_kind:     by_value
      - .actual_access:  write_only
        .address_space:  global
        .offset:         80
        .size:           8
        .value_kind:     global_buffer
      - .actual_access:  write_only
        .address_space:  global
        .offset:         88
        .size:           8
        .value_kind:     global_buffer
      - .offset:         96
        .size:           4
        .value_kind:     hidden_block_count_x
      - .offset:         100
        .size:           4
        .value_kind:     hidden_block_count_y
      - .offset:         104
        .size:           4
        .value_kind:     hidden_block_count_z
      - .offset:         108
        .size:           2
        .value_kind:     hidden_group_size_x
      - .offset:         110
        .size:           2
        .value_kind:     hidden_group_size_y
      - .offset:         112
        .size:           2
        .value_kind:     hidden_group_size_z
      - .offset:         114
        .size:           2
        .value_kind:     hidden_remainder_x
      - .offset:         116
        .size:           2
        .value_kind:     hidden_remainder_y
      - .offset:         118
        .size:           2
        .value_kind:     hidden_remainder_z
      - .offset:         136
        .size:           8
        .value_kind:     hidden_global_offset_x
      - .offset:         144
        .size:           8
        .value_kind:     hidden_global_offset_y
      - .offset:         152
        .size:           8
        .value_kind:     hidden_global_offset_z
      - .offset:         160
        .size:           2
        .value_kind:     hidden_grid_dims
    .group_segment_fixed_size: 128
    .kernarg_segment_align: 8
    .kernarg_segment_size: 352
    .language:       OpenCL C
    .language_version:
      - 2
      - 0
    .max_flat_workgroup_size: 512
    .name:           _ZL18rocblas_dot_kernelIiLb0ELi512ELi8ELb0E16rocblas_bfloat16PKPKS0_fEviT5_lT_lS5_lS6_liPT6_PT4_
    .private_segment_fixed_size: 0
    .sgpr_count:     44
    .sgpr_spill_count: 0
    .symbol:         _ZL18rocblas_dot_kernelIiLb0ELi512ELi8ELb0E16rocblas_bfloat16PKPKS0_fEviT5_lT_lS5_lS6_liPT6_PT4_.kd
    .uniform_work_group_size: 1
    .uses_dynamic_stack: false
    .vgpr_count:     16
    .vgpr_spill_count: 0
    .wavefront_size: 32
  - .args:
      - .offset:         0
        .size:           4
        .value_kind:     by_value
      - .actual_access:  read_only
        .address_space:  global
        .offset:         8
        .size:           8
        .value_kind:     global_buffer
      - .offset:         16
        .size:           8
        .value_kind:     by_value
      - .offset:         24
        .size:           4
        .value_kind:     by_value
      - .offset:         32
        .size:           8
        .value_kind:     by_value
      - .offset:         40
        .size:           4
        .value_kind:     by_value
      - .actual_access:  write_only
        .address_space:  global
        .offset:         48
        .size:           8
        .value_kind:     global_buffer
      - .actual_access:  write_only
        .address_space:  global
        .offset:         56
        .size:           8
        .value_kind:     global_buffer
      - .offset:         64
        .size:           4
        .value_kind:     hidden_block_count_x
      - .offset:         68
        .size:           4
        .value_kind:     hidden_block_count_y
      - .offset:         72
        .size:           4
        .value_kind:     hidden_block_count_z
      - .offset:         76
        .size:           2
        .value_kind:     hidden_group_size_x
      - .offset:         78
        .size:           2
        .value_kind:     hidden_group_size_y
      - .offset:         80
        .size:           2
        .value_kind:     hidden_group_size_z
      - .offset:         82
        .size:           2
        .value_kind:     hidden_remainder_x
      - .offset:         84
        .size:           2
        .value_kind:     hidden_remainder_y
      - .offset:         86
        .size:           2
        .value_kind:     hidden_remainder_z
      - .offset:         104
        .size:           8
        .value_kind:     hidden_global_offset_x
      - .offset:         112
        .size:           8
        .value_kind:     hidden_global_offset_y
      - .offset:         120
        .size:           8
        .value_kind:     hidden_global_offset_z
      - .offset:         128
        .size:           2
        .value_kind:     hidden_grid_dims
    .group_segment_fixed_size: 128
    .kernarg_segment_align: 8
    .kernarg_segment_size: 320
    .language:       OpenCL C
    .language_version:
      - 2
      - 0
    .max_flat_workgroup_size: 512
    .name:           _ZL24rocblas_dot_kernel_magsqIiLb0ELi512ELi8ELb0E16rocblas_bfloat16PKPKS0_fEviT5_lT_liPT6_PT4_
    .private_segment_fixed_size: 0
    .sgpr_count:     30
    .sgpr_spill_count: 0
    .symbol:         _ZL24rocblas_dot_kernel_magsqIiLb0ELi512ELi8ELb0E16rocblas_bfloat16PKPKS0_fEviT5_lT_liPT6_PT4_.kd
    .uniform_work_group_size: 1
    .uses_dynamic_stack: false
    .vgpr_count:     13
    .vgpr_spill_count: 0
    .wavefront_size: 32
  - .args:
      - .offset:         0
        .size:           4
        .value_kind:     by_value
      - .actual_access:  read_only
        .address_space:  global
        .offset:         8
        .size:           8
        .value_kind:     global_buffer
      - .offset:         16
        .size:           8
        .value_kind:     by_value
      - .offset:         24
        .size:           4
        .value_kind:     by_value
      - .offset:         32
        .size:           8
        .value_kind:     by_value
      - .actual_access:  read_only
        .address_space:  global
        .offset:         40
        .size:           8
        .value_kind:     global_buffer
      - .offset:         48
        .size:           8
        .value_kind:     by_value
      - .offset:         56
        .size:           4
        .value_kind:     by_value
      - .offset:         64
        .size:           8
        .value_kind:     by_value
      - .offset:         72
        .size:           4
        .value_kind:     by_value
      - .actual_access:  write_only
        .address_space:  global
        .offset:         80
        .size:           8
        .value_kind:     global_buffer
    .group_segment_fixed_size: 0
    .kernarg_segment_align: 8
    .kernarg_segment_size: 88
    .language:       OpenCL C
    .language_version:
      - 2
      - 0
    .max_flat_workgroup_size: 128
    .name:           _ZL28rocblas_dot_batched_4_kernelIiLi32ELi4ELb0EffPKPKfEviT5_lT_lS4_lS5_liPT4_
    .private_segment_fixed_size: 0
    .sgpr_count:     18
    .sgpr_spill_count: 0
    .symbol:         _ZL28rocblas_dot_batched_4_kernelIiLi32ELi4ELb0EffPKPKfEviT5_lT_lS4_lS5_liPT4_.kd
    .uniform_work_group_size: 1
    .uses_dynamic_stack: false
    .vgpr_count:     12
    .vgpr_spill_count: 0
    .wavefront_size: 32
  - .args:
      - .offset:         0
        .size:           4
        .value_kind:     by_value
      - .actual_access:  read_only
        .address_space:  global
        .offset:         8
        .size:           8
        .value_kind:     global_buffer
      - .offset:         16
        .size:           8
        .value_kind:     by_value
      - .offset:         24
        .size:           4
        .value_kind:     by_value
      - .offset:         32
        .size:           8
        .value_kind:     by_value
      - .actual_access:  read_only
        .address_space:  global
        .offset:         40
        .size:           8
        .value_kind:     global_buffer
      - .offset:         48
        .size:           8
        .value_kind:     by_value
      - .offset:         56
        .size:           4
        .value_kind:     by_value
      - .offset:         64
        .size:           8
        .value_kind:     by_value
      - .offset:         72
        .size:           4
        .value_kind:     by_value
      - .actual_access:  write_only
        .address_space:  global
        .offset:         80
        .size:           8
        .value_kind:     global_buffer
    .group_segment_fixed_size: 0
    .kernarg_segment_align: 8
    .kernarg_segment_size: 88
    .language:       OpenCL C
    .language_version:
      - 2
      - 0
    .max_flat_workgroup_size: 256
    .name:           _ZL28rocblas_dot_batched_4_kernelIiLi64ELi4ELb0EffPKPKfEviT5_lT_lS4_lS5_liPT4_
    .private_segment_fixed_size: 0
    .sgpr_count:     18
    .sgpr_spill_count: 0
    .symbol:         _ZL28rocblas_dot_batched_4_kernelIiLi64ELi4ELb0EffPKPKfEviT5_lT_lS4_lS5_liPT4_.kd
    .uniform_work_group_size: 1
    .uses_dynamic_stack: false
    .vgpr_count:     12
    .vgpr_spill_count: 0
    .wavefront_size: 32
  - .args:
      - .offset:         0
        .size:           4
        .value_kind:     by_value
      - .actual_access:  read_only
        .address_space:  global
        .offset:         8
        .size:           8
        .value_kind:     global_buffer
      - .offset:         16
        .size:           8
        .value_kind:     by_value
      - .offset:         24
        .size:           8
        .value_kind:     by_value
      - .actual_access:  read_only
        .address_space:  global
        .offset:         32
        .size:           8
        .value_kind:     global_buffer
      - .offset:         40
        .size:           8
        .value_kind:     by_value
      - .offset:         48
        .size:           8
        .value_kind:     by_value
      - .offset:         56
        .size:           4
        .value_kind:     by_value
      - .actual_access:  read_only
        .address_space:  global
        .offset:         64
        .size:           8
        .value_kind:     global_buffer
      - .actual_access:  write_only
        .address_space:  global
        .offset:         72
        .size:           8
        .value_kind:     global_buffer
    .group_segment_fixed_size: 128
    .kernarg_segment_align: 8
    .kernarg_segment_size: 80
    .language:       OpenCL C
    .language_version:
      - 2
      - 0
    .max_flat_workgroup_size: 1024
    .name:           _ZL26rocblas_dot_kernel_inc1by2ILb1ELi1024ELi32ELb0EfPKPKffEviT4_llS4_lliPT5_PT3_
    .private_segment_fixed_size: 0
    .sgpr_count:     30
    .sgpr_spill_count: 0
    .symbol:         _ZL26rocblas_dot_kernel_inc1by2ILb1ELi1024ELi32ELb0EfPKPKffEviT4_llS4_lliPT5_PT3_.kd
    .uniform_work_group_size: 1
    .uses_dynamic_stack: false
    .vgpr_count:     18
    .vgpr_spill_count: 0
    .wavefront_size: 32
  - .args:
      - .offset:         0
        .size:           4
        .value_kind:     by_value
      - .actual_access:  read_only
        .address_space:  global
        .offset:         8
        .size:           8
        .value_kind:     global_buffer
      - .offset:         16
        .size:           8
        .value_kind:     by_value
      - .offset:         24
        .size:           4
        .value_kind:     by_value
      - .offset:         32
        .size:           8
        .value_kind:     by_value
      - .actual_access:  read_only
        .address_space:  global
        .offset:         40
        .size:           8
        .value_kind:     global_buffer
      - .offset:         48
        .size:           8
        .value_kind:     by_value
      - .offset:         56
        .size:           4
        .value_kind:     by_value
      - .offset:         64
        .size:           8
        .value_kind:     by_value
      - .offset:         72
        .size:           4
        .value_kind:     by_value
      - .actual_access:  read_only
        .address_space:  global
        .offset:         80
        .size:           8
        .value_kind:     global_buffer
      - .actual_access:  write_only
        .address_space:  global
        .offset:         88
        .size:           8
        .value_kind:     global_buffer
      - .offset:         96
        .size:           4
        .value_kind:     hidden_block_count_x
      - .offset:         100
        .size:           4
        .value_kind:     hidden_block_count_y
      - .offset:         104
        .size:           4
        .value_kind:     hidden_block_count_z
      - .offset:         108
        .size:           2
        .value_kind:     hidden_group_size_x
      - .offset:         110
        .size:           2
        .value_kind:     hidden_group_size_y
      - .offset:         112
        .size:           2
        .value_kind:     hidden_group_size_z
      - .offset:         114
        .size:           2
        .value_kind:     hidden_remainder_x
      - .offset:         116
        .size:           2
        .value_kind:     hidden_remainder_y
      - .offset:         118
        .size:           2
        .value_kind:     hidden_remainder_z
      - .offset:         136
        .size:           8
        .value_kind:     hidden_global_offset_x
      - .offset:         144
        .size:           8
        .value_kind:     hidden_global_offset_y
      - .offset:         152
        .size:           8
        .value_kind:     hidden_global_offset_z
      - .offset:         160
        .size:           2
        .value_kind:     hidden_grid_dims
    .group_segment_fixed_size: 128
    .kernarg_segment_align: 8
    .kernarg_segment_size: 352
    .language:       OpenCL C
    .language_version:
      - 2
      - 0
    .max_flat_workgroup_size: 1024
    .name:           _ZL18rocblas_dot_kernelIiLb1ELi1024ELi32ELb0EfPKPKffEviT5_lT_lS4_lS5_liPT6_PT4_
    .private_segment_fixed_size: 0
    .sgpr_count:     40
    .sgpr_spill_count: 0
    .symbol:         _ZL18rocblas_dot_kernelIiLb1ELi1024ELi32ELb0EfPKPKffEviT5_lT_lS4_lS5_liPT6_PT4_.kd
    .uniform_work_group_size: 1
    .uses_dynamic_stack: false
    .vgpr_count:     16
    .vgpr_spill_count: 0
    .wavefront_size: 32
  - .args:
      - .offset:         0
        .size:           4
        .value_kind:     by_value
      - .actual_access:  read_only
        .address_space:  global
        .offset:         8
        .size:           8
        .value_kind:     global_buffer
      - .offset:         16
        .size:           8
        .value_kind:     by_value
      - .offset:         24
        .size:           4
        .value_kind:     by_value
      - .offset:         32
        .size:           8
        .value_kind:     by_value
      - .offset:         40
        .size:           4
        .value_kind:     by_value
      - .actual_access:  read_only
        .address_space:  global
        .offset:         48
        .size:           8
        .value_kind:     global_buffer
      - .actual_access:  write_only
        .address_space:  global
        .offset:         56
        .size:           8
        .value_kind:     global_buffer
      - .offset:         64
        .size:           4
        .value_kind:     hidden_block_count_x
      - .offset:         68
        .size:           4
        .value_kind:     hidden_block_count_y
      - .offset:         72
        .size:           4
        .value_kind:     hidden_block_count_z
      - .offset:         76
        .size:           2
        .value_kind:     hidden_group_size_x
      - .offset:         78
        .size:           2
        .value_kind:     hidden_group_size_y
      - .offset:         80
        .size:           2
        .value_kind:     hidden_group_size_z
      - .offset:         82
        .size:           2
        .value_kind:     hidden_remainder_x
      - .offset:         84
        .size:           2
        .value_kind:     hidden_remainder_y
      - .offset:         86
        .size:           2
        .value_kind:     hidden_remainder_z
      - .offset:         104
        .size:           8
        .value_kind:     hidden_global_offset_x
      - .offset:         112
        .size:           8
        .value_kind:     hidden_global_offset_y
      - .offset:         120
        .size:           8
        .value_kind:     hidden_global_offset_z
      - .offset:         128
        .size:           2
        .value_kind:     hidden_grid_dims
    .group_segment_fixed_size: 128
    .kernarg_segment_align: 8
    .kernarg_segment_size: 320
    .language:       OpenCL C
    .language_version:
      - 2
      - 0
    .max_flat_workgroup_size: 1024
    .name:           _ZL24rocblas_dot_kernel_magsqIiLb1ELi1024ELi32ELb0EfPKPKffEviT5_lT_liPT6_PT4_
    .private_segment_fixed_size: 0
    .sgpr_count:     24
    .sgpr_spill_count: 0
    .symbol:         _ZL24rocblas_dot_kernel_magsqIiLb1ELi1024ELi32ELb0EfPKPKffEviT5_lT_liPT6_PT4_.kd
    .uniform_work_group_size: 1
    .uses_dynamic_stack: false
    .vgpr_count:     13
    .vgpr_spill_count: 0
    .wavefront_size: 32
  - .args:
      - .offset:         0
        .size:           4
        .value_kind:     by_value
      - .actual_access:  read_only
        .address_space:  global
        .offset:         8
        .size:           8
        .value_kind:     global_buffer
      - .offset:         16
        .size:           8
        .value_kind:     by_value
      - .offset:         24
        .size:           8
        .value_kind:     by_value
      - .actual_access:  read_only
        .address_space:  global
        .offset:         32
        .size:           8
        .value_kind:     global_buffer
      - .offset:         40
        .size:           8
        .value_kind:     by_value
      - .offset:         48
        .size:           8
        .value_kind:     by_value
      - .offset:         56
        .size:           4
        .value_kind:     by_value
      - .actual_access:  write_only
        .address_space:  global
        .offset:         64
        .size:           8
        .value_kind:     global_buffer
      - .actual_access:  write_only
        .address_space:  global
        .offset:         72
        .size:           8
        .value_kind:     global_buffer
      - .offset:         80
        .size:           4
        .value_kind:     hidden_block_count_x
      - .offset:         84
        .size:           4
        .value_kind:     hidden_block_count_y
      - .offset:         88
        .size:           4
        .value_kind:     hidden_block_count_z
      - .offset:         92
        .size:           2
        .value_kind:     hidden_group_size_x
      - .offset:         94
        .size:           2
        .value_kind:     hidden_group_size_y
      - .offset:         96
        .size:           2
        .value_kind:     hidden_group_size_z
      - .offset:         98
        .size:           2
        .value_kind:     hidden_remainder_x
      - .offset:         100
        .size:           2
        .value_kind:     hidden_remainder_y
      - .offset:         102
        .size:           2
        .value_kind:     hidden_remainder_z
      - .offset:         120
        .size:           8
        .value_kind:     hidden_global_offset_x
      - .offset:         128
        .size:           8
        .value_kind:     hidden_global_offset_y
      - .offset:         136
        .size:           8
        .value_kind:     hidden_global_offset_z
      - .offset:         144
        .size:           2
        .value_kind:     hidden_grid_dims
    .group_segment_fixed_size: 128
    .kernarg_segment_align: 8
    .kernarg_segment_size: 336
    .language:       OpenCL C
    .language_version:
      - 2
      - 0
    .max_flat_workgroup_size: 512
    .name:           _ZL23rocblas_dot_kernel_inc1ILb0ELi512ELi4ELb0EfPKPKffEviT4_llS4_lliPT5_PT3_
    .private_segment_fixed_size: 0
    .sgpr_count:     40
    .sgpr_spill_count: 0
    .symbol:         _ZL23rocblas_dot_kernel_inc1ILb0ELi512ELi4ELb0EfPKPKffEviT4_llS4_lliPT5_PT3_.kd
    .uniform_work_group_size: 1
    .uses_dynamic_stack: false
    .vgpr_count:     18
    .vgpr_spill_count: 0
    .wavefront_size: 32
  - .args:
      - .offset:         0
        .size:           4
        .value_kind:     by_value
      - .actual_access:  read_only
        .address_space:  global
        .offset:         8
        .size:           8
        .value_kind:     global_buffer
      - .offset:         16
        .size:           8
        .value_kind:     by_value
      - .offset:         24
        .size:           4
        .value_kind:     by_value
      - .offset:         32
        .size:           8
        .value_kind:     by_value
      - .actual_access:  read_only
        .address_space:  global
        .offset:         40
        .size:           8
        .value_kind:     global_buffer
      - .offset:         48
        .size:           8
        .value_kind:     by_value
      - .offset:         56
        .size:           4
        .value_kind:     by_value
      - .offset:         64
        .size:           8
        .value_kind:     by_value
      - .offset:         72
        .size:           4
        .value_kind:     by_value
      - .actual_access:  write_only
        .address_space:  global
        .offset:         80
        .size:           8
        .value_kind:     global_buffer
      - .actual_access:  write_only
        .address_space:  global
        .offset:         88
        .size:           8
        .value_kind:     global_buffer
      - .offset:         96
        .size:           4
        .value_kind:     hidden_block_count_x
      - .offset:         100
        .size:           4
        .value_kind:     hidden_block_count_y
      - .offset:         104
        .size:           4
        .value_kind:     hidden_block_count_z
      - .offset:         108
        .size:           2
        .value_kind:     hidden_group_size_x
      - .offset:         110
        .size:           2
        .value_kind:     hidden_group_size_y
      - .offset:         112
        .size:           2
        .value_kind:     hidden_group_size_z
      - .offset:         114
        .size:           2
        .value_kind:     hidden_remainder_x
      - .offset:         116
        .size:           2
        .value_kind:     hidden_remainder_y
      - .offset:         118
        .size:           2
        .value_kind:     hidden_remainder_z
      - .offset:         136
        .size:           8
        .value_kind:     hidden_global_offset_x
      - .offset:         144
        .size:           8
        .value_kind:     hidden_global_offset_y
      - .offset:         152
        .size:           8
        .value_kind:     hidden_global_offset_z
      - .offset:         160
        .size:           2
        .value_kind:     hidden_grid_dims
    .group_segment_fixed_size: 128
    .kernarg_segment_align: 8
    .kernarg_segment_size: 352
    .language:       OpenCL C
    .language_version:
      - 2
      - 0
    .max_flat_workgroup_size: 512
    .name:           _ZL18rocblas_dot_kernelIiLb0ELi512ELi4ELb0EfPKPKffEviT5_lT_lS4_lS5_liPT6_PT4_
    .private_segment_fixed_size: 0
    .sgpr_count:     44
    .sgpr_spill_count: 0
    .symbol:         _ZL18rocblas_dot_kernelIiLb0ELi512ELi4ELb0EfPKPKffEviT5_lT_lS4_lS5_liPT6_PT4_.kd
    .uniform_work_group_size: 1
    .uses_dynamic_stack: false
    .vgpr_count:     16
    .vgpr_spill_count: 0
    .wavefront_size: 32
  - .args:
      - .offset:         0
        .size:           4
        .value_kind:     by_value
      - .actual_access:  read_only
        .address_space:  global
        .offset:         8
        .size:           8
        .value_kind:     global_buffer
      - .offset:         16
        .size:           8
        .value_kind:     by_value
      - .offset:         24
        .size:           4
        .value_kind:     by_value
      - .offset:         32
        .size:           8
        .value_kind:     by_value
      - .offset:         40
        .size:           4
        .value_kind:     by_value
      - .actual_access:  write_only
        .address_space:  global
        .offset:         48
        .size:           8
        .value_kind:     global_buffer
      - .actual_access:  write_only
        .address_space:  global
        .offset:         56
        .size:           8
        .value_kind:     global_buffer
      - .offset:         64
        .size:           4
        .value_kind:     hidden_block_count_x
      - .offset:         68
        .size:           4
        .value_kind:     hidden_block_count_y
      - .offset:         72
        .size:           4
        .value_kind:     hidden_block_count_z
      - .offset:         76
        .size:           2
        .value_kind:     hidden_group_size_x
      - .offset:         78
        .size:           2
        .value_kind:     hidden_group_size_y
      - .offset:         80
        .size:           2
        .value_kind:     hidden_group_size_z
      - .offset:         82
        .size:           2
        .value_kind:     hidden_remainder_x
      - .offset:         84
        .size:           2
        .value_kind:     hidden_remainder_y
      - .offset:         86
        .size:           2
        .value_kind:     hidden_remainder_z
      - .offset:         104
        .size:           8
        .value_kind:     hidden_global_offset_x
      - .offset:         112
        .size:           8
        .value_kind:     hidden_global_offset_y
      - .offset:         120
        .size:           8
        .value_kind:     hidden_global_offset_z
      - .offset:         128
        .size:           2
        .value_kind:     hidden_grid_dims
    .group_segment_fixed_size: 128
    .kernarg_segment_align: 8
    .kernarg_segment_size: 320
    .language:       OpenCL C
    .language_version:
      - 2
      - 0
    .max_flat_workgroup_size: 512
    .name:           _ZL24rocblas_dot_kernel_magsqIiLb0ELi512ELi4ELb0EfPKPKffEviT5_lT_liPT6_PT4_
    .private_segment_fixed_size: 0
    .sgpr_count:     30
    .sgpr_spill_count: 0
    .symbol:         _ZL24rocblas_dot_kernel_magsqIiLb0ELi512ELi4ELb0EfPKPKffEviT5_lT_liPT6_PT4_.kd
    .uniform_work_group_size: 1
    .uses_dynamic_stack: false
    .vgpr_count:     13
    .vgpr_spill_count: 0
    .wavefront_size: 32
  - .args:
      - .offset:         0
        .size:           4
        .value_kind:     by_value
      - .actual_access:  read_only
        .address_space:  global
        .offset:         8
        .size:           8
        .value_kind:     global_buffer
      - .offset:         16
        .size:           8
        .value_kind:     by_value
      - .offset:         24
        .size:           4
        .value_kind:     by_value
      - .offset:         32
        .size:           8
        .value_kind:     by_value
      - .actual_access:  read_only
        .address_space:  global
        .offset:         40
        .size:           8
        .value_kind:     global_buffer
      - .offset:         48
        .size:           8
        .value_kind:     by_value
      - .offset:         56
        .size:           4
        .value_kind:     by_value
      - .offset:         64
        .size:           8
        .value_kind:     by_value
      - .offset:         72
        .size:           4
        .value_kind:     by_value
      - .actual_access:  write_only
        .address_space:  global
        .offset:         80
        .size:           8
        .value_kind:     global_buffer
    .group_segment_fixed_size: 0
    .kernarg_segment_align: 8
    .kernarg_segment_size: 88
    .language:       OpenCL C
    .language_version:
      - 2
      - 0
    .max_flat_workgroup_size: 128
    .name:           _ZL28rocblas_dot_batched_4_kernelIiLi32ELi4ELb0EddPKPKdEviT5_lT_lS4_lS5_liPT4_
    .private_segment_fixed_size: 0
    .sgpr_count:     18
    .sgpr_spill_count: 0
    .symbol:         _ZL28rocblas_dot_batched_4_kernelIiLi32ELi4ELb0EddPKPKdEviT5_lT_lS4_lS5_liPT4_.kd
    .uniform_work_group_size: 1
    .uses_dynamic_stack: false
    .vgpr_count:     14
    .vgpr_spill_count: 0
    .wavefront_size: 32
  - .args:
      - .offset:         0
        .size:           4
        .value_kind:     by_value
      - .actual_access:  read_only
        .address_space:  global
        .offset:         8
        .size:           8
        .value_kind:     global_buffer
      - .offset:         16
        .size:           8
        .value_kind:     by_value
      - .offset:         24
        .size:           4
        .value_kind:     by_value
      - .offset:         32
        .size:           8
        .value_kind:     by_value
      - .actual_access:  read_only
        .address_space:  global
        .offset:         40
        .size:           8
        .value_kind:     global_buffer
      - .offset:         48
        .size:           8
        .value_kind:     by_value
      - .offset:         56
        .size:           4
        .value_kind:     by_value
      - .offset:         64
        .size:           8
        .value_kind:     by_value
      - .offset:         72
        .size:           4
        .value_kind:     by_value
      - .actual_access:  write_only
        .address_space:  global
        .offset:         80
        .size:           8
        .value_kind:     global_buffer
    .group_segment_fixed_size: 0
    .kernarg_segment_align: 8
    .kernarg_segment_size: 88
    .language:       OpenCL C
    .language_version:
      - 2
      - 0
    .max_flat_workgroup_size: 256
    .name:           _ZL28rocblas_dot_batched_4_kernelIiLi64ELi4ELb0EddPKPKdEviT5_lT_lS4_lS5_liPT4_
    .private_segment_fixed_size: 0
    .sgpr_count:     18
    .sgpr_spill_count: 0
    .symbol:         _ZL28rocblas_dot_batched_4_kernelIiLi64ELi4ELb0EddPKPKdEviT5_lT_lS4_lS5_liPT4_.kd
    .uniform_work_group_size: 1
    .uses_dynamic_stack: false
    .vgpr_count:     14
    .vgpr_spill_count: 0
    .wavefront_size: 32
  - .args:
      - .offset:         0
        .size:           4
        .value_kind:     by_value
      - .actual_access:  read_only
        .address_space:  global
        .offset:         8
        .size:           8
        .value_kind:     global_buffer
      - .offset:         16
        .size:           8
        .value_kind:     by_value
      - .offset:         24
        .size:           8
        .value_kind:     by_value
      - .actual_access:  read_only
        .address_space:  global
        .offset:         32
        .size:           8
        .value_kind:     global_buffer
      - .offset:         40
        .size:           8
        .value_kind:     by_value
      - .offset:         48
        .size:           8
        .value_kind:     by_value
      - .offset:         56
        .size:           4
        .value_kind:     by_value
      - .actual_access:  read_only
        .address_space:  global
        .offset:         64
        .size:           8
        .value_kind:     global_buffer
      - .actual_access:  write_only
        .address_space:  global
        .offset:         72
        .size:           8
        .value_kind:     global_buffer
    .group_segment_fixed_size: 256
    .kernarg_segment_align: 8
    .kernarg_segment_size: 80
    .language:       OpenCL C
    .language_version:
      - 2
      - 0
    .max_flat_workgroup_size: 1024
    .name:           _ZL26rocblas_dot_kernel_inc1by2ILb1ELi1024ELi32ELb0EdPKPKddEviT4_llS4_lliPT5_PT3_
    .private_segment_fixed_size: 0
    .sgpr_count:     28
    .sgpr_spill_count: 0
    .symbol:         _ZL26rocblas_dot_kernel_inc1by2ILb1ELi1024ELi32ELb0EdPKPKddEviT4_llS4_lliPT5_PT3_.kd
    .uniform_work_group_size: 1
    .uses_dynamic_stack: false
    .vgpr_count:     22
    .vgpr_spill_count: 0
    .wavefront_size: 32
  - .args:
      - .offset:         0
        .size:           4
        .value_kind:     by_value
      - .actual_access:  read_only
        .address_space:  global
        .offset:         8
        .size:           8
        .value_kind:     global_buffer
      - .offset:         16
        .size:           8
        .value_kind:     by_value
      - .offset:         24
        .size:           4
        .value_kind:     by_value
      - .offset:         32
        .size:           8
        .value_kind:     by_value
      - .actual_access:  read_only
        .address_space:  global
        .offset:         40
        .size:           8
        .value_kind:     global_buffer
      - .offset:         48
        .size:           8
        .value_kind:     by_value
      - .offset:         56
        .size:           4
        .value_kind:     by_value
      - .offset:         64
        .size:           8
        .value_kind:     by_value
      - .offset:         72
        .size:           4
        .value_kind:     by_value
      - .actual_access:  read_only
        .address_space:  global
        .offset:         80
        .size:           8
        .value_kind:     global_buffer
      - .actual_access:  write_only
        .address_space:  global
        .offset:         88
        .size:           8
        .value_kind:     global_buffer
      - .offset:         96
        .size:           4
        .value_kind:     hidden_block_count_x
      - .offset:         100
        .size:           4
        .value_kind:     hidden_block_count_y
      - .offset:         104
        .size:           4
        .value_kind:     hidden_block_count_z
      - .offset:         108
        .size:           2
        .value_kind:     hidden_group_size_x
      - .offset:         110
        .size:           2
        .value_kind:     hidden_group_size_y
      - .offset:         112
        .size:           2
        .value_kind:     hidden_group_size_z
      - .offset:         114
        .size:           2
        .value_kind:     hidden_remainder_x
      - .offset:         116
        .size:           2
        .value_kind:     hidden_remainder_y
      - .offset:         118
        .size:           2
        .value_kind:     hidden_remainder_z
      - .offset:         136
        .size:           8
        .value_kind:     hidden_global_offset_x
      - .offset:         144
        .size:           8
        .value_kind:     hidden_global_offset_y
      - .offset:         152
        .size:           8
        .value_kind:     hidden_global_offset_z
      - .offset:         160
        .size:           2
        .value_kind:     hidden_grid_dims
    .group_segment_fixed_size: 256
    .kernarg_segment_align: 8
    .kernarg_segment_size: 352
    .language:       OpenCL C
    .language_version:
      - 2
      - 0
    .max_flat_workgroup_size: 1024
    .name:           _ZL18rocblas_dot_kernelIiLb1ELi1024ELi32ELb0EdPKPKddEviT5_lT_lS4_lS5_liPT6_PT4_
    .private_segment_fixed_size: 0
    .sgpr_count:     40
    .sgpr_spill_count: 0
    .symbol:         _ZL18rocblas_dot_kernelIiLb1ELi1024ELi32ELb0EdPKPKddEviT5_lT_lS4_lS5_liPT6_PT4_.kd
    .uniform_work_group_size: 1
    .uses_dynamic_stack: false
    .vgpr_count:     22
    .vgpr_spill_count: 0
    .wavefront_size: 32
  - .args:
      - .offset:         0
        .size:           4
        .value_kind:     by_value
      - .actual_access:  read_only
        .address_space:  global
        .offset:         8
        .size:           8
        .value_kind:     global_buffer
      - .offset:         16
        .size:           8
        .value_kind:     by_value
      - .offset:         24
        .size:           4
        .value_kind:     by_value
      - .offset:         32
        .size:           8
        .value_kind:     by_value
      - .offset:         40
        .size:           4
        .value_kind:     by_value
      - .actual_access:  read_only
        .address_space:  global
        .offset:         48
        .size:           8
        .value_kind:     global_buffer
      - .actual_access:  write_only
        .address_space:  global
        .offset:         56
        .size:           8
        .value_kind:     global_buffer
      - .offset:         64
        .size:           4
        .value_kind:     hidden_block_count_x
      - .offset:         68
        .size:           4
        .value_kind:     hidden_block_count_y
      - .offset:         72
        .size:           4
        .value_kind:     hidden_block_count_z
      - .offset:         76
        .size:           2
        .value_kind:     hidden_group_size_x
      - .offset:         78
        .size:           2
        .value_kind:     hidden_group_size_y
      - .offset:         80
        .size:           2
        .value_kind:     hidden_group_size_z
      - .offset:         82
        .size:           2
        .value_kind:     hidden_remainder_x
      - .offset:         84
        .size:           2
        .value_kind:     hidden_remainder_y
      - .offset:         86
        .size:           2
        .value_kind:     hidden_remainder_z
      - .offset:         104
        .size:           8
        .value_kind:     hidden_global_offset_x
      - .offset:         112
        .size:           8
        .value_kind:     hidden_global_offset_y
      - .offset:         120
        .size:           8
        .value_kind:     hidden_global_offset_z
      - .offset:         128
        .size:           2
        .value_kind:     hidden_grid_dims
    .group_segment_fixed_size: 256
    .kernarg_segment_align: 8
    .kernarg_segment_size: 320
    .language:       OpenCL C
    .language_version:
      - 2
      - 0
    .max_flat_workgroup_size: 1024
    .name:           _ZL24rocblas_dot_kernel_magsqIiLb1ELi1024ELi32ELb0EdPKPKddEviT5_lT_liPT6_PT4_
    .private_segment_fixed_size: 0
    .sgpr_count:     24
    .sgpr_spill_count: 0
    .symbol:         _ZL24rocblas_dot_kernel_magsqIiLb1ELi1024ELi32ELb0EdPKPKddEviT5_lT_liPT6_PT4_.kd
    .uniform_work_group_size: 1
    .uses_dynamic_stack: false
    .vgpr_count:     18
    .vgpr_spill_count: 0
    .wavefront_size: 32
  - .args:
      - .offset:         0
        .size:           4
        .value_kind:     by_value
      - .actual_access:  read_only
        .address_space:  global
        .offset:         8
        .size:           8
        .value_kind:     global_buffer
      - .offset:         16
        .size:           8
        .value_kind:     by_value
      - .offset:         24
        .size:           8
        .value_kind:     by_value
      - .actual_access:  read_only
        .address_space:  global
        .offset:         32
        .size:           8
        .value_kind:     global_buffer
      - .offset:         40
        .size:           8
        .value_kind:     by_value
      - .offset:         48
        .size:           8
        .value_kind:     by_value
      - .offset:         56
        .size:           4
        .value_kind:     by_value
      - .actual_access:  write_only
        .address_space:  global
        .offset:         64
        .size:           8
        .value_kind:     global_buffer
      - .actual_access:  write_only
        .address_space:  global
        .offset:         72
        .size:           8
        .value_kind:     global_buffer
      - .offset:         80
        .size:           4
        .value_kind:     hidden_block_count_x
      - .offset:         84
        .size:           4
        .value_kind:     hidden_block_count_y
      - .offset:         88
        .size:           4
        .value_kind:     hidden_block_count_z
      - .offset:         92
        .size:           2
        .value_kind:     hidden_group_size_x
      - .offset:         94
        .size:           2
        .value_kind:     hidden_group_size_y
      - .offset:         96
        .size:           2
        .value_kind:     hidden_group_size_z
      - .offset:         98
        .size:           2
        .value_kind:     hidden_remainder_x
      - .offset:         100
        .size:           2
        .value_kind:     hidden_remainder_y
      - .offset:         102
        .size:           2
        .value_kind:     hidden_remainder_z
      - .offset:         120
        .size:           8
        .value_kind:     hidden_global_offset_x
      - .offset:         128
        .size:           8
        .value_kind:     hidden_global_offset_y
      - .offset:         136
        .size:           8
        .value_kind:     hidden_global_offset_z
      - .offset:         144
        .size:           2
        .value_kind:     hidden_grid_dims
    .group_segment_fixed_size: 256
    .kernarg_segment_align: 8
    .kernarg_segment_size: 336
    .language:       OpenCL C
    .language_version:
      - 2
      - 0
    .max_flat_workgroup_size: 512
    .name:           _ZL23rocblas_dot_kernel_inc1ILb0ELi512ELi2ELb0EdPKPKddEviT4_llS4_lliPT5_PT3_
    .private_segment_fixed_size: 0
    .sgpr_count:     40
    .sgpr_spill_count: 0
    .symbol:         _ZL23rocblas_dot_kernel_inc1ILb0ELi512ELi2ELb0EdPKPKddEviT4_llS4_lliPT5_PT3_.kd
    .uniform_work_group_size: 1
    .uses_dynamic_stack: false
    .vgpr_count:     22
    .vgpr_spill_count: 0
    .wavefront_size: 32
  - .args:
      - .offset:         0
        .size:           4
        .value_kind:     by_value
      - .actual_access:  read_only
        .address_space:  global
        .offset:         8
        .size:           8
        .value_kind:     global_buffer
      - .offset:         16
        .size:           8
        .value_kind:     by_value
      - .offset:         24
        .size:           4
        .value_kind:     by_value
      - .offset:         32
        .size:           8
        .value_kind:     by_value
      - .actual_access:  read_only
        .address_space:  global
        .offset:         40
        .size:           8
        .value_kind:     global_buffer
      - .offset:         48
        .size:           8
        .value_kind:     by_value
      - .offset:         56
        .size:           4
        .value_kind:     by_value
      - .offset:         64
        .size:           8
        .value_kind:     by_value
      - .offset:         72
        .size:           4
        .value_kind:     by_value
      - .actual_access:  write_only
        .address_space:  global
        .offset:         80
        .size:           8
        .value_kind:     global_buffer
      - .actual_access:  write_only
        .address_space:  global
        .offset:         88
        .size:           8
        .value_kind:     global_buffer
      - .offset:         96
        .size:           4
        .value_kind:     hidden_block_count_x
      - .offset:         100
        .size:           4
        .value_kind:     hidden_block_count_y
      - .offset:         104
        .size:           4
        .value_kind:     hidden_block_count_z
      - .offset:         108
        .size:           2
        .value_kind:     hidden_group_size_x
      - .offset:         110
        .size:           2
        .value_kind:     hidden_group_size_y
      - .offset:         112
        .size:           2
        .value_kind:     hidden_group_size_z
      - .offset:         114
        .size:           2
        .value_kind:     hidden_remainder_x
      - .offset:         116
        .size:           2
        .value_kind:     hidden_remainder_y
      - .offset:         118
        .size:           2
        .value_kind:     hidden_remainder_z
      - .offset:         136
        .size:           8
        .value_kind:     hidden_global_offset_x
      - .offset:         144
        .size:           8
        .value_kind:     hidden_global_offset_y
      - .offset:         152
        .size:           8
        .value_kind:     hidden_global_offset_z
      - .offset:         160
        .size:           2
        .value_kind:     hidden_grid_dims
    .group_segment_fixed_size: 256
    .kernarg_segment_align: 8
    .kernarg_segment_size: 352
    .language:       OpenCL C
    .language_version:
      - 2
      - 0
    .max_flat_workgroup_size: 512
    .name:           _ZL18rocblas_dot_kernelIiLb0ELi512ELi2ELb0EdPKPKddEviT5_lT_lS4_lS5_liPT6_PT4_
    .private_segment_fixed_size: 0
    .sgpr_count:     40
    .sgpr_spill_count: 0
    .symbol:         _ZL18rocblas_dot_kernelIiLb0ELi512ELi2ELb0EdPKPKddEviT5_lT_lS4_lS5_liPT6_PT4_.kd
    .uniform_work_group_size: 1
    .uses_dynamic_stack: false
    .vgpr_count:     22
    .vgpr_spill_count: 0
    .wavefront_size: 32
  - .args:
      - .offset:         0
        .size:           4
        .value_kind:     by_value
      - .actual_access:  read_only
        .address_space:  global
        .offset:         8
        .size:           8
        .value_kind:     global_buffer
      - .offset:         16
        .size:           8
        .value_kind:     by_value
      - .offset:         24
        .size:           4
        .value_kind:     by_value
      - .offset:         32
        .size:           8
        .value_kind:     by_value
      - .offset:         40
        .size:           4
        .value_kind:     by_value
      - .actual_access:  write_only
        .address_space:  global
        .offset:         48
        .size:           8
        .value_kind:     global_buffer
      - .actual_access:  write_only
        .address_space:  global
        .offset:         56
        .size:           8
        .value_kind:     global_buffer
      - .offset:         64
        .size:           4
        .value_kind:     hidden_block_count_x
      - .offset:         68
        .size:           4
        .value_kind:     hidden_block_count_y
      - .offset:         72
        .size:           4
        .value_kind:     hidden_block_count_z
      - .offset:         76
        .size:           2
        .value_kind:     hidden_group_size_x
      - .offset:         78
        .size:           2
        .value_kind:     hidden_group_size_y
      - .offset:         80
        .size:           2
        .value_kind:     hidden_group_size_z
      - .offset:         82
        .size:           2
        .value_kind:     hidden_remainder_x
      - .offset:         84
        .size:           2
        .value_kind:     hidden_remainder_y
      - .offset:         86
        .size:           2
        .value_kind:     hidden_remainder_z
      - .offset:         104
        .size:           8
        .value_kind:     hidden_global_offset_x
      - .offset:         112
        .size:           8
        .value_kind:     hidden_global_offset_y
      - .offset:         120
        .size:           8
        .value_kind:     hidden_global_offset_z
      - .offset:         128
        .size:           2
        .value_kind:     hidden_grid_dims
    .group_segment_fixed_size: 256
    .kernarg_segment_align: 8
    .kernarg_segment_size: 320
    .language:       OpenCL C
    .language_version:
      - 2
      - 0
    .max_flat_workgroup_size: 512
    .name:           _ZL24rocblas_dot_kernel_magsqIiLb0ELi512ELi2ELb0EdPKPKddEviT5_lT_liPT6_PT4_
    .private_segment_fixed_size: 0
    .sgpr_count:     28
    .sgpr_spill_count: 0
    .symbol:         _ZL24rocblas_dot_kernel_magsqIiLb0ELi512ELi2ELb0EdPKPKddEviT5_lT_liPT6_PT4_.kd
    .uniform_work_group_size: 1
    .uses_dynamic_stack: false
    .vgpr_count:     16
    .vgpr_spill_count: 0
    .wavefront_size: 32
  - .args:
      - .offset:         0
        .size:           4
        .value_kind:     by_value
      - .actual_access:  read_only
        .address_space:  global
        .offset:         8
        .size:           8
        .value_kind:     global_buffer
      - .offset:         16
        .size:           8
        .value_kind:     by_value
      - .offset:         24
        .size:           4
        .value_kind:     by_value
      - .offset:         32
        .size:           8
        .value_kind:     by_value
      - .actual_access:  read_only
        .address_space:  global
        .offset:         40
        .size:           8
        .value_kind:     global_buffer
      - .offset:         48
        .size:           8
        .value_kind:     by_value
      - .offset:         56
        .size:           4
        .value_kind:     by_value
      - .offset:         64
        .size:           8
        .value_kind:     by_value
      - .offset:         72
        .size:           4
        .value_kind:     by_value
      - .actual_access:  write_only
        .address_space:  global
        .offset:         80
        .size:           8
        .value_kind:     global_buffer
    .group_segment_fixed_size: 0
    .kernarg_segment_align: 8
    .kernarg_segment_size: 88
    .language:       OpenCL C
    .language_version:
      - 2
      - 0
    .max_flat_workgroup_size: 128
    .name:           _ZL28rocblas_dot_batched_4_kernelIiLi32ELi4ELb0E19rocblas_complex_numIfES1_PKPKS1_EviT5_lT_lS6_lS7_liPT4_
    .private_segment_fixed_size: 0
    .sgpr_count:     18
    .sgpr_spill_count: 0
    .symbol:         _ZL28rocblas_dot_batched_4_kernelIiLi32ELi4ELb0E19rocblas_complex_numIfES1_PKPKS1_EviT5_lT_lS6_lS7_liPT4_.kd
    .uniform_work_group_size: 1
    .uses_dynamic_stack: false
    .vgpr_count:     20
    .vgpr_spill_count: 0
    .wavefront_size: 32
  - .args:
      - .offset:         0
        .size:           4
        .value_kind:     by_value
      - .actual_access:  read_only
        .address_space:  global
        .offset:         8
        .size:           8
        .value_kind:     global_buffer
      - .offset:         16
        .size:           8
        .value_kind:     by_value
      - .offset:         24
        .size:           4
        .value_kind:     by_value
      - .offset:         32
        .size:           8
        .value_kind:     by_value
      - .actual_access:  read_only
        .address_space:  global
        .offset:         40
        .size:           8
        .value_kind:     global_buffer
      - .offset:         48
        .size:           8
        .value_kind:     by_value
      - .offset:         56
        .size:           4
        .value_kind:     by_value
      - .offset:         64
        .size:           8
        .value_kind:     by_value
      - .offset:         72
        .size:           4
        .value_kind:     by_value
      - .actual_access:  write_only
        .address_space:  global
        .offset:         80
        .size:           8
        .value_kind:     global_buffer
    .group_segment_fixed_size: 0
    .kernarg_segment_align: 8
    .kernarg_segment_size: 88
    .language:       OpenCL C
    .language_version:
      - 2
      - 0
    .max_flat_workgroup_size: 256
    .name:           _ZL28rocblas_dot_batched_4_kernelIiLi64ELi4ELb0E19rocblas_complex_numIfES1_PKPKS1_EviT5_lT_lS6_lS7_liPT4_
    .private_segment_fixed_size: 0
    .sgpr_count:     18
    .sgpr_spill_count: 0
    .symbol:         _ZL28rocblas_dot_batched_4_kernelIiLi64ELi4ELb0E19rocblas_complex_numIfES1_PKPKS1_EviT5_lT_lS6_lS7_liPT4_.kd
    .uniform_work_group_size: 1
    .uses_dynamic_stack: false
    .vgpr_count:     20
    .vgpr_spill_count: 0
    .wavefront_size: 32
  - .args:
      - .offset:         0
        .size:           4
        .value_kind:     by_value
      - .actual_access:  read_only
        .address_space:  global
        .offset:         8
        .size:           8
        .value_kind:     global_buffer
      - .offset:         16
        .size:           8
        .value_kind:     by_value
      - .offset:         24
        .size:           8
        .value_kind:     by_value
      - .actual_access:  read_only
        .address_space:  global
        .offset:         32
        .size:           8
        .value_kind:     global_buffer
      - .offset:         40
        .size:           8
        .value_kind:     by_value
      - .offset:         48
        .size:           8
        .value_kind:     by_value
      - .offset:         56
        .size:           4
        .value_kind:     by_value
      - .actual_access:  read_only
        .address_space:  global
        .offset:         64
        .size:           8
        .value_kind:     global_buffer
      - .actual_access:  write_only
        .address_space:  global
        .offset:         72
        .size:           8
        .value_kind:     global_buffer
    .group_segment_fixed_size: 256
    .kernarg_segment_align: 8
    .kernarg_segment_size: 80
    .language:       OpenCL C
    .language_version:
      - 2
      - 0
    .max_flat_workgroup_size: 1024
    .name:           _ZL26rocblas_dot_kernel_inc1by2ILb1ELi1024ELi32ELb0E19rocblas_complex_numIfEPKPKS1_S1_EviT4_llS6_lliPT5_PT3_
    .private_segment_fixed_size: 0
    .sgpr_count:     28
    .sgpr_spill_count: 0
    .symbol:         _ZL26rocblas_dot_kernel_inc1by2ILb1ELi1024ELi32ELb0E19rocblas_complex_numIfEPKPKS1_S1_EviT4_llS6_lliPT5_PT3_.kd
    .uniform_work_group_size: 1
    .uses_dynamic_stack: false
    .vgpr_count:     26
    .vgpr_spill_count: 0
    .wavefront_size: 32
  - .args:
      - .offset:         0
        .size:           4
        .value_kind:     by_value
      - .actual_access:  read_only
        .address_space:  global
        .offset:         8
        .size:           8
        .value_kind:     global_buffer
      - .offset:         16
        .size:           8
        .value_kind:     by_value
      - .offset:         24
        .size:           4
        .value_kind:     by_value
      - .offset:         32
        .size:           8
        .value_kind:     by_value
      - .actual_access:  read_only
        .address_space:  global
        .offset:         40
        .size:           8
        .value_kind:     global_buffer
      - .offset:         48
        .size:           8
        .value_kind:     by_value
      - .offset:         56
        .size:           4
        .value_kind:     by_value
      - .offset:         64
        .size:           8
        .value_kind:     by_value
      - .offset:         72
        .size:           4
        .value_kind:     by_value
      - .actual_access:  read_only
        .address_space:  global
        .offset:         80
        .size:           8
        .value_kind:     global_buffer
      - .actual_access:  write_only
        .address_space:  global
        .offset:         88
        .size:           8
        .value_kind:     global_buffer
      - .offset:         96
        .size:           4
        .value_kind:     hidden_block_count_x
      - .offset:         100
        .size:           4
        .value_kind:     hidden_block_count_y
      - .offset:         104
        .size:           4
        .value_kind:     hidden_block_count_z
      - .offset:         108
        .size:           2
        .value_kind:     hidden_group_size_x
      - .offset:         110
        .size:           2
        .value_kind:     hidden_group_size_y
      - .offset:         112
        .size:           2
        .value_kind:     hidden_group_size_z
      - .offset:         114
        .size:           2
        .value_kind:     hidden_remainder_x
      - .offset:         116
        .size:           2
        .value_kind:     hidden_remainder_y
      - .offset:         118
        .size:           2
        .value_kind:     hidden_remainder_z
      - .offset:         136
        .size:           8
        .value_kind:     hidden_global_offset_x
      - .offset:         144
        .size:           8
        .value_kind:     hidden_global_offset_y
      - .offset:         152
        .size:           8
        .value_kind:     hidden_global_offset_z
      - .offset:         160
        .size:           2
        .value_kind:     hidden_grid_dims
    .group_segment_fixed_size: 256
    .kernarg_segment_align: 8
    .kernarg_segment_size: 352
    .language:       OpenCL C
    .language_version:
      - 2
      - 0
    .max_flat_workgroup_size: 1024
    .name:           _ZL18rocblas_dot_kernelIiLb1ELi1024ELi32ELb0E19rocblas_complex_numIfEPKPKS1_S1_EviT5_lT_lS6_lS7_liPT6_PT4_
    .private_segment_fixed_size: 0
    .sgpr_count:     40
    .sgpr_spill_count: 0
    .symbol:         _ZL18rocblas_dot_kernelIiLb1ELi1024ELi32ELb0E19rocblas_complex_numIfEPKPKS1_S1_EviT5_lT_lS6_lS7_liPT6_PT4_.kd
    .uniform_work_group_size: 1
    .uses_dynamic_stack: false
    .vgpr_count:     26
    .vgpr_spill_count: 0
    .wavefront_size: 32
  - .args:
      - .offset:         0
        .size:           4
        .value_kind:     by_value
      - .actual_access:  read_only
        .address_space:  global
        .offset:         8
        .size:           8
        .value_kind:     global_buffer
      - .offset:         16
        .size:           8
        .value_kind:     by_value
      - .offset:         24
        .size:           4
        .value_kind:     by_value
      - .offset:         32
        .size:           8
        .value_kind:     by_value
      - .offset:         40
        .size:           4
        .value_kind:     by_value
      - .actual_access:  read_only
        .address_space:  global
        .offset:         48
        .size:           8
        .value_kind:     global_buffer
      - .actual_access:  write_only
        .address_space:  global
        .offset:         56
        .size:           8
        .value_kind:     global_buffer
      - .offset:         64
        .size:           4
        .value_kind:     hidden_block_count_x
      - .offset:         68
        .size:           4
        .value_kind:     hidden_block_count_y
      - .offset:         72
        .size:           4
        .value_kind:     hidden_block_count_z
      - .offset:         76
        .size:           2
        .value_kind:     hidden_group_size_x
      - .offset:         78
        .size:           2
        .value_kind:     hidden_group_size_y
      - .offset:         80
        .size:           2
        .value_kind:     hidden_group_size_z
      - .offset:         82
        .size:           2
        .value_kind:     hidden_remainder_x
      - .offset:         84
        .size:           2
        .value_kind:     hidden_remainder_y
      - .offset:         86
        .size:           2
        .value_kind:     hidden_remainder_z
      - .offset:         104
        .size:           8
        .value_kind:     hidden_global_offset_x
      - .offset:         112
        .size:           8
        .value_kind:     hidden_global_offset_y
      - .offset:         120
        .size:           8
        .value_kind:     hidden_global_offset_z
      - .offset:         128
        .size:           2
        .value_kind:     hidden_grid_dims
    .group_segment_fixed_size: 256
    .kernarg_segment_align: 8
    .kernarg_segment_size: 320
    .language:       OpenCL C
    .language_version:
      - 2
      - 0
    .max_flat_workgroup_size: 1024
    .name:           _ZL24rocblas_dot_kernel_magsqIiLb1ELi1024ELi32ELb0E19rocblas_complex_numIfEPKPKS1_S1_EviT5_lT_liPT6_PT4_
    .private_segment_fixed_size: 0
    .sgpr_count:     24
    .sgpr_spill_count: 0
    .symbol:         _ZL24rocblas_dot_kernel_magsqIiLb1ELi1024ELi32ELb0E19rocblas_complex_numIfEPKPKS1_S1_EviT5_lT_liPT6_PT4_.kd
    .uniform_work_group_size: 1
    .uses_dynamic_stack: false
    .vgpr_count:     22
    .vgpr_spill_count: 0
    .wavefront_size: 32
  - .args:
      - .offset:         0
        .size:           4
        .value_kind:     by_value
      - .actual_access:  read_only
        .address_space:  global
        .offset:         8
        .size:           8
        .value_kind:     global_buffer
      - .offset:         16
        .size:           8
        .value_kind:     by_value
      - .offset:         24
        .size:           4
        .value_kind:     by_value
      - .offset:         32
        .size:           8
        .value_kind:     by_value
      - .actual_access:  read_only
        .address_space:  global
        .offset:         40
        .size:           8
        .value_kind:     global_buffer
      - .offset:         48
        .size:           8
        .value_kind:     by_value
      - .offset:         56
        .size:           4
        .value_kind:     by_value
      - .offset:         64
        .size:           8
        .value_kind:     by_value
      - .actual_access:  read_only
        .address_space:  global
        .offset:         72
        .size:           8
        .value_kind:     global_buffer
      - .actual_access:  read_only
        .address_space:  global
        .offset:         80
        .size:           8
        .value_kind:     global_buffer
    .group_segment_fixed_size: 0
    .kernarg_segment_align: 8
    .kernarg_segment_size: 88
    .language:       OpenCL C
    .language_version:
      - 2
      - 0
    .max_flat_workgroup_size: 1024
    .name:           _ZL38rocblas_dot_kernel_gfx942_float_doubleIiLi1024E19rocblas_complex_numIfEPKPKS1_S1_EviT2_lT_lS6_lS7_lPT3_PT1_
    .private_segment_fixed_size: 0
    .sgpr_count:     0
    .sgpr_spill_count: 0
    .symbol:         _ZL38rocblas_dot_kernel_gfx942_float_doubleIiLi1024E19rocblas_complex_numIfEPKPKS1_S1_EviT2_lT_lS6_lS7_lPT3_PT1_.kd
    .uniform_work_group_size: 1
    .uses_dynamic_stack: false
    .vgpr_count:     0
    .vgpr_spill_count: 0
    .wavefront_size: 32
  - .args:
      - .offset:         0
        .size:           4
        .value_kind:     by_value
      - .actual_access:  read_only
        .address_space:  global
        .offset:         8
        .size:           8
        .value_kind:     global_buffer
      - .offset:         16
        .size:           8
        .value_kind:     by_value
      - .offset:         24
        .size:           8
        .value_kind:     by_value
      - .actual_access:  read_only
        .address_space:  global
        .offset:         32
        .size:           8
        .value_kind:     global_buffer
      - .offset:         40
        .size:           8
        .value_kind:     by_value
      - .offset:         48
        .size:           8
        .value_kind:     by_value
      - .offset:         56
        .size:           4
        .value_kind:     by_value
      - .actual_access:  write_only
        .address_space:  global
        .offset:         64
        .size:           8
        .value_kind:     global_buffer
      - .actual_access:  write_only
        .address_space:  global
        .offset:         72
        .size:           8
        .value_kind:     global_buffer
      - .offset:         80
        .size:           4
        .value_kind:     hidden_block_count_x
      - .offset:         84
        .size:           4
        .value_kind:     hidden_block_count_y
      - .offset:         88
        .size:           4
        .value_kind:     hidden_block_count_z
      - .offset:         92
        .size:           2
        .value_kind:     hidden_group_size_x
      - .offset:         94
        .size:           2
        .value_kind:     hidden_group_size_y
      - .offset:         96
        .size:           2
        .value_kind:     hidden_group_size_z
      - .offset:         98
        .size:           2
        .value_kind:     hidden_remainder_x
      - .offset:         100
        .size:           2
        .value_kind:     hidden_remainder_y
      - .offset:         102
        .size:           2
        .value_kind:     hidden_remainder_z
      - .offset:         120
        .size:           8
        .value_kind:     hidden_global_offset_x
      - .offset:         128
        .size:           8
        .value_kind:     hidden_global_offset_y
      - .offset:         136
        .size:           8
        .value_kind:     hidden_global_offset_z
      - .offset:         144
        .size:           2
        .value_kind:     hidden_grid_dims
    .group_segment_fixed_size: 256
    .kernarg_segment_align: 8
    .kernarg_segment_size: 336
    .language:       OpenCL C
    .language_version:
      - 2
      - 0
    .max_flat_workgroup_size: 512
    .name:           _ZL23rocblas_dot_kernel_inc1ILb0ELi512ELi2ELb0E19rocblas_complex_numIfEPKPKS1_S1_EviT4_llS6_lliPT5_PT3_
    .private_segment_fixed_size: 0
    .sgpr_count:     40
    .sgpr_spill_count: 0
    .symbol:         _ZL23rocblas_dot_kernel_inc1ILb0ELi512ELi2ELb0E19rocblas_complex_numIfEPKPKS1_S1_EviT4_llS6_lliPT5_PT3_.kd
    .uniform_work_group_size: 1
    .uses_dynamic_stack: false
    .vgpr_count:     22
    .vgpr_spill_count: 0
    .wavefront_size: 32
  - .args:
      - .offset:         0
        .size:           4
        .value_kind:     by_value
      - .actual_access:  read_only
        .address_space:  global
        .offset:         8
        .size:           8
        .value_kind:     global_buffer
      - .offset:         16
        .size:           8
        .value_kind:     by_value
      - .offset:         24
        .size:           4
        .value_kind:     by_value
      - .offset:         32
        .size:           8
        .value_kind:     by_value
      - .actual_access:  read_only
        .address_space:  global
        .offset:         40
        .size:           8
        .value_kind:     global_buffer
      - .offset:         48
        .size:           8
        .value_kind:     by_value
      - .offset:         56
        .size:           4
        .value_kind:     by_value
      - .offset:         64
        .size:           8
        .value_kind:     by_value
      - .offset:         72
        .size:           4
        .value_kind:     by_value
      - .actual_access:  write_only
        .address_space:  global
        .offset:         80
        .size:           8
        .value_kind:     global_buffer
      - .actual_access:  write_only
        .address_space:  global
        .offset:         88
        .size:           8
        .value_kind:     global_buffer
      - .offset:         96
        .size:           4
        .value_kind:     hidden_block_count_x
      - .offset:         100
        .size:           4
        .value_kind:     hidden_block_count_y
      - .offset:         104
        .size:           4
        .value_kind:     hidden_block_count_z
      - .offset:         108
        .size:           2
        .value_kind:     hidden_group_size_x
      - .offset:         110
        .size:           2
        .value_kind:     hidden_group_size_y
      - .offset:         112
        .size:           2
        .value_kind:     hidden_group_size_z
      - .offset:         114
        .size:           2
        .value_kind:     hidden_remainder_x
      - .offset:         116
        .size:           2
        .value_kind:     hidden_remainder_y
      - .offset:         118
        .size:           2
        .value_kind:     hidden_remainder_z
      - .offset:         136
        .size:           8
        .value_kind:     hidden_global_offset_x
      - .offset:         144
        .size:           8
        .value_kind:     hidden_global_offset_y
      - .offset:         152
        .size:           8
        .value_kind:     hidden_global_offset_z
      - .offset:         160
        .size:           2
        .value_kind:     hidden_grid_dims
    .group_segment_fixed_size: 256
    .kernarg_segment_align: 8
    .kernarg_segment_size: 352
    .language:       OpenCL C
    .language_version:
      - 2
      - 0
    .max_flat_workgroup_size: 512
    .name:           _ZL18rocblas_dot_kernelIiLb0ELi512ELi2ELb0E19rocblas_complex_numIfEPKPKS1_S1_EviT5_lT_lS6_lS7_liPT6_PT4_
    .private_segment_fixed_size: 0
    .sgpr_count:     40
    .sgpr_spill_count: 0
    .symbol:         _ZL18rocblas_dot_kernelIiLb0ELi512ELi2ELb0E19rocblas_complex_numIfEPKPKS1_S1_EviT5_lT_lS6_lS7_liPT6_PT4_.kd
    .uniform_work_group_size: 1
    .uses_dynamic_stack: false
    .vgpr_count:     22
    .vgpr_spill_count: 0
    .wavefront_size: 32
  - .args:
      - .offset:         0
        .size:           4
        .value_kind:     by_value
      - .actual_access:  read_only
        .address_space:  global
        .offset:         8
        .size:           8
        .value_kind:     global_buffer
      - .offset:         16
        .size:           8
        .value_kind:     by_value
      - .offset:         24
        .size:           4
        .value_kind:     by_value
      - .offset:         32
        .size:           8
        .value_kind:     by_value
      - .offset:         40
        .size:           4
        .value_kind:     by_value
      - .actual_access:  write_only
        .address_space:  global
        .offset:         48
        .size:           8
        .value_kind:     global_buffer
      - .actual_access:  write_only
        .address_space:  global
        .offset:         56
        .size:           8
        .value_kind:     global_buffer
      - .offset:         64
        .size:           4
        .value_kind:     hidden_block_count_x
      - .offset:         68
        .size:           4
        .value_kind:     hidden_block_count_y
      - .offset:         72
        .size:           4
        .value_kind:     hidden_block_count_z
      - .offset:         76
        .size:           2
        .value_kind:     hidden_group_size_x
      - .offset:         78
        .size:           2
        .value_kind:     hidden_group_size_y
      - .offset:         80
        .size:           2
        .value_kind:     hidden_group_size_z
      - .offset:         82
        .size:           2
        .value_kind:     hidden_remainder_x
      - .offset:         84
        .size:           2
        .value_kind:     hidden_remainder_y
      - .offset:         86
        .size:           2
        .value_kind:     hidden_remainder_z
      - .offset:         104
        .size:           8
        .value_kind:     hidden_global_offset_x
      - .offset:         112
        .size:           8
        .value_kind:     hidden_global_offset_y
      - .offset:         120
        .size:           8
        .value_kind:     hidden_global_offset_z
      - .offset:         128
        .size:           2
        .value_kind:     hidden_grid_dims
    .group_segment_fixed_size: 256
    .kernarg_segment_align: 8
    .kernarg_segment_size: 320
    .language:       OpenCL C
    .language_version:
      - 2
      - 0
    .max_flat_workgroup_size: 512
    .name:           _ZL24rocblas_dot_kernel_magsqIiLb0ELi512ELi2ELb0E19rocblas_complex_numIfEPKPKS1_S1_EviT5_lT_liPT6_PT4_
    .private_segment_fixed_size: 0
    .sgpr_count:     28
    .sgpr_spill_count: 0
    .symbol:         _ZL24rocblas_dot_kernel_magsqIiLb0ELi512ELi2ELb0E19rocblas_complex_numIfEPKPKS1_S1_EviT5_lT_liPT6_PT4_.kd
    .uniform_work_group_size: 1
    .uses_dynamic_stack: false
    .vgpr_count:     20
    .vgpr_spill_count: 0
    .wavefront_size: 32
  - .args:
      - .offset:         0
        .size:           4
        .value_kind:     by_value
      - .actual_access:  read_only
        .address_space:  global
        .offset:         8
        .size:           8
        .value_kind:     global_buffer
      - .offset:         16
        .size:           8
        .value_kind:     by_value
      - .offset:         24
        .size:           4
        .value_kind:     by_value
      - .offset:         32
        .size:           8
        .value_kind:     by_value
      - .actual_access:  read_only
        .address_space:  global
        .offset:         40
        .size:           8
        .value_kind:     global_buffer
      - .offset:         48
        .size:           8
        .value_kind:     by_value
      - .offset:         56
        .size:           4
        .value_kind:     by_value
      - .offset:         64
        .size:           8
        .value_kind:     by_value
      - .offset:         72
        .size:           4
        .value_kind:     by_value
      - .actual_access:  write_only
        .address_space:  global
        .offset:         80
        .size:           8
        .value_kind:     global_buffer
    .group_segment_fixed_size: 0
    .kernarg_segment_align: 8
    .kernarg_segment_size: 88
    .language:       OpenCL C
    .language_version:
      - 2
      - 0
    .max_flat_workgroup_size: 128
    .name:           _ZL28rocblas_dot_batched_4_kernelIiLi32ELi4ELb0E19rocblas_complex_numIdES1_PKPKS1_EviT5_lT_lS6_lS7_liPT4_
    .private_segment_fixed_size: 0
    .sgpr_count:     18
    .sgpr_spill_count: 0
    .symbol:         _ZL28rocblas_dot_batched_4_kernelIiLi32ELi4ELb0E19rocblas_complex_numIdES1_PKPKS1_EviT5_lT_lS6_lS7_liPT4_.kd
    .uniform_work_group_size: 1
    .uses_dynamic_stack: false
    .vgpr_count:     22
    .vgpr_spill_count: 0
    .wavefront_size: 32
  - .args:
      - .offset:         0
        .size:           4
        .value_kind:     by_value
      - .actual_access:  read_only
        .address_space:  global
        .offset:         8
        .size:           8
        .value_kind:     global_buffer
      - .offset:         16
        .size:           8
        .value_kind:     by_value
      - .offset:         24
        .size:           4
        .value_kind:     by_value
      - .offset:         32
        .size:           8
        .value_kind:     by_value
      - .actual_access:  read_only
        .address_space:  global
        .offset:         40
        .size:           8
        .value_kind:     global_buffer
      - .offset:         48
        .size:           8
        .value_kind:     by_value
      - .offset:         56
        .size:           4
        .value_kind:     by_value
      - .offset:         64
        .size:           8
        .value_kind:     by_value
      - .offset:         72
        .size:           4
        .value_kind:     by_value
      - .actual_access:  write_only
        .address_space:  global
        .offset:         80
        .size:           8
        .value_kind:     global_buffer
    .group_segment_fixed_size: 0
    .kernarg_segment_align: 8
    .kernarg_segment_size: 88
    .language:       OpenCL C
    .language_version:
      - 2
      - 0
    .max_flat_workgroup_size: 256
    .name:           _ZL28rocblas_dot_batched_4_kernelIiLi64ELi4ELb0E19rocblas_complex_numIdES1_PKPKS1_EviT5_lT_lS6_lS7_liPT4_
    .private_segment_fixed_size: 0
    .sgpr_count:     18
    .sgpr_spill_count: 0
    .symbol:         _ZL28rocblas_dot_batched_4_kernelIiLi64ELi4ELb0E19rocblas_complex_numIdES1_PKPKS1_EviT5_lT_lS6_lS7_liPT4_.kd
    .uniform_work_group_size: 1
    .uses_dynamic_stack: false
    .vgpr_count:     22
    .vgpr_spill_count: 0
    .wavefront_size: 32
  - .args:
      - .offset:         0
        .size:           4
        .value_kind:     by_value
      - .actual_access:  read_only
        .address_space:  global
        .offset:         8
        .size:           8
        .value_kind:     global_buffer
      - .offset:         16
        .size:           8
        .value_kind:     by_value
      - .offset:         24
        .size:           8
        .value_kind:     by_value
      - .actual_access:  read_only
        .address_space:  global
        .offset:         32
        .size:           8
        .value_kind:     global_buffer
      - .offset:         40
        .size:           8
        .value_kind:     by_value
      - .offset:         48
        .size:           8
        .value_kind:     by_value
      - .offset:         56
        .size:           4
        .value_kind:     by_value
      - .actual_access:  read_only
        .address_space:  global
        .offset:         64
        .size:           8
        .value_kind:     global_buffer
      - .actual_access:  write_only
        .address_space:  global
        .offset:         72
        .size:           8
        .value_kind:     global_buffer
    .group_segment_fixed_size: 512
    .kernarg_segment_align: 8
    .kernarg_segment_size: 80
    .language:       OpenCL C
    .language_version:
      - 2
      - 0
    .max_flat_workgroup_size: 1024
    .name:           _ZL26rocblas_dot_kernel_inc1by2ILb1ELi1024ELi32ELb0E19rocblas_complex_numIdEPKPKS1_S1_EviT4_llS6_lliPT5_PT3_
    .private_segment_fixed_size: 0
    .sgpr_count:     28
    .sgpr_spill_count: 0
    .symbol:         _ZL26rocblas_dot_kernel_inc1by2ILb1ELi1024ELi32ELb0E19rocblas_complex_numIdEPKPKS1_S1_EviT4_llS6_lliPT5_PT3_.kd
    .uniform_work_group_size: 1
    .uses_dynamic_stack: false
    .vgpr_count:     30
    .vgpr_spill_count: 0
    .wavefront_size: 32
  - .args:
      - .offset:         0
        .size:           4
        .value_kind:     by_value
      - .actual_access:  read_only
        .address_space:  global
        .offset:         8
        .size:           8
        .value_kind:     global_buffer
      - .offset:         16
        .size:           8
        .value_kind:     by_value
      - .offset:         24
        .size:           4
        .value_kind:     by_value
      - .offset:         32
        .size:           8
        .value_kind:     by_value
      - .actual_access:  read_only
        .address_space:  global
        .offset:         40
        .size:           8
        .value_kind:     global_buffer
      - .offset:         48
        .size:           8
        .value_kind:     by_value
      - .offset:         56
        .size:           4
        .value_kind:     by_value
      - .offset:         64
        .size:           8
        .value_kind:     by_value
      - .offset:         72
        .size:           4
        .value_kind:     by_value
      - .actual_access:  read_only
        .address_space:  global
        .offset:         80
        .size:           8
        .value_kind:     global_buffer
      - .actual_access:  write_only
        .address_space:  global
        .offset:         88
        .size:           8
        .value_kind:     global_buffer
      - .offset:         96
        .size:           4
        .value_kind:     hidden_block_count_x
      - .offset:         100
        .size:           4
        .value_kind:     hidden_block_count_y
      - .offset:         104
        .size:           4
        .value_kind:     hidden_block_count_z
      - .offset:         108
        .size:           2
        .value_kind:     hidden_group_size_x
      - .offset:         110
        .size:           2
        .value_kind:     hidden_group_size_y
      - .offset:         112
        .size:           2
        .value_kind:     hidden_group_size_z
      - .offset:         114
        .size:           2
        .value_kind:     hidden_remainder_x
      - .offset:         116
        .size:           2
        .value_kind:     hidden_remainder_y
      - .offset:         118
        .size:           2
        .value_kind:     hidden_remainder_z
      - .offset:         136
        .size:           8
        .value_kind:     hidden_global_offset_x
      - .offset:         144
        .size:           8
        .value_kind:     hidden_global_offset_y
      - .offset:         152
        .size:           8
        .value_kind:     hidden_global_offset_z
      - .offset:         160
        .size:           2
        .value_kind:     hidden_grid_dims
    .group_segment_fixed_size: 512
    .kernarg_segment_align: 8
    .kernarg_segment_size: 352
    .language:       OpenCL C
    .language_version:
      - 2
      - 0
    .max_flat_workgroup_size: 1024
    .name:           _ZL18rocblas_dot_kernelIiLb1ELi1024ELi32ELb0E19rocblas_complex_numIdEPKPKS1_S1_EviT5_lT_lS6_lS7_liPT6_PT4_
    .private_segment_fixed_size: 0
    .sgpr_count:     40
    .sgpr_spill_count: 0
    .symbol:         _ZL18rocblas_dot_kernelIiLb1ELi1024ELi32ELb0E19rocblas_complex_numIdEPKPKS1_S1_EviT5_lT_lS6_lS7_liPT6_PT4_.kd
    .uniform_work_group_size: 1
    .uses_dynamic_stack: false
    .vgpr_count:     28
    .vgpr_spill_count: 0
    .wavefront_size: 32
  - .args:
      - .offset:         0
        .size:           4
        .value_kind:     by_value
      - .actual_access:  read_only
        .address_space:  global
        .offset:         8
        .size:           8
        .value_kind:     global_buffer
      - .offset:         16
        .size:           8
        .value_kind:     by_value
      - .offset:         24
        .size:           4
        .value_kind:     by_value
      - .offset:         32
        .size:           8
        .value_kind:     by_value
      - .offset:         40
        .size:           4
        .value_kind:     by_value
      - .actual_access:  read_only
        .address_space:  global
        .offset:         48
        .size:           8
        .value_kind:     global_buffer
      - .actual_access:  write_only
        .address_space:  global
        .offset:         56
        .size:           8
        .value_kind:     global_buffer
      - .offset:         64
        .size:           4
        .value_kind:     hidden_block_count_x
      - .offset:         68
        .size:           4
        .value_kind:     hidden_block_count_y
      - .offset:         72
        .size:           4
        .value_kind:     hidden_block_count_z
      - .offset:         76
        .size:           2
        .value_kind:     hidden_group_size_x
      - .offset:         78
        .size:           2
        .value_kind:     hidden_group_size_y
      - .offset:         80
        .size:           2
        .value_kind:     hidden_group_size_z
      - .offset:         82
        .size:           2
        .value_kind:     hidden_remainder_x
      - .offset:         84
        .size:           2
        .value_kind:     hidden_remainder_y
      - .offset:         86
        .size:           2
        .value_kind:     hidden_remainder_z
      - .offset:         104
        .size:           8
        .value_kind:     hidden_global_offset_x
      - .offset:         112
        .size:           8
        .value_kind:     hidden_global_offset_y
      - .offset:         120
        .size:           8
        .value_kind:     hidden_global_offset_z
      - .offset:         128
        .size:           2
        .value_kind:     hidden_grid_dims
    .group_segment_fixed_size: 512
    .kernarg_segment_align: 8
    .kernarg_segment_size: 320
    .language:       OpenCL C
    .language_version:
      - 2
      - 0
    .max_flat_workgroup_size: 1024
    .name:           _ZL24rocblas_dot_kernel_magsqIiLb1ELi1024ELi32ELb0E19rocblas_complex_numIdEPKPKS1_S1_EviT5_lT_liPT6_PT4_
    .private_segment_fixed_size: 0
    .sgpr_count:     24
    .sgpr_spill_count: 0
    .symbol:         _ZL24rocblas_dot_kernel_magsqIiLb1ELi1024ELi32ELb0E19rocblas_complex_numIdEPKPKS1_S1_EviT5_lT_liPT6_PT4_.kd
    .uniform_work_group_size: 1
    .uses_dynamic_stack: false
    .vgpr_count:     22
    .vgpr_spill_count: 0
    .wavefront_size: 32
  - .args:
      - .offset:         0
        .size:           4
        .value_kind:     by_value
      - .actual_access:  read_only
        .address_space:  global
        .offset:         8
        .size:           8
        .value_kind:     global_buffer
      - .offset:         16
        .size:           8
        .value_kind:     by_value
      - .offset:         24
        .size:           4
        .value_kind:     by_value
      - .offset:         32
        .size:           8
        .value_kind:     by_value
      - .actual_access:  read_only
        .address_space:  global
        .offset:         40
        .size:           8
        .value_kind:     global_buffer
      - .offset:         48
        .size:           8
        .value_kind:     by_value
      - .offset:         56
        .size:           4
        .value_kind:     by_value
      - .offset:         64
        .size:           8
        .value_kind:     by_value
      - .actual_access:  read_only
        .address_space:  global
        .offset:         72
        .size:           8
        .value_kind:     global_buffer
      - .actual_access:  read_only
        .address_space:  global
        .offset:         80
        .size:           8
        .value_kind:     global_buffer
    .group_segment_fixed_size: 0
    .kernarg_segment_align: 8
    .kernarg_segment_size: 88
    .language:       OpenCL C
    .language_version:
      - 2
      - 0
    .max_flat_workgroup_size: 1024
    .name:           _ZL38rocblas_dot_kernel_gfx942_float_doubleIiLi1024E19rocblas_complex_numIdEPKPKS1_S1_EviT2_lT_lS6_lS7_lPT3_PT1_
    .private_segment_fixed_size: 0
    .sgpr_count:     0
    .sgpr_spill_count: 0
    .symbol:         _ZL38rocblas_dot_kernel_gfx942_float_doubleIiLi1024E19rocblas_complex_numIdEPKPKS1_S1_EviT2_lT_lS6_lS7_lPT3_PT1_.kd
    .uniform_work_group_size: 1
    .uses_dynamic_stack: false
    .vgpr_count:     0
    .vgpr_spill_count: 0
    .wavefront_size: 32
  - .args:
      - .offset:         0
        .size:           4
        .value_kind:     by_value
      - .actual_access:  read_only
        .address_space:  global
        .offset:         8
        .size:           8
        .value_kind:     global_buffer
      - .offset:         16
        .size:           8
        .value_kind:     by_value
      - .offset:         24
        .size:           8
        .value_kind:     by_value
      - .actual_access:  read_only
        .address_space:  global
        .offset:         32
        .size:           8
        .value_kind:     global_buffer
      - .offset:         40
        .size:           8
        .value_kind:     by_value
      - .offset:         48
        .size:           8
        .value_kind:     by_value
      - .offset:         56
        .size:           4
        .value_kind:     by_value
      - .actual_access:  write_only
        .address_space:  global
        .offset:         64
        .size:           8
        .value_kind:     global_buffer
      - .actual_access:  write_only
        .address_space:  global
        .offset:         72
        .size:           8
        .value_kind:     global_buffer
      - .offset:         80
        .size:           4
        .value_kind:     hidden_block_count_x
      - .offset:         84
        .size:           4
        .value_kind:     hidden_block_count_y
      - .offset:         88
        .size:           4
        .value_kind:     hidden_block_count_z
      - .offset:         92
        .size:           2
        .value_kind:     hidden_group_size_x
      - .offset:         94
        .size:           2
        .value_kind:     hidden_group_size_y
      - .offset:         96
        .size:           2
        .value_kind:     hidden_group_size_z
      - .offset:         98
        .size:           2
        .value_kind:     hidden_remainder_x
      - .offset:         100
        .size:           2
        .value_kind:     hidden_remainder_y
      - .offset:         102
        .size:           2
        .value_kind:     hidden_remainder_z
      - .offset:         120
        .size:           8
        .value_kind:     hidden_global_offset_x
      - .offset:         128
        .size:           8
        .value_kind:     hidden_global_offset_y
      - .offset:         136
        .size:           8
        .value_kind:     hidden_global_offset_z
      - .offset:         144
        .size:           2
        .value_kind:     hidden_grid_dims
    .group_segment_fixed_size: 512
    .kernarg_segment_align: 8
    .kernarg_segment_size: 336
    .language:       OpenCL C
    .language_version:
      - 2
      - 0
    .max_flat_workgroup_size: 512
    .name:           _ZL23rocblas_dot_kernel_inc1ILb0ELi512ELi2ELb0E19rocblas_complex_numIdEPKPKS1_S1_EviT4_llS6_lliPT5_PT3_
    .private_segment_fixed_size: 0
    .sgpr_count:     40
    .sgpr_spill_count: 0
    .symbol:         _ZL23rocblas_dot_kernel_inc1ILb0ELi512ELi2ELb0E19rocblas_complex_numIdEPKPKS1_S1_EviT4_llS6_lliPT5_PT3_.kd
    .uniform_work_group_size: 1
    .uses_dynamic_stack: false
    .vgpr_count:     28
    .vgpr_spill_count: 0
    .wavefront_size: 32
  - .args:
      - .offset:         0
        .size:           4
        .value_kind:     by_value
      - .actual_access:  read_only
        .address_space:  global
        .offset:         8
        .size:           8
        .value_kind:     global_buffer
      - .offset:         16
        .size:           8
        .value_kind:     by_value
      - .offset:         24
        .size:           4
        .value_kind:     by_value
      - .offset:         32
        .size:           8
        .value_kind:     by_value
      - .actual_access:  read_only
        .address_space:  global
        .offset:         40
        .size:           8
        .value_kind:     global_buffer
      - .offset:         48
        .size:           8
        .value_kind:     by_value
      - .offset:         56
        .size:           4
        .value_kind:     by_value
      - .offset:         64
        .size:           8
        .value_kind:     by_value
      - .offset:         72
        .size:           4
        .value_kind:     by_value
      - .actual_access:  write_only
        .address_space:  global
        .offset:         80
        .size:           8
        .value_kind:     global_buffer
      - .actual_access:  write_only
        .address_space:  global
        .offset:         88
        .size:           8
        .value_kind:     global_buffer
      - .offset:         96
        .size:           4
        .value_kind:     hidden_block_count_x
      - .offset:         100
        .size:           4
        .value_kind:     hidden_block_count_y
      - .offset:         104
        .size:           4
        .value_kind:     hidden_block_count_z
      - .offset:         108
        .size:           2
        .value_kind:     hidden_group_size_x
      - .offset:         110
        .size:           2
        .value_kind:     hidden_group_size_y
      - .offset:         112
        .size:           2
        .value_kind:     hidden_group_size_z
      - .offset:         114
        .size:           2
        .value_kind:     hidden_remainder_x
      - .offset:         116
        .size:           2
        .value_kind:     hidden_remainder_y
      - .offset:         118
        .size:           2
        .value_kind:     hidden_remainder_z
      - .offset:         136
        .size:           8
        .value_kind:     hidden_global_offset_x
      - .offset:         144
        .size:           8
        .value_kind:     hidden_global_offset_y
      - .offset:         152
        .size:           8
        .value_kind:     hidden_global_offset_z
      - .offset:         160
        .size:           2
        .value_kind:     hidden_grid_dims
    .group_segment_fixed_size: 512
    .kernarg_segment_align: 8
    .kernarg_segment_size: 352
    .language:       OpenCL C
    .language_version:
      - 2
      - 0
    .max_flat_workgroup_size: 512
    .name:           _ZL18rocblas_dot_kernelIiLb0ELi512ELi2ELb0E19rocblas_complex_numIdEPKPKS1_S1_EviT5_lT_lS6_lS7_liPT6_PT4_
    .private_segment_fixed_size: 0
    .sgpr_count:     40
    .sgpr_spill_count: 0
    .symbol:         _ZL18rocblas_dot_kernelIiLb0ELi512ELi2ELb0E19rocblas_complex_numIdEPKPKS1_S1_EviT5_lT_lS6_lS7_liPT6_PT4_.kd
    .uniform_work_group_size: 1
    .uses_dynamic_stack: false
    .vgpr_count:     28
    .vgpr_spill_count: 0
    .wavefront_size: 32
  - .args:
      - .offset:         0
        .size:           4
        .value_kind:     by_value
      - .actual_access:  read_only
        .address_space:  global
        .offset:         8
        .size:           8
        .value_kind:     global_buffer
      - .offset:         16
        .size:           8
        .value_kind:     by_value
      - .offset:         24
        .size:           4
        .value_kind:     by_value
      - .offset:         32
        .size:           8
        .value_kind:     by_value
      - .offset:         40
        .size:           4
        .value_kind:     by_value
      - .actual_access:  write_only
        .address_space:  global
        .offset:         48
        .size:           8
        .value_kind:     global_buffer
      - .actual_access:  write_only
        .address_space:  global
        .offset:         56
        .size:           8
        .value_kind:     global_buffer
      - .offset:         64
        .size:           4
        .value_kind:     hidden_block_count_x
      - .offset:         68
        .size:           4
        .value_kind:     hidden_block_count_y
      - .offset:         72
        .size:           4
        .value_kind:     hidden_block_count_z
      - .offset:         76
        .size:           2
        .value_kind:     hidden_group_size_x
      - .offset:         78
        .size:           2
        .value_kind:     hidden_group_size_y
      - .offset:         80
        .size:           2
        .value_kind:     hidden_group_size_z
      - .offset:         82
        .size:           2
        .value_kind:     hidden_remainder_x
      - .offset:         84
        .size:           2
        .value_kind:     hidden_remainder_y
      - .offset:         86
        .size:           2
        .value_kind:     hidden_remainder_z
      - .offset:         104
        .size:           8
        .value_kind:     hidden_global_offset_x
      - .offset:         112
        .size:           8
        .value_kind:     hidden_global_offset_y
      - .offset:         120
        .size:           8
        .value_kind:     hidden_global_offset_z
      - .offset:         128
        .size:           2
        .value_kind:     hidden_grid_dims
    .group_segment_fixed_size: 512
    .kernarg_segment_align: 8
    .kernarg_segment_size: 320
    .language:       OpenCL C
    .language_version:
      - 2
      - 0
    .max_flat_workgroup_size: 512
    .name:           _ZL24rocblas_dot_kernel_magsqIiLb0ELi512ELi2ELb0E19rocblas_complex_numIdEPKPKS1_S1_EviT5_lT_liPT6_PT4_
    .private_segment_fixed_size: 0
    .sgpr_count:     28
    .sgpr_spill_count: 0
    .symbol:         _ZL24rocblas_dot_kernel_magsqIiLb0ELi512ELi2ELb0E19rocblas_complex_numIdEPKPKS1_S1_EviT5_lT_liPT6_PT4_.kd
    .uniform_work_group_size: 1
    .uses_dynamic_stack: false
    .vgpr_count:     24
    .vgpr_spill_count: 0
    .wavefront_size: 32
  - .args:
      - .offset:         0
        .size:           4
        .value_kind:     by_value
      - .actual_access:  read_only
        .address_space:  global
        .offset:         8
        .size:           8
        .value_kind:     global_buffer
      - .offset:         16
        .size:           8
        .value_kind:     by_value
      - .offset:         24
        .size:           4
        .value_kind:     by_value
      - .offset:         32
        .size:           8
        .value_kind:     by_value
      - .actual_access:  read_only
        .address_space:  global
        .offset:         40
        .size:           8
        .value_kind:     global_buffer
      - .offset:         48
        .size:           8
        .value_kind:     by_value
      - .offset:         56
        .size:           4
        .value_kind:     by_value
      - .offset:         64
        .size:           8
        .value_kind:     by_value
      - .offset:         72
        .size:           4
        .value_kind:     by_value
      - .actual_access:  write_only
        .address_space:  global
        .offset:         80
        .size:           8
        .value_kind:     global_buffer
    .group_segment_fixed_size: 0
    .kernarg_segment_align: 8
    .kernarg_segment_size: 88
    .language:       OpenCL C
    .language_version:
      - 2
      - 0
    .max_flat_workgroup_size: 128
    .name:           _ZL28rocblas_dot_batched_4_kernelIiLi32ELi4ELb1E19rocblas_complex_numIfES1_PKPKS1_EviT5_lT_lS6_lS7_liPT4_
    .private_segment_fixed_size: 0
    .sgpr_count:     18
    .sgpr_spill_count: 0
    .symbol:         _ZL28rocblas_dot_batched_4_kernelIiLi32ELi4ELb1E19rocblas_complex_numIfES1_PKPKS1_EviT5_lT_lS6_lS7_liPT4_.kd
    .uniform_work_group_size: 1
    .uses_dynamic_stack: false
    .vgpr_count:     20
    .vgpr_spill_count: 0
    .wavefront_size: 32
  - .args:
      - .offset:         0
        .size:           4
        .value_kind:     by_value
      - .actual_access:  read_only
        .address_space:  global
        .offset:         8
        .size:           8
        .value_kind:     global_buffer
      - .offset:         16
        .size:           8
        .value_kind:     by_value
      - .offset:         24
        .size:           4
        .value_kind:     by_value
      - .offset:         32
        .size:           8
        .value_kind:     by_value
      - .actual_access:  read_only
        .address_space:  global
        .offset:         40
        .size:           8
        .value_kind:     global_buffer
      - .offset:         48
        .size:           8
        .value_kind:     by_value
      - .offset:         56
        .size:           4
        .value_kind:     by_value
      - .offset:         64
        .size:           8
        .value_kind:     by_value
      - .offset:         72
        .size:           4
        .value_kind:     by_value
      - .actual_access:  write_only
        .address_space:  global
        .offset:         80
        .size:           8
        .value_kind:     global_buffer
    .group_segment_fixed_size: 0
    .kernarg_segment_align: 8
    .kernarg_segment_size: 88
    .language:       OpenCL C
    .language_version:
      - 2
      - 0
    .max_flat_workgroup_size: 256
    .name:           _ZL28rocblas_dot_batched_4_kernelIiLi64ELi4ELb1E19rocblas_complex_numIfES1_PKPKS1_EviT5_lT_lS6_lS7_liPT4_
    .private_segment_fixed_size: 0
    .sgpr_count:     18
    .sgpr_spill_count: 0
    .symbol:         _ZL28rocblas_dot_batched_4_kernelIiLi64ELi4ELb1E19rocblas_complex_numIfES1_PKPKS1_EviT5_lT_lS6_lS7_liPT4_.kd
    .uniform_work_group_size: 1
    .uses_dynamic_stack: false
    .vgpr_count:     20
    .vgpr_spill_count: 0
    .wavefront_size: 32
  - .args:
      - .offset:         0
        .size:           4
        .value_kind:     by_value
      - .actual_access:  read_only
        .address_space:  global
        .offset:         8
        .size:           8
        .value_kind:     global_buffer
      - .offset:         16
        .size:           8
        .value_kind:     by_value
      - .offset:         24
        .size:           8
        .value_kind:     by_value
      - .actual_access:  read_only
        .address_space:  global
        .offset:         32
        .size:           8
        .value_kind:     global_buffer
      - .offset:         40
        .size:           8
        .value_kind:     by_value
      - .offset:         48
        .size:           8
        .value_kind:     by_value
      - .offset:         56
        .size:           4
        .value_kind:     by_value
      - .actual_access:  read_only
        .address_space:  global
        .offset:         64
        .size:           8
        .value_kind:     global_buffer
      - .actual_access:  write_only
        .address_space:  global
        .offset:         72
        .size:           8
        .value_kind:     global_buffer
    .group_segment_fixed_size: 256
    .kernarg_segment_align: 8
    .kernarg_segment_size: 80
    .language:       OpenCL C
    .language_version:
      - 2
      - 0
    .max_flat_workgroup_size: 1024
    .name:           _ZL26rocblas_dot_kernel_inc1by2ILb1ELi1024ELi32ELb1E19rocblas_complex_numIfEPKPKS1_S1_EviT4_llS6_lliPT5_PT3_
    .private_segment_fixed_size: 0
    .sgpr_count:     28
    .sgpr_spill_count: 0
    .symbol:         _ZL26rocblas_dot_kernel_inc1by2ILb1ELi1024ELi32ELb1E19rocblas_complex_numIfEPKPKS1_S1_EviT4_llS6_lliPT5_PT3_.kd
    .uniform_work_group_size: 1
    .uses_dynamic_stack: false
    .vgpr_count:     26
    .vgpr_spill_count: 0
    .wavefront_size: 32
  - .args:
      - .offset:         0
        .size:           4
        .value_kind:     by_value
      - .actual_access:  read_only
        .address_space:  global
        .offset:         8
        .size:           8
        .value_kind:     global_buffer
      - .offset:         16
        .size:           8
        .value_kind:     by_value
      - .offset:         24
        .size:           4
        .value_kind:     by_value
      - .offset:         32
        .size:           8
        .value_kind:     by_value
      - .actual_access:  read_only
        .address_space:  global
        .offset:         40
        .size:           8
        .value_kind:     global_buffer
      - .offset:         48
        .size:           8
        .value_kind:     by_value
      - .offset:         56
        .size:           4
        .value_kind:     by_value
      - .offset:         64
        .size:           8
        .value_kind:     by_value
      - .offset:         72
        .size:           4
        .value_kind:     by_value
      - .actual_access:  read_only
        .address_space:  global
        .offset:         80
        .size:           8
        .value_kind:     global_buffer
      - .actual_access:  write_only
        .address_space:  global
        .offset:         88
        .size:           8
        .value_kind:     global_buffer
      - .offset:         96
        .size:           4
        .value_kind:     hidden_block_count_x
      - .offset:         100
        .size:           4
        .value_kind:     hidden_block_count_y
      - .offset:         104
        .size:           4
        .value_kind:     hidden_block_count_z
      - .offset:         108
        .size:           2
        .value_kind:     hidden_group_size_x
      - .offset:         110
        .size:           2
        .value_kind:     hidden_group_size_y
      - .offset:         112
        .size:           2
        .value_kind:     hidden_group_size_z
      - .offset:         114
        .size:           2
        .value_kind:     hidden_remainder_x
      - .offset:         116
        .size:           2
        .value_kind:     hidden_remainder_y
      - .offset:         118
        .size:           2
        .value_kind:     hidden_remainder_z
      - .offset:         136
        .size:           8
        .value_kind:     hidden_global_offset_x
      - .offset:         144
        .size:           8
        .value_kind:     hidden_global_offset_y
      - .offset:         152
        .size:           8
        .value_kind:     hidden_global_offset_z
      - .offset:         160
        .size:           2
        .value_kind:     hidden_grid_dims
    .group_segment_fixed_size: 256
    .kernarg_segment_align: 8
    .kernarg_segment_size: 352
    .language:       OpenCL C
    .language_version:
      - 2
      - 0
    .max_flat_workgroup_size: 1024
    .name:           _ZL18rocblas_dot_kernelIiLb1ELi1024ELi32ELb1E19rocblas_complex_numIfEPKPKS1_S1_EviT5_lT_lS6_lS7_liPT6_PT4_
    .private_segment_fixed_size: 0
    .sgpr_count:     40
    .sgpr_spill_count: 0
    .symbol:         _ZL18rocblas_dot_kernelIiLb1ELi1024ELi32ELb1E19rocblas_complex_numIfEPKPKS1_S1_EviT5_lT_lS6_lS7_liPT6_PT4_.kd
    .uniform_work_group_size: 1
    .uses_dynamic_stack: false
    .vgpr_count:     26
    .vgpr_spill_count: 0
    .wavefront_size: 32
  - .args:
      - .offset:         0
        .size:           4
        .value_kind:     by_value
      - .actual_access:  read_only
        .address_space:  global
        .offset:         8
        .size:           8
        .value_kind:     global_buffer
      - .offset:         16
        .size:           8
        .value_kind:     by_value
      - .offset:         24
        .size:           4
        .value_kind:     by_value
      - .offset:         32
        .size:           8
        .value_kind:     by_value
      - .offset:         40
        .size:           4
        .value_kind:     by_value
      - .actual_access:  read_only
        .address_space:  global
        .offset:         48
        .size:           8
        .value_kind:     global_buffer
      - .actual_access:  write_only
        .address_space:  global
        .offset:         56
        .size:           8
        .value_kind:     global_buffer
      - .offset:         64
        .size:           4
        .value_kind:     hidden_block_count_x
      - .offset:         68
        .size:           4
        .value_kind:     hidden_block_count_y
      - .offset:         72
        .size:           4
        .value_kind:     hidden_block_count_z
      - .offset:         76
        .size:           2
        .value_kind:     hidden_group_size_x
      - .offset:         78
        .size:           2
        .value_kind:     hidden_group_size_y
      - .offset:         80
        .size:           2
        .value_kind:     hidden_group_size_z
      - .offset:         82
        .size:           2
        .value_kind:     hidden_remainder_x
      - .offset:         84
        .size:           2
        .value_kind:     hidden_remainder_y
      - .offset:         86
        .size:           2
        .value_kind:     hidden_remainder_z
      - .offset:         104
        .size:           8
        .value_kind:     hidden_global_offset_x
      - .offset:         112
        .size:           8
        .value_kind:     hidden_global_offset_y
      - .offset:         120
        .size:           8
        .value_kind:     hidden_global_offset_z
      - .offset:         128
        .size:           2
        .value_kind:     hidden_grid_dims
    .group_segment_fixed_size: 256
    .kernarg_segment_align: 8
    .kernarg_segment_size: 320
    .language:       OpenCL C
    .language_version:
      - 2
      - 0
    .max_flat_workgroup_size: 1024
    .name:           _ZL24rocblas_dot_kernel_magsqIiLb1ELi1024ELi32ELb1E19rocblas_complex_numIfEPKPKS1_S1_EviT5_lT_liPT6_PT4_
    .private_segment_fixed_size: 0
    .sgpr_count:     24
    .sgpr_spill_count: 0
    .symbol:         _ZL24rocblas_dot_kernel_magsqIiLb1ELi1024ELi32ELb1E19rocblas_complex_numIfEPKPKS1_S1_EviT5_lT_liPT6_PT4_.kd
    .uniform_work_group_size: 1
    .uses_dynamic_stack: false
    .vgpr_count:     22
    .vgpr_spill_count: 0
    .wavefront_size: 32
  - .args:
      - .offset:         0
        .size:           4
        .value_kind:     by_value
      - .actual_access:  read_only
        .address_space:  global
        .offset:         8
        .size:           8
        .value_kind:     global_buffer
      - .offset:         16
        .size:           8
        .value_kind:     by_value
      - .offset:         24
        .size:           8
        .value_kind:     by_value
      - .actual_access:  read_only
        .address_space:  global
        .offset:         32
        .size:           8
        .value_kind:     global_buffer
      - .offset:         40
        .size:           8
        .value_kind:     by_value
      - .offset:         48
        .size:           8
        .value_kind:     by_value
      - .offset:         56
        .size:           4
        .value_kind:     by_value
      - .actual_access:  write_only
        .address_space:  global
        .offset:         64
        .size:           8
        .value_kind:     global_buffer
      - .actual_access:  write_only
        .address_space:  global
        .offset:         72
        .size:           8
        .value_kind:     global_buffer
      - .offset:         80
        .size:           4
        .value_kind:     hidden_block_count_x
      - .offset:         84
        .size:           4
        .value_kind:     hidden_block_count_y
      - .offset:         88
        .size:           4
        .value_kind:     hidden_block_count_z
      - .offset:         92
        .size:           2
        .value_kind:     hidden_group_size_x
      - .offset:         94
        .size:           2
        .value_kind:     hidden_group_size_y
      - .offset:         96
        .size:           2
        .value_kind:     hidden_group_size_z
      - .offset:         98
        .size:           2
        .value_kind:     hidden_remainder_x
      - .offset:         100
        .size:           2
        .value_kind:     hidden_remainder_y
      - .offset:         102
        .size:           2
        .value_kind:     hidden_remainder_z
      - .offset:         120
        .size:           8
        .value_kind:     hidden_global_offset_x
      - .offset:         128
        .size:           8
        .value_kind:     hidden_global_offset_y
      - .offset:         136
        .size:           8
        .value_kind:     hidden_global_offset_z
      - .offset:         144
        .size:           2
        .value_kind:     hidden_grid_dims
    .group_segment_fixed_size: 256
    .kernarg_segment_align: 8
    .kernarg_segment_size: 336
    .language:       OpenCL C
    .language_version:
      - 2
      - 0
    .max_flat_workgroup_size: 512
    .name:           _ZL23rocblas_dot_kernel_inc1ILb0ELi512ELi2ELb1E19rocblas_complex_numIfEPKPKS1_S1_EviT4_llS6_lliPT5_PT3_
    .private_segment_fixed_size: 0
    .sgpr_count:     40
    .sgpr_spill_count: 0
    .symbol:         _ZL23rocblas_dot_kernel_inc1ILb0ELi512ELi2ELb1E19rocblas_complex_numIfEPKPKS1_S1_EviT4_llS6_lliPT5_PT3_.kd
    .uniform_work_group_size: 1
    .uses_dynamic_stack: false
    .vgpr_count:     22
    .vgpr_spill_count: 0
    .wavefront_size: 32
  - .args:
      - .offset:         0
        .size:           4
        .value_kind:     by_value
      - .actual_access:  read_only
        .address_space:  global
        .offset:         8
        .size:           8
        .value_kind:     global_buffer
      - .offset:         16
        .size:           8
        .value_kind:     by_value
      - .offset:         24
        .size:           4
        .value_kind:     by_value
      - .offset:         32
        .size:           8
        .value_kind:     by_value
      - .actual_access:  read_only
        .address_space:  global
        .offset:         40
        .size:           8
        .value_kind:     global_buffer
      - .offset:         48
        .size:           8
        .value_kind:     by_value
      - .offset:         56
        .size:           4
        .value_kind:     by_value
      - .offset:         64
        .size:           8
        .value_kind:     by_value
      - .offset:         72
        .size:           4
        .value_kind:     by_value
      - .actual_access:  write_only
        .address_space:  global
        .offset:         80
        .size:           8
        .value_kind:     global_buffer
      - .actual_access:  write_only
        .address_space:  global
        .offset:         88
        .size:           8
        .value_kind:     global_buffer
      - .offset:         96
        .size:           4
        .value_kind:     hidden_block_count_x
      - .offset:         100
        .size:           4
        .value_kind:     hidden_block_count_y
      - .offset:         104
        .size:           4
        .value_kind:     hidden_block_count_z
      - .offset:         108
        .size:           2
        .value_kind:     hidden_group_size_x
      - .offset:         110
        .size:           2
        .value_kind:     hidden_group_size_y
      - .offset:         112
        .size:           2
        .value_kind:     hidden_group_size_z
      - .offset:         114
        .size:           2
        .value_kind:     hidden_remainder_x
      - .offset:         116
        .size:           2
        .value_kind:     hidden_remainder_y
      - .offset:         118
        .size:           2
        .value_kind:     hidden_remainder_z
      - .offset:         136
        .size:           8
        .value_kind:     hidden_global_offset_x
      - .offset:         144
        .size:           8
        .value_kind:     hidden_global_offset_y
      - .offset:         152
        .size:           8
        .value_kind:     hidden_global_offset_z
      - .offset:         160
        .size:           2
        .value_kind:     hidden_grid_dims
    .group_segment_fixed_size: 256
    .kernarg_segment_align: 8
    .kernarg_segment_size: 352
    .language:       OpenCL C
    .language_version:
      - 2
      - 0
    .max_flat_workgroup_size: 512
    .name:           _ZL18rocblas_dot_kernelIiLb0ELi512ELi2ELb1E19rocblas_complex_numIfEPKPKS1_S1_EviT5_lT_lS6_lS7_liPT6_PT4_
    .private_segment_fixed_size: 0
    .sgpr_count:     40
    .sgpr_spill_count: 0
    .symbol:         _ZL18rocblas_dot_kernelIiLb0ELi512ELi2ELb1E19rocblas_complex_numIfEPKPKS1_S1_EviT5_lT_lS6_lS7_liPT6_PT4_.kd
    .uniform_work_group_size: 1
    .uses_dynamic_stack: false
    .vgpr_count:     22
    .vgpr_spill_count: 0
    .wavefront_size: 32
  - .args:
      - .offset:         0
        .size:           4
        .value_kind:     by_value
      - .actual_access:  read_only
        .address_space:  global
        .offset:         8
        .size:           8
        .value_kind:     global_buffer
      - .offset:         16
        .size:           8
        .value_kind:     by_value
      - .offset:         24
        .size:           4
        .value_kind:     by_value
      - .offset:         32
        .size:           8
        .value_kind:     by_value
      - .offset:         40
        .size:           4
        .value_kind:     by_value
      - .actual_access:  write_only
        .address_space:  global
        .offset:         48
        .size:           8
        .value_kind:     global_buffer
      - .actual_access:  write_only
        .address_space:  global
        .offset:         56
        .size:           8
        .value_kind:     global_buffer
      - .offset:         64
        .size:           4
        .value_kind:     hidden_block_count_x
      - .offset:         68
        .size:           4
        .value_kind:     hidden_block_count_y
      - .offset:         72
        .size:           4
        .value_kind:     hidden_block_count_z
      - .offset:         76
        .size:           2
        .value_kind:     hidden_group_size_x
      - .offset:         78
        .size:           2
        .value_kind:     hidden_group_size_y
      - .offset:         80
        .size:           2
        .value_kind:     hidden_group_size_z
      - .offset:         82
        .size:           2
        .value_kind:     hidden_remainder_x
      - .offset:         84
        .size:           2
        .value_kind:     hidden_remainder_y
      - .offset:         86
        .size:           2
        .value_kind:     hidden_remainder_z
      - .offset:         104
        .size:           8
        .value_kind:     hidden_global_offset_x
      - .offset:         112
        .size:           8
        .value_kind:     hidden_global_offset_y
      - .offset:         120
        .size:           8
        .value_kind:     hidden_global_offset_z
      - .offset:         128
        .size:           2
        .value_kind:     hidden_grid_dims
    .group_segment_fixed_size: 256
    .kernarg_segment_align: 8
    .kernarg_segment_size: 320
    .language:       OpenCL C
    .language_version:
      - 2
      - 0
    .max_flat_workgroup_size: 512
    .name:           _ZL24rocblas_dot_kernel_magsqIiLb0ELi512ELi2ELb1E19rocblas_complex_numIfEPKPKS1_S1_EviT5_lT_liPT6_PT4_
    .private_segment_fixed_size: 0
    .sgpr_count:     28
    .sgpr_spill_count: 0
    .symbol:         _ZL24rocblas_dot_kernel_magsqIiLb0ELi512ELi2ELb1E19rocblas_complex_numIfEPKPKS1_S1_EviT5_lT_liPT6_PT4_.kd
    .uniform_work_group_size: 1
    .uses_dynamic_stack: false
    .vgpr_count:     20
    .vgpr_spill_count: 0
    .wavefront_size: 32
  - .args:
      - .offset:         0
        .size:           4
        .value_kind:     by_value
      - .actual_access:  read_only
        .address_space:  global
        .offset:         8
        .size:           8
        .value_kind:     global_buffer
      - .offset:         16
        .size:           8
        .value_kind:     by_value
      - .offset:         24
        .size:           4
        .value_kind:     by_value
      - .offset:         32
        .size:           8
        .value_kind:     by_value
      - .actual_access:  read_only
        .address_space:  global
        .offset:         40
        .size:           8
        .value_kind:     global_buffer
      - .offset:         48
        .size:           8
        .value_kind:     by_value
      - .offset:         56
        .size:           4
        .value_kind:     by_value
      - .offset:         64
        .size:           8
        .value_kind:     by_value
      - .offset:         72
        .size:           4
        .value_kind:     by_value
      - .actual_access:  write_only
        .address_space:  global
        .offset:         80
        .size:           8
        .value_kind:     global_buffer
    .group_segment_fixed_size: 0
    .kernarg_segment_align: 8
    .kernarg_segment_size: 88
    .language:       OpenCL C
    .language_version:
      - 2
      - 0
    .max_flat_workgroup_size: 128
    .name:           _ZL28rocblas_dot_batched_4_kernelIiLi32ELi4ELb1E19rocblas_complex_numIdES1_PKPKS1_EviT5_lT_lS6_lS7_liPT4_
    .private_segment_fixed_size: 0
    .sgpr_count:     18
    .sgpr_spill_count: 0
    .symbol:         _ZL28rocblas_dot_batched_4_kernelIiLi32ELi4ELb1E19rocblas_complex_numIdES1_PKPKS1_EviT5_lT_lS6_lS7_liPT4_.kd
    .uniform_work_group_size: 1
    .uses_dynamic_stack: false
    .vgpr_count:     22
    .vgpr_spill_count: 0
    .wavefront_size: 32
  - .args:
      - .offset:         0
        .size:           4
        .value_kind:     by_value
      - .actual_access:  read_only
        .address_space:  global
        .offset:         8
        .size:           8
        .value_kind:     global_buffer
      - .offset:         16
        .size:           8
        .value_kind:     by_value
      - .offset:         24
        .size:           4
        .value_kind:     by_value
      - .offset:         32
        .size:           8
        .value_kind:     by_value
      - .actual_access:  read_only
        .address_space:  global
        .offset:         40
        .size:           8
        .value_kind:     global_buffer
      - .offset:         48
        .size:           8
        .value_kind:     by_value
      - .offset:         56
        .size:           4
        .value_kind:     by_value
      - .offset:         64
        .size:           8
        .value_kind:     by_value
      - .offset:         72
        .size:           4
        .value_kind:     by_value
      - .actual_access:  write_only
        .address_space:  global
        .offset:         80
        .size:           8
        .value_kind:     global_buffer
    .group_segment_fixed_size: 0
    .kernarg_segment_align: 8
    .kernarg_segment_size: 88
    .language:       OpenCL C
    .language_version:
      - 2
      - 0
    .max_flat_workgroup_size: 256
    .name:           _ZL28rocblas_dot_batched_4_kernelIiLi64ELi4ELb1E19rocblas_complex_numIdES1_PKPKS1_EviT5_lT_lS6_lS7_liPT4_
    .private_segment_fixed_size: 0
    .sgpr_count:     18
    .sgpr_spill_count: 0
    .symbol:         _ZL28rocblas_dot_batched_4_kernelIiLi64ELi4ELb1E19rocblas_complex_numIdES1_PKPKS1_EviT5_lT_lS6_lS7_liPT4_.kd
    .uniform_work_group_size: 1
    .uses_dynamic_stack: false
    .vgpr_count:     22
    .vgpr_spill_count: 0
    .wavefront_size: 32
  - .args:
      - .offset:         0
        .size:           4
        .value_kind:     by_value
      - .actual_access:  read_only
        .address_space:  global
        .offset:         8
        .size:           8
        .value_kind:     global_buffer
      - .offset:         16
        .size:           8
        .value_kind:     by_value
      - .offset:         24
        .size:           8
        .value_kind:     by_value
      - .actual_access:  read_only
        .address_space:  global
        .offset:         32
        .size:           8
        .value_kind:     global_buffer
      - .offset:         40
        .size:           8
        .value_kind:     by_value
      - .offset:         48
        .size:           8
        .value_kind:     by_value
      - .offset:         56
        .size:           4
        .value_kind:     by_value
      - .actual_access:  read_only
        .address_space:  global
        .offset:         64
        .size:           8
        .value_kind:     global_buffer
      - .actual_access:  write_only
        .address_space:  global
        .offset:         72
        .size:           8
        .value_kind:     global_buffer
    .group_segment_fixed_size: 512
    .kernarg_segment_align: 8
    .kernarg_segment_size: 80
    .language:       OpenCL C
    .language_version:
      - 2
      - 0
    .max_flat_workgroup_size: 1024
    .name:           _ZL26rocblas_dot_kernel_inc1by2ILb1ELi1024ELi32ELb1E19rocblas_complex_numIdEPKPKS1_S1_EviT4_llS6_lliPT5_PT3_
    .private_segment_fixed_size: 0
    .sgpr_count:     28
    .sgpr_spill_count: 0
    .symbol:         _ZL26rocblas_dot_kernel_inc1by2ILb1ELi1024ELi32ELb1E19rocblas_complex_numIdEPKPKS1_S1_EviT4_llS6_lliPT5_PT3_.kd
    .uniform_work_group_size: 1
    .uses_dynamic_stack: false
    .vgpr_count:     30
    .vgpr_spill_count: 0
    .wavefront_size: 32
  - .args:
      - .offset:         0
        .size:           4
        .value_kind:     by_value
      - .actual_access:  read_only
        .address_space:  global
        .offset:         8
        .size:           8
        .value_kind:     global_buffer
      - .offset:         16
        .size:           8
        .value_kind:     by_value
      - .offset:         24
        .size:           4
        .value_kind:     by_value
      - .offset:         32
        .size:           8
        .value_kind:     by_value
      - .actual_access:  read_only
        .address_space:  global
        .offset:         40
        .size:           8
        .value_kind:     global_buffer
      - .offset:         48
        .size:           8
        .value_kind:     by_value
      - .offset:         56
        .size:           4
        .value_kind:     by_value
      - .offset:         64
        .size:           8
        .value_kind:     by_value
      - .offset:         72
        .size:           4
        .value_kind:     by_value
      - .actual_access:  read_only
        .address_space:  global
        .offset:         80
        .size:           8
        .value_kind:     global_buffer
      - .actual_access:  write_only
        .address_space:  global
        .offset:         88
        .size:           8
        .value_kind:     global_buffer
      - .offset:         96
        .size:           4
        .value_kind:     hidden_block_count_x
      - .offset:         100
        .size:           4
        .value_kind:     hidden_block_count_y
      - .offset:         104
        .size:           4
        .value_kind:     hidden_block_count_z
      - .offset:         108
        .size:           2
        .value_kind:     hidden_group_size_x
      - .offset:         110
        .size:           2
        .value_kind:     hidden_group_size_y
      - .offset:         112
        .size:           2
        .value_kind:     hidden_group_size_z
      - .offset:         114
        .size:           2
        .value_kind:     hidden_remainder_x
      - .offset:         116
        .size:           2
        .value_kind:     hidden_remainder_y
      - .offset:         118
        .size:           2
        .value_kind:     hidden_remainder_z
      - .offset:         136
        .size:           8
        .value_kind:     hidden_global_offset_x
      - .offset:         144
        .size:           8
        .value_kind:     hidden_global_offset_y
      - .offset:         152
        .size:           8
        .value_kind:     hidden_global_offset_z
      - .offset:         160
        .size:           2
        .value_kind:     hidden_grid_dims
    .group_segment_fixed_size: 512
    .kernarg_segment_align: 8
    .kernarg_segment_size: 352
    .language:       OpenCL C
    .language_version:
      - 2
      - 0
    .max_flat_workgroup_size: 1024
    .name:           _ZL18rocblas_dot_kernelIiLb1ELi1024ELi32ELb1E19rocblas_complex_numIdEPKPKS1_S1_EviT5_lT_lS6_lS7_liPT6_PT4_
    .private_segment_fixed_size: 0
    .sgpr_count:     40
    .sgpr_spill_count: 0
    .symbol:         _ZL18rocblas_dot_kernelIiLb1ELi1024ELi32ELb1E19rocblas_complex_numIdEPKPKS1_S1_EviT5_lT_lS6_lS7_liPT6_PT4_.kd
    .uniform_work_group_size: 1
    .uses_dynamic_stack: false
    .vgpr_count:     28
    .vgpr_spill_count: 0
    .wavefront_size: 32
  - .args:
      - .offset:         0
        .size:           4
        .value_kind:     by_value
      - .actual_access:  read_only
        .address_space:  global
        .offset:         8
        .size:           8
        .value_kind:     global_buffer
      - .offset:         16
        .size:           8
        .value_kind:     by_value
      - .offset:         24
        .size:           4
        .value_kind:     by_value
      - .offset:         32
        .size:           8
        .value_kind:     by_value
      - .offset:         40
        .size:           4
        .value_kind:     by_value
      - .actual_access:  read_only
        .address_space:  global
        .offset:         48
        .size:           8
        .value_kind:     global_buffer
      - .actual_access:  write_only
        .address_space:  global
        .offset:         56
        .size:           8
        .value_kind:     global_buffer
      - .offset:         64
        .size:           4
        .value_kind:     hidden_block_count_x
      - .offset:         68
        .size:           4
        .value_kind:     hidden_block_count_y
      - .offset:         72
        .size:           4
        .value_kind:     hidden_block_count_z
      - .offset:         76
        .size:           2
        .value_kind:     hidden_group_size_x
      - .offset:         78
        .size:           2
        .value_kind:     hidden_group_size_y
      - .offset:         80
        .size:           2
        .value_kind:     hidden_group_size_z
      - .offset:         82
        .size:           2
        .value_kind:     hidden_remainder_x
      - .offset:         84
        .size:           2
        .value_kind:     hidden_remainder_y
      - .offset:         86
        .size:           2
        .value_kind:     hidden_remainder_z
      - .offset:         104
        .size:           8
        .value_kind:     hidden_global_offset_x
      - .offset:         112
        .size:           8
        .value_kind:     hidden_global_offset_y
      - .offset:         120
        .size:           8
        .value_kind:     hidden_global_offset_z
      - .offset:         128
        .size:           2
        .value_kind:     hidden_grid_dims
    .group_segment_fixed_size: 512
    .kernarg_segment_align: 8
    .kernarg_segment_size: 320
    .language:       OpenCL C
    .language_version:
      - 2
      - 0
    .max_flat_workgroup_size: 1024
    .name:           _ZL24rocblas_dot_kernel_magsqIiLb1ELi1024ELi32ELb1E19rocblas_complex_numIdEPKPKS1_S1_EviT5_lT_liPT6_PT4_
    .private_segment_fixed_size: 0
    .sgpr_count:     24
    .sgpr_spill_count: 0
    .symbol:         _ZL24rocblas_dot_kernel_magsqIiLb1ELi1024ELi32ELb1E19rocblas_complex_numIdEPKPKS1_S1_EviT5_lT_liPT6_PT4_.kd
    .uniform_work_group_size: 1
    .uses_dynamic_stack: false
    .vgpr_count:     24
    .vgpr_spill_count: 0
    .wavefront_size: 32
  - .args:
      - .offset:         0
        .size:           4
        .value_kind:     by_value
      - .actual_access:  read_only
        .address_space:  global
        .offset:         8
        .size:           8
        .value_kind:     global_buffer
      - .offset:         16
        .size:           8
        .value_kind:     by_value
      - .offset:         24
        .size:           8
        .value_kind:     by_value
      - .actual_access:  read_only
        .address_space:  global
        .offset:         32
        .size:           8
        .value_kind:     global_buffer
      - .offset:         40
        .size:           8
        .value_kind:     by_value
      - .offset:         48
        .size:           8
        .value_kind:     by_value
      - .offset:         56
        .size:           4
        .value_kind:     by_value
      - .actual_access:  write_only
        .address_space:  global
        .offset:         64
        .size:           8
        .value_kind:     global_buffer
      - .actual_access:  write_only
        .address_space:  global
        .offset:         72
        .size:           8
        .value_kind:     global_buffer
      - .offset:         80
        .size:           4
        .value_kind:     hidden_block_count_x
      - .offset:         84
        .size:           4
        .value_kind:     hidden_block_count_y
      - .offset:         88
        .size:           4
        .value_kind:     hidden_block_count_z
      - .offset:         92
        .size:           2
        .value_kind:     hidden_group_size_x
      - .offset:         94
        .size:           2
        .value_kind:     hidden_group_size_y
      - .offset:         96
        .size:           2
        .value_kind:     hidden_group_size_z
      - .offset:         98
        .size:           2
        .value_kind:     hidden_remainder_x
      - .offset:         100
        .size:           2
        .value_kind:     hidden_remainder_y
      - .offset:         102
        .size:           2
        .value_kind:     hidden_remainder_z
      - .offset:         120
        .size:           8
        .value_kind:     hidden_global_offset_x
      - .offset:         128
        .size:           8
        .value_kind:     hidden_global_offset_y
      - .offset:         136
        .size:           8
        .value_kind:     hidden_global_offset_z
      - .offset:         144
        .size:           2
        .value_kind:     hidden_grid_dims
    .group_segment_fixed_size: 512
    .kernarg_segment_align: 8
    .kernarg_segment_size: 336
    .language:       OpenCL C
    .language_version:
      - 2
      - 0
    .max_flat_workgroup_size: 512
    .name:           _ZL23rocblas_dot_kernel_inc1ILb0ELi512ELi2ELb1E19rocblas_complex_numIdEPKPKS1_S1_EviT4_llS6_lliPT5_PT3_
    .private_segment_fixed_size: 0
    .sgpr_count:     40
    .sgpr_spill_count: 0
    .symbol:         _ZL23rocblas_dot_kernel_inc1ILb0ELi512ELi2ELb1E19rocblas_complex_numIdEPKPKS1_S1_EviT4_llS6_lliPT5_PT3_.kd
    .uniform_work_group_size: 1
    .uses_dynamic_stack: false
    .vgpr_count:     28
    .vgpr_spill_count: 0
    .wavefront_size: 32
  - .args:
      - .offset:         0
        .size:           4
        .value_kind:     by_value
      - .actual_access:  read_only
        .address_space:  global
        .offset:         8
        .size:           8
        .value_kind:     global_buffer
      - .offset:         16
        .size:           8
        .value_kind:     by_value
      - .offset:         24
        .size:           4
        .value_kind:     by_value
      - .offset:         32
        .size:           8
        .value_kind:     by_value
      - .actual_access:  read_only
        .address_space:  global
        .offset:         40
        .size:           8
        .value_kind:     global_buffer
      - .offset:         48
        .size:           8
        .value_kind:     by_value
      - .offset:         56
        .size:           4
        .value_kind:     by_value
      - .offset:         64
        .size:           8
        .value_kind:     by_value
      - .offset:         72
        .size:           4
        .value_kind:     by_value
      - .actual_access:  write_only
        .address_space:  global
        .offset:         80
        .size:           8
        .value_kind:     global_buffer
      - .actual_access:  write_only
        .address_space:  global
        .offset:         88
        .size:           8
        .value_kind:     global_buffer
      - .offset:         96
        .size:           4
        .value_kind:     hidden_block_count_x
      - .offset:         100
        .size:           4
        .value_kind:     hidden_block_count_y
      - .offset:         104
        .size:           4
        .value_kind:     hidden_block_count_z
      - .offset:         108
        .size:           2
        .value_kind:     hidden_group_size_x
      - .offset:         110
        .size:           2
        .value_kind:     hidden_group_size_y
      - .offset:         112
        .size:           2
        .value_kind:     hidden_group_size_z
      - .offset:         114
        .size:           2
        .value_kind:     hidden_remainder_x
      - .offset:         116
        .size:           2
        .value_kind:     hidden_remainder_y
      - .offset:         118
        .size:           2
        .value_kind:     hidden_remainder_z
      - .offset:         136
        .size:           8
        .value_kind:     hidden_global_offset_x
      - .offset:         144
        .size:           8
        .value_kind:     hidden_global_offset_y
      - .offset:         152
        .size:           8
        .value_kind:     hidden_global_offset_z
      - .offset:         160
        .size:           2
        .value_kind:     hidden_grid_dims
    .group_segment_fixed_size: 512
    .kernarg_segment_align: 8
    .kernarg_segment_size: 352
    .language:       OpenCL C
    .language_version:
      - 2
      - 0
    .max_flat_workgroup_size: 512
    .name:           _ZL18rocblas_dot_kernelIiLb0ELi512ELi2ELb1E19rocblas_complex_numIdEPKPKS1_S1_EviT5_lT_lS6_lS7_liPT6_PT4_
    .private_segment_fixed_size: 0
    .sgpr_count:     40
    .sgpr_spill_count: 0
    .symbol:         _ZL18rocblas_dot_kernelIiLb0ELi512ELi2ELb1E19rocblas_complex_numIdEPKPKS1_S1_EviT5_lT_lS6_lS7_liPT6_PT4_.kd
    .uniform_work_group_size: 1
    .uses_dynamic_stack: false
    .vgpr_count:     28
    .vgpr_spill_count: 0
    .wavefront_size: 32
  - .args:
      - .offset:         0
        .size:           4
        .value_kind:     by_value
      - .actual_access:  read_only
        .address_space:  global
        .offset:         8
        .size:           8
        .value_kind:     global_buffer
      - .offset:         16
        .size:           8
        .value_kind:     by_value
      - .offset:         24
        .size:           4
        .value_kind:     by_value
      - .offset:         32
        .size:           8
        .value_kind:     by_value
      - .offset:         40
        .size:           4
        .value_kind:     by_value
      - .actual_access:  write_only
        .address_space:  global
        .offset:         48
        .size:           8
        .value_kind:     global_buffer
      - .actual_access:  write_only
        .address_space:  global
        .offset:         56
        .size:           8
        .value_kind:     global_buffer
      - .offset:         64
        .size:           4
        .value_kind:     hidden_block_count_x
      - .offset:         68
        .size:           4
        .value_kind:     hidden_block_count_y
      - .offset:         72
        .size:           4
        .value_kind:     hidden_block_count_z
      - .offset:         76
        .size:           2
        .value_kind:     hidden_group_size_x
      - .offset:         78
        .size:           2
        .value_kind:     hidden_group_size_y
      - .offset:         80
        .size:           2
        .value_kind:     hidden_group_size_z
      - .offset:         82
        .size:           2
        .value_kind:     hidden_remainder_x
      - .offset:         84
        .size:           2
        .value_kind:     hidden_remainder_y
      - .offset:         86
        .size:           2
        .value_kind:     hidden_remainder_z
      - .offset:         104
        .size:           8
        .value_kind:     hidden_global_offset_x
      - .offset:         112
        .size:           8
        .value_kind:     hidden_global_offset_y
      - .offset:         120
        .size:           8
        .value_kind:     hidden_global_offset_z
      - .offset:         128
        .size:           2
        .value_kind:     hidden_grid_dims
    .group_segment_fixed_size: 512
    .kernarg_segment_align: 8
    .kernarg_segment_size: 320
    .language:       OpenCL C
    .language_version:
      - 2
      - 0
    .max_flat_workgroup_size: 512
    .name:           _ZL24rocblas_dot_kernel_magsqIiLb0ELi512ELi2ELb1E19rocblas_complex_numIdEPKPKS1_S1_EviT5_lT_liPT6_PT4_
    .private_segment_fixed_size: 0
    .sgpr_count:     28
    .sgpr_spill_count: 0
    .symbol:         _ZL24rocblas_dot_kernel_magsqIiLb0ELi512ELi2ELb1E19rocblas_complex_numIdEPKPKS1_S1_EviT5_lT_liPT6_PT4_.kd
    .uniform_work_group_size: 1
    .uses_dynamic_stack: false
    .vgpr_count:     24
    .vgpr_spill_count: 0
    .wavefront_size: 32
  - .args:
      - .offset:         0
        .size:           4
        .value_kind:     by_value
      - .actual_access:  read_only
        .address_space:  global
        .offset:         8
        .size:           8
        .value_kind:     global_buffer
      - .offset:         16
        .size:           8
        .value_kind:     by_value
      - .offset:         24
        .size:           4
        .value_kind:     by_value
      - .offset:         32
        .size:           8
        .value_kind:     by_value
      - .actual_access:  read_only
        .address_space:  global
        .offset:         40
        .size:           8
        .value_kind:     global_buffer
      - .offset:         48
        .size:           8
        .value_kind:     by_value
      - .offset:         56
        .size:           4
        .value_kind:     by_value
      - .offset:         64
        .size:           8
        .value_kind:     by_value
      - .offset:         72
        .size:           4
        .value_kind:     by_value
      - .actual_access:  write_only
        .address_space:  global
        .offset:         80
        .size:           8
        .value_kind:     global_buffer
    .group_segment_fixed_size: 0
    .kernarg_segment_align: 8
    .kernarg_segment_size: 88
    .language:       OpenCL C
    .language_version:
      - 2
      - 0
    .max_flat_workgroup_size: 128
    .name:           _ZL28rocblas_dot_batched_4_kernelIiLi32ELi4ELb0EfDF16_PKDF16_EviT5_lT_lS2_lS3_liPT4_
    .private_segment_fixed_size: 0
    .sgpr_count:     21
    .sgpr_spill_count: 0
    .symbol:         _ZL28rocblas_dot_batched_4_kernelIiLi32ELi4ELb0EfDF16_PKDF16_EviT5_lT_lS2_lS3_liPT4_.kd
    .uniform_work_group_size: 1
    .uses_dynamic_stack: false
    .vgpr_count:     12
    .vgpr_spill_count: 0
    .wavefront_size: 32
  - .args:
      - .offset:         0
        .size:           4
        .value_kind:     by_value
      - .actual_access:  read_only
        .address_space:  global
        .offset:         8
        .size:           8
        .value_kind:     global_buffer
      - .offset:         16
        .size:           8
        .value_kind:     by_value
      - .offset:         24
        .size:           4
        .value_kind:     by_value
      - .offset:         32
        .size:           8
        .value_kind:     by_value
      - .actual_access:  read_only
        .address_space:  global
        .offset:         40
        .size:           8
        .value_kind:     global_buffer
      - .offset:         48
        .size:           8
        .value_kind:     by_value
      - .offset:         56
        .size:           4
        .value_kind:     by_value
      - .offset:         64
        .size:           8
        .value_kind:     by_value
      - .offset:         72
        .size:           4
        .value_kind:     by_value
      - .actual_access:  write_only
        .address_space:  global
        .offset:         80
        .size:           8
        .value_kind:     global_buffer
    .group_segment_fixed_size: 0
    .kernarg_segment_align: 8
    .kernarg_segment_size: 88
    .language:       OpenCL C
    .language_version:
      - 2
      - 0
    .max_flat_workgroup_size: 256
    .name:           _ZL28rocblas_dot_batched_4_kernelIiLi64ELi4ELb0EfDF16_PKDF16_EviT5_lT_lS2_lS3_liPT4_
    .private_segment_fixed_size: 0
    .sgpr_count:     21
    .sgpr_spill_count: 0
    .symbol:         _ZL28rocblas_dot_batched_4_kernelIiLi64ELi4ELb0EfDF16_PKDF16_EviT5_lT_lS2_lS3_liPT4_.kd
    .uniform_work_group_size: 1
    .uses_dynamic_stack: false
    .vgpr_count:     12
    .vgpr_spill_count: 0
    .wavefront_size: 32
  - .args:
      - .offset:         0
        .size:           4
        .value_kind:     by_value
      - .actual_access:  read_only
        .address_space:  global
        .offset:         8
        .size:           8
        .value_kind:     global_buffer
      - .offset:         16
        .size:           8
        .value_kind:     by_value
      - .offset:         24
        .size:           8
        .value_kind:     by_value
      - .actual_access:  read_only
        .address_space:  global
        .offset:         32
        .size:           8
        .value_kind:     global_buffer
      - .offset:         40
        .size:           8
        .value_kind:     by_value
      - .offset:         48
        .size:           8
        .value_kind:     by_value
      - .offset:         56
        .size:           4
        .value_kind:     by_value
      - .actual_access:  read_only
        .address_space:  global
        .offset:         64
        .size:           8
        .value_kind:     global_buffer
      - .actual_access:  write_only
        .address_space:  global
        .offset:         72
        .size:           8
        .value_kind:     global_buffer
    .group_segment_fixed_size: 128
    .kernarg_segment_align: 8
    .kernarg_segment_size: 80
    .language:       OpenCL C
    .language_version:
      - 2
      - 0
    .max_flat_workgroup_size: 1024
    .name:           _ZL26rocblas_dot_kernel_inc1by2ILb1ELi1024ELi32ELb0EDF16_PKDF16_fEviT4_llS2_lliPT5_PT3_
    .private_segment_fixed_size: 0
    .sgpr_count:     32
    .sgpr_spill_count: 0
    .symbol:         _ZL26rocblas_dot_kernel_inc1by2ILb1ELi1024ELi32ELb0EDF16_PKDF16_fEviT4_llS2_lliPT5_PT3_.kd
    .uniform_work_group_size: 1
    .uses_dynamic_stack: false
    .vgpr_count:     19
    .vgpr_spill_count: 0
    .wavefront_size: 32
  - .args:
      - .offset:         0
        .size:           4
        .value_kind:     by_value
      - .actual_access:  read_only
        .address_space:  global
        .offset:         8
        .size:           8
        .value_kind:     global_buffer
      - .offset:         16
        .size:           8
        .value_kind:     by_value
      - .offset:         24
        .size:           4
        .value_kind:     by_value
      - .offset:         32
        .size:           8
        .value_kind:     by_value
      - .actual_access:  read_only
        .address_space:  global
        .offset:         40
        .size:           8
        .value_kind:     global_buffer
      - .offset:         48
        .size:           8
        .value_kind:     by_value
      - .offset:         56
        .size:           4
        .value_kind:     by_value
      - .offset:         64
        .size:           8
        .value_kind:     by_value
      - .offset:         72
        .size:           4
        .value_kind:     by_value
      - .actual_access:  read_only
        .address_space:  global
        .offset:         80
        .size:           8
        .value_kind:     global_buffer
      - .actual_access:  write_only
        .address_space:  global
        .offset:         88
        .size:           8
        .value_kind:     global_buffer
      - .offset:         96
        .size:           4
        .value_kind:     hidden_block_count_x
      - .offset:         100
        .size:           4
        .value_kind:     hidden_block_count_y
      - .offset:         104
        .size:           4
        .value_kind:     hidden_block_count_z
      - .offset:         108
        .size:           2
        .value_kind:     hidden_group_size_x
      - .offset:         110
        .size:           2
        .value_kind:     hidden_group_size_y
      - .offset:         112
        .size:           2
        .value_kind:     hidden_group_size_z
      - .offset:         114
        .size:           2
        .value_kind:     hidden_remainder_x
      - .offset:         116
        .size:           2
        .value_kind:     hidden_remainder_y
      - .offset:         118
        .size:           2
        .value_kind:     hidden_remainder_z
      - .offset:         136
        .size:           8
        .value_kind:     hidden_global_offset_x
      - .offset:         144
        .size:           8
        .value_kind:     hidden_global_offset_y
      - .offset:         152
        .size:           8
        .value_kind:     hidden_global_offset_z
      - .offset:         160
        .size:           2
        .value_kind:     hidden_grid_dims
    .group_segment_fixed_size: 128
    .kernarg_segment_align: 8
    .kernarg_segment_size: 352
    .language:       OpenCL C
    .language_version:
      - 2
      - 0
    .max_flat_workgroup_size: 1024
    .name:           _ZL18rocblas_dot_kernelIiLb1ELi1024ELi32ELb0EDF16_PKDF16_fEviT5_lT_lS2_lS3_liPT6_PT4_
    .private_segment_fixed_size: 0
    .sgpr_count:     34
    .sgpr_spill_count: 0
    .symbol:         _ZL18rocblas_dot_kernelIiLb1ELi1024ELi32ELb0EDF16_PKDF16_fEviT5_lT_lS2_lS3_liPT6_PT4_.kd
    .uniform_work_group_size: 1
    .uses_dynamic_stack: false
    .vgpr_count:     16
    .vgpr_spill_count: 0
    .wavefront_size: 32
  - .args:
      - .offset:         0
        .size:           4
        .value_kind:     by_value
      - .actual_access:  read_only
        .address_space:  global
        .offset:         8
        .size:           8
        .value_kind:     global_buffer
      - .offset:         16
        .size:           8
        .value_kind:     by_value
      - .offset:         24
        .size:           4
        .value_kind:     by_value
      - .offset:         32
        .size:           8
        .value_kind:     by_value
      - .offset:         40
        .size:           4
        .value_kind:     by_value
      - .actual_access:  read_only
        .address_space:  global
        .offset:         48
        .size:           8
        .value_kind:     global_buffer
      - .actual_access:  write_only
        .address_space:  global
        .offset:         56
        .size:           8
        .value_kind:     global_buffer
      - .offset:         64
        .size:           4
        .value_kind:     hidden_block_count_x
      - .offset:         68
        .size:           4
        .value_kind:     hidden_block_count_y
      - .offset:         72
        .size:           4
        .value_kind:     hidden_block_count_z
      - .offset:         76
        .size:           2
        .value_kind:     hidden_group_size_x
      - .offset:         78
        .size:           2
        .value_kind:     hidden_group_size_y
      - .offset:         80
        .size:           2
        .value_kind:     hidden_group_size_z
      - .offset:         82
        .size:           2
        .value_kind:     hidden_remainder_x
      - .offset:         84
        .size:           2
        .value_kind:     hidden_remainder_y
      - .offset:         86
        .size:           2
        .value_kind:     hidden_remainder_z
      - .offset:         104
        .size:           8
        .value_kind:     hidden_global_offset_x
      - .offset:         112
        .size:           8
        .value_kind:     hidden_global_offset_y
      - .offset:         120
        .size:           8
        .value_kind:     hidden_global_offset_z
      - .offset:         128
        .size:           2
        .value_kind:     hidden_grid_dims
    .group_segment_fixed_size: 128
    .kernarg_segment_align: 8
    .kernarg_segment_size: 320
    .language:       OpenCL C
    .language_version:
      - 2
      - 0
    .max_flat_workgroup_size: 1024
    .name:           _ZL24rocblas_dot_kernel_magsqIiLb1ELi1024ELi32ELb0EDF16_PKDF16_fEviT5_lT_liPT6_PT4_
    .private_segment_fixed_size: 0
    .sgpr_count:     24
    .sgpr_spill_count: 0
    .symbol:         _ZL24rocblas_dot_kernel_magsqIiLb1ELi1024ELi32ELb0EDF16_PKDF16_fEviT5_lT_liPT6_PT4_.kd
    .uniform_work_group_size: 1
    .uses_dynamic_stack: false
    .vgpr_count:     13
    .vgpr_spill_count: 0
    .wavefront_size: 32
  - .args:
      - .offset:         0
        .size:           4
        .value_kind:     by_value
      - .actual_access:  read_only
        .address_space:  global
        .offset:         8
        .size:           8
        .value_kind:     global_buffer
      - .offset:         16
        .size:           8
        .value_kind:     by_value
      - .offset:         24
        .size:           4
        .value_kind:     by_value
      - .offset:         32
        .size:           8
        .value_kind:     by_value
      - .actual_access:  read_only
        .address_space:  global
        .offset:         40
        .size:           8
        .value_kind:     global_buffer
      - .offset:         48
        .size:           8
        .value_kind:     by_value
      - .offset:         56
        .size:           4
        .value_kind:     by_value
      - .offset:         64
        .size:           8
        .value_kind:     by_value
      - .actual_access:  read_only
        .address_space:  global
        .offset:         72
        .size:           8
        .value_kind:     global_buffer
      - .actual_access:  read_only
        .address_space:  global
        .offset:         80
        .size:           8
        .value_kind:     global_buffer
    .group_segment_fixed_size: 0
    .kernarg_segment_align: 8
    .kernarg_segment_size: 88
    .language:       OpenCL C
    .language_version:
      - 2
      - 0
    .max_flat_workgroup_size: 1024
    .name:           _ZL38rocblas_dot_kernel_gfx942_float_doubleIiLi1024EDF16_PKDF16_fEviT2_lT_lS2_lS3_lPT3_PT1_
    .private_segment_fixed_size: 0
    .sgpr_count:     0
    .sgpr_spill_count: 0
    .symbol:         _ZL38rocblas_dot_kernel_gfx942_float_doubleIiLi1024EDF16_PKDF16_fEviT2_lT_lS2_lS3_lPT3_PT1_.kd
    .uniform_work_group_size: 1
    .uses_dynamic_stack: false
    .vgpr_count:     0
    .vgpr_spill_count: 0
    .wavefront_size: 32
  - .args:
      - .offset:         0
        .size:           4
        .value_kind:     by_value
      - .actual_access:  read_only
        .address_space:  global
        .offset:         8
        .size:           8
        .value_kind:     global_buffer
      - .actual_access:  write_only
        .address_space:  global
        .offset:         16
        .size:           8
        .value_kind:     global_buffer
    .group_segment_fixed_size: 128
    .kernarg_segment_align: 8
    .kernarg_segment_size: 24
    .language:       OpenCL C
    .language_version:
      - 2
      - 0
    .max_flat_workgroup_size: 1024
    .name:           _ZL30rocblas_reduction_kernel_part2ILi1024ELi4E25rocblas_finalize_identityfDF16_EviPT2_PT3_
    .private_segment_fixed_size: 0
    .sgpr_count:     18
    .sgpr_spill_count: 0
    .symbol:         _ZL30rocblas_reduction_kernel_part2ILi1024ELi4E25rocblas_finalize_identityfDF16_EviPT2_PT3_.kd
    .uniform_work_group_size: 1
    .uses_dynamic_stack: false
    .vgpr_count:     10
    .vgpr_spill_count: 0
    .wavefront_size: 32
  - .args:
      - .offset:         0
        .size:           4
        .value_kind:     by_value
      - .actual_access:  read_only
        .address_space:  global
        .offset:         8
        .size:           8
        .value_kind:     global_buffer
      - .offset:         16
        .size:           8
        .value_kind:     by_value
      - .offset:         24
        .size:           8
        .value_kind:     by_value
      - .actual_access:  read_only
        .address_space:  global
        .offset:         32
        .size:           8
        .value_kind:     global_buffer
      - .offset:         40
        .size:           8
        .value_kind:     by_value
      - .offset:         48
        .size:           8
        .value_kind:     by_value
      - .offset:         56
        .size:           4
        .value_kind:     by_value
      - .actual_access:  write_only
        .address_space:  global
        .offset:         64
        .size:           8
        .value_kind:     global_buffer
      - .actual_access:  write_only
        .address_space:  global
        .offset:         72
        .size:           8
        .value_kind:     global_buffer
      - .offset:         80
        .size:           4
        .value_kind:     hidden_block_count_x
      - .offset:         84
        .size:           4
        .value_kind:     hidden_block_count_y
      - .offset:         88
        .size:           4
        .value_kind:     hidden_block_count_z
      - .offset:         92
        .size:           2
        .value_kind:     hidden_group_size_x
      - .offset:         94
        .size:           2
        .value_kind:     hidden_group_size_y
      - .offset:         96
        .size:           2
        .value_kind:     hidden_group_size_z
      - .offset:         98
        .size:           2
        .value_kind:     hidden_remainder_x
      - .offset:         100
        .size:           2
        .value_kind:     hidden_remainder_y
      - .offset:         102
        .size:           2
        .value_kind:     hidden_remainder_z
      - .offset:         120
        .size:           8
        .value_kind:     hidden_global_offset_x
      - .offset:         128
        .size:           8
        .value_kind:     hidden_global_offset_y
      - .offset:         136
        .size:           8
        .value_kind:     hidden_global_offset_z
      - .offset:         144
        .size:           2
        .value_kind:     hidden_grid_dims
    .group_segment_fixed_size: 128
    .kernarg_segment_align: 8
    .kernarg_segment_size: 336
    .language:       OpenCL C
    .language_version:
      - 2
      - 0
    .max_flat_workgroup_size: 512
    .name:           _ZL23rocblas_dot_kernel_inc1ILb0ELi512ELi8ELb0EDF16_PKDF16_fEviT4_llS2_lliPT5_PT3_
    .private_segment_fixed_size: 0
    .sgpr_count:     37
    .sgpr_spill_count: 0
    .symbol:         _ZL23rocblas_dot_kernel_inc1ILb0ELi512ELi8ELb0EDF16_PKDF16_fEviT4_llS2_lliPT5_PT3_.kd
    .uniform_work_group_size: 1
    .uses_dynamic_stack: false
    .vgpr_count:     18
    .vgpr_spill_count: 0
    .wavefront_size: 32
  - .args:
      - .offset:         0
        .size:           4
        .value_kind:     by_value
      - .actual_access:  read_only
        .address_space:  global
        .offset:         8
        .size:           8
        .value_kind:     global_buffer
      - .offset:         16
        .size:           8
        .value_kind:     by_value
      - .offset:         24
        .size:           4
        .value_kind:     by_value
      - .offset:         32
        .size:           8
        .value_kind:     by_value
      - .actual_access:  read_only
        .address_space:  global
        .offset:         40
        .size:           8
        .value_kind:     global_buffer
      - .offset:         48
        .size:           8
        .value_kind:     by_value
      - .offset:         56
        .size:           4
        .value_kind:     by_value
      - .offset:         64
        .size:           8
        .value_kind:     by_value
      - .offset:         72
        .size:           4
        .value_kind:     by_value
      - .actual_access:  write_only
        .address_space:  global
        .offset:         80
        .size:           8
        .value_kind:     global_buffer
      - .actual_access:  write_only
        .address_space:  global
        .offset:         88
        .size:           8
        .value_kind:     global_buffer
      - .offset:         96
        .size:           4
        .value_kind:     hidden_block_count_x
      - .offset:         100
        .size:           4
        .value_kind:     hidden_block_count_y
      - .offset:         104
        .size:           4
        .value_kind:     hidden_block_count_z
      - .offset:         108
        .size:           2
        .value_kind:     hidden_group_size_x
      - .offset:         110
        .size:           2
        .value_kind:     hidden_group_size_y
      - .offset:         112
        .size:           2
        .value_kind:     hidden_group_size_z
      - .offset:         114
        .size:           2
        .value_kind:     hidden_remainder_x
      - .offset:         116
        .size:           2
        .value_kind:     hidden_remainder_y
      - .offset:         118
        .size:           2
        .value_kind:     hidden_remainder_z
      - .offset:         136
        .size:           8
        .value_kind:     hidden_global_offset_x
      - .offset:         144
        .size:           8
        .value_kind:     hidden_global_offset_y
      - .offset:         152
        .size:           8
        .value_kind:     hidden_global_offset_z
      - .offset:         160
        .size:           2
        .value_kind:     hidden_grid_dims
    .group_segment_fixed_size: 128
    .kernarg_segment_align: 8
    .kernarg_segment_size: 352
    .language:       OpenCL C
    .language_version:
      - 2
      - 0
    .max_flat_workgroup_size: 512
    .name:           _ZL18rocblas_dot_kernelIiLb0ELi512ELi8ELb0EDF16_PKDF16_fEviT5_lT_lS2_lS3_liPT6_PT4_
    .private_segment_fixed_size: 0
    .sgpr_count:     40
    .sgpr_spill_count: 0
    .symbol:         _ZL18rocblas_dot_kernelIiLb0ELi512ELi8ELb0EDF16_PKDF16_fEviT5_lT_lS2_lS3_liPT6_PT4_.kd
    .uniform_work_group_size: 1
    .uses_dynamic_stack: false
    .vgpr_count:     16
    .vgpr_spill_count: 0
    .wavefront_size: 32
  - .args:
      - .offset:         0
        .size:           4
        .value_kind:     by_value
      - .actual_access:  read_only
        .address_space:  global
        .offset:         8
        .size:           8
        .value_kind:     global_buffer
      - .offset:         16
        .size:           8
        .value_kind:     by_value
      - .offset:         24
        .size:           4
        .value_kind:     by_value
      - .offset:         32
        .size:           8
        .value_kind:     by_value
      - .offset:         40
        .size:           4
        .value_kind:     by_value
      - .actual_access:  write_only
        .address_space:  global
        .offset:         48
        .size:           8
        .value_kind:     global_buffer
      - .actual_access:  write_only
        .address_space:  global
        .offset:         56
        .size:           8
        .value_kind:     global_buffer
      - .offset:         64
        .size:           4
        .value_kind:     hidden_block_count_x
      - .offset:         68
        .size:           4
        .value_kind:     hidden_block_count_y
      - .offset:         72
        .size:           4
        .value_kind:     hidden_block_count_z
      - .offset:         76
        .size:           2
        .value_kind:     hidden_group_size_x
      - .offset:         78
        .size:           2
        .value_kind:     hidden_group_size_y
      - .offset:         80
        .size:           2
        .value_kind:     hidden_group_size_z
      - .offset:         82
        .size:           2
        .value_kind:     hidden_remainder_x
      - .offset:         84
        .size:           2
        .value_kind:     hidden_remainder_y
      - .offset:         86
        .size:           2
        .value_kind:     hidden_remainder_z
      - .offset:         104
        .size:           8
        .value_kind:     hidden_global_offset_x
      - .offset:         112
        .size:           8
        .value_kind:     hidden_global_offset_y
      - .offset:         120
        .size:           8
        .value_kind:     hidden_global_offset_z
      - .offset:         128
        .size:           2
        .value_kind:     hidden_grid_dims
    .group_segment_fixed_size: 128
    .kernarg_segment_align: 8
    .kernarg_segment_size: 320
    .language:       OpenCL C
    .language_version:
      - 2
      - 0
    .max_flat_workgroup_size: 512
    .name:           _ZL24rocblas_dot_kernel_magsqIiLb0ELi512ELi8ELb0EDF16_PKDF16_fEviT5_lT_liPT6_PT4_
    .private_segment_fixed_size: 0
    .sgpr_count:     30
    .sgpr_spill_count: 0
    .symbol:         _ZL24rocblas_dot_kernel_magsqIiLb0ELi512ELi8ELb0EDF16_PKDF16_fEviT5_lT_liPT6_PT4_.kd
    .uniform_work_group_size: 1
    .uses_dynamic_stack: false
    .vgpr_count:     13
    .vgpr_spill_count: 0
    .wavefront_size: 32
  - .args:
      - .offset:         0
        .size:           4
        .value_kind:     by_value
      - .actual_access:  read_only
        .address_space:  global
        .offset:         8
        .size:           8
        .value_kind:     global_buffer
      - .actual_access:  write_only
        .address_space:  global
        .offset:         16
        .size:           8
        .value_kind:     global_buffer
    .group_segment_fixed_size: 128
    .kernarg_segment_align: 8
    .kernarg_segment_size: 24
    .language:       OpenCL C
    .language_version:
      - 2
      - 0
    .max_flat_workgroup_size: 512
    .name:           _ZL30rocblas_reduction_kernel_part2ILi512ELi8E25rocblas_finalize_identityfDF16_EviPT2_PT3_
    .private_segment_fixed_size: 0
    .sgpr_count:     18
    .sgpr_spill_count: 0
    .symbol:         _ZL30rocblas_reduction_kernel_part2ILi512ELi8E25rocblas_finalize_identityfDF16_EviPT2_PT3_.kd
    .uniform_work_group_size: 1
    .uses_dynamic_stack: false
    .vgpr_count:     14
    .vgpr_spill_count: 0
    .wavefront_size: 32
  - .args:
      - .offset:         0
        .size:           4
        .value_kind:     by_value
      - .actual_access:  read_only
        .address_space:  global
        .offset:         8
        .size:           8
        .value_kind:     global_buffer
      - .offset:         16
        .size:           8
        .value_kind:     by_value
      - .offset:         24
        .size:           4
        .value_kind:     by_value
      - .offset:         32
        .size:           8
        .value_kind:     by_value
      - .actual_access:  read_only
        .address_space:  global
        .offset:         40
        .size:           8
        .value_kind:     global_buffer
      - .offset:         48
        .size:           8
        .value_kind:     by_value
      - .offset:         56
        .size:           4
        .value_kind:     by_value
      - .offset:         64
        .size:           8
        .value_kind:     by_value
      - .offset:         72
        .size:           4
        .value_kind:     by_value
      - .actual_access:  write_only
        .address_space:  global
        .offset:         80
        .size:           8
        .value_kind:     global_buffer
    .group_segment_fixed_size: 0
    .kernarg_segment_align: 8
    .kernarg_segment_size: 88
    .language:       OpenCL C
    .language_version:
      - 2
      - 0
    .max_flat_workgroup_size: 128
    .name:           _ZL28rocblas_dot_batched_4_kernelIiLi32ELi4ELb0EfDF16_PKPKDF16_EviT5_lT_lS4_lS5_liPT4_
    .private_segment_fixed_size: 0
    .sgpr_count:     18
    .sgpr_spill_count: 0
    .symbol:         _ZL28rocblas_dot_batched_4_kernelIiLi32ELi4ELb0EfDF16_PKPKDF16_EviT5_lT_lS4_lS5_liPT4_.kd
    .uniform_work_group_size: 1
    .uses_dynamic_stack: false
    .vgpr_count:     12
    .vgpr_spill_count: 0
    .wavefront_size: 32
  - .args:
      - .offset:         0
        .size:           4
        .value_kind:     by_value
      - .actual_access:  read_only
        .address_space:  global
        .offset:         8
        .size:           8
        .value_kind:     global_buffer
      - .offset:         16
        .size:           8
        .value_kind:     by_value
      - .offset:         24
        .size:           4
        .value_kind:     by_value
      - .offset:         32
        .size:           8
        .value_kind:     by_value
      - .actual_access:  read_only
        .address_space:  global
        .offset:         40
        .size:           8
        .value_kind:     global_buffer
      - .offset:         48
        .size:           8
        .value_kind:     by_value
      - .offset:         56
        .size:           4
        .value_kind:     by_value
      - .offset:         64
        .size:           8
        .value_kind:     by_value
      - .offset:         72
        .size:           4
        .value_kind:     by_value
      - .actual_access:  write_only
        .address_space:  global
        .offset:         80
        .size:           8
        .value_kind:     global_buffer
    .group_segment_fixed_size: 0
    .kernarg_segment_align: 8
    .kernarg_segment_size: 88
    .language:       OpenCL C
    .language_version:
      - 2
      - 0
    .max_flat_workgroup_size: 256
    .name:           _ZL28rocblas_dot_batched_4_kernelIiLi64ELi4ELb0EfDF16_PKPKDF16_EviT5_lT_lS4_lS5_liPT4_
    .private_segment_fixed_size: 0
    .sgpr_count:     18
    .sgpr_spill_count: 0
    .symbol:         _ZL28rocblas_dot_batched_4_kernelIiLi64ELi4ELb0EfDF16_PKPKDF16_EviT5_lT_lS4_lS5_liPT4_.kd
    .uniform_work_group_size: 1
    .uses_dynamic_stack: false
    .vgpr_count:     12
    .vgpr_spill_count: 0
    .wavefront_size: 32
  - .args:
      - .offset:         0
        .size:           4
        .value_kind:     by_value
      - .actual_access:  read_only
        .address_space:  global
        .offset:         8
        .size:           8
        .value_kind:     global_buffer
      - .offset:         16
        .size:           8
        .value_kind:     by_value
      - .offset:         24
        .size:           8
        .value_kind:     by_value
      - .actual_access:  read_only
        .address_space:  global
        .offset:         32
        .size:           8
        .value_kind:     global_buffer
      - .offset:         40
        .size:           8
        .value_kind:     by_value
      - .offset:         48
        .size:           8
        .value_kind:     by_value
      - .offset:         56
        .size:           4
        .value_kind:     by_value
      - .actual_access:  read_only
        .address_space:  global
        .offset:         64
        .size:           8
        .value_kind:     global_buffer
      - .actual_access:  write_only
        .address_space:  global
        .offset:         72
        .size:           8
        .value_kind:     global_buffer
    .group_segment_fixed_size: 128
    .kernarg_segment_align: 8
    .kernarg_segment_size: 80
    .language:       OpenCL C
    .language_version:
      - 2
      - 0
    .max_flat_workgroup_size: 1024
    .name:           _ZL26rocblas_dot_kernel_inc1by2ILb1ELi1024ELi32ELb0EDF16_PKPKDF16_fEviT4_llS4_lliPT5_PT3_
    .private_segment_fixed_size: 0
    .sgpr_count:     30
    .sgpr_spill_count: 0
    .symbol:         _ZL26rocblas_dot_kernel_inc1by2ILb1ELi1024ELi32ELb0EDF16_PKPKDF16_fEviT4_llS4_lliPT5_PT3_.kd
    .uniform_work_group_size: 1
    .uses_dynamic_stack: false
    .vgpr_count:     19
    .vgpr_spill_count: 0
    .wavefront_size: 32
  - .args:
      - .offset:         0
        .size:           4
        .value_kind:     by_value
      - .actual_access:  read_only
        .address_space:  global
        .offset:         8
        .size:           8
        .value_kind:     global_buffer
      - .offset:         16
        .size:           8
        .value_kind:     by_value
      - .offset:         24
        .size:           4
        .value_kind:     by_value
      - .offset:         32
        .size:           8
        .value_kind:     by_value
      - .actual_access:  read_only
        .address_space:  global
        .offset:         40
        .size:           8
        .value_kind:     global_buffer
      - .offset:         48
        .size:           8
        .value_kind:     by_value
      - .offset:         56
        .size:           4
        .value_kind:     by_value
      - .offset:         64
        .size:           8
        .value_kind:     by_value
      - .offset:         72
        .size:           4
        .value_kind:     by_value
      - .actual_access:  read_only
        .address_space:  global
        .offset:         80
        .size:           8
        .value_kind:     global_buffer
      - .actual_access:  write_only
        .address_space:  global
        .offset:         88
        .size:           8
        .value_kind:     global_buffer
      - .offset:         96
        .size:           4
        .value_kind:     hidden_block_count_x
      - .offset:         100
        .size:           4
        .value_kind:     hidden_block_count_y
      - .offset:         104
        .size:           4
        .value_kind:     hidden_block_count_z
      - .offset:         108
        .size:           2
        .value_kind:     hidden_group_size_x
      - .offset:         110
        .size:           2
        .value_kind:     hidden_group_size_y
      - .offset:         112
        .size:           2
        .value_kind:     hidden_group_size_z
      - .offset:         114
        .size:           2
        .value_kind:     hidden_remainder_x
      - .offset:         116
        .size:           2
        .value_kind:     hidden_remainder_y
      - .offset:         118
        .size:           2
        .value_kind:     hidden_remainder_z
      - .offset:         136
        .size:           8
        .value_kind:     hidden_global_offset_x
      - .offset:         144
        .size:           8
        .value_kind:     hidden_global_offset_y
      - .offset:         152
        .size:           8
        .value_kind:     hidden_global_offset_z
      - .offset:         160
        .size:           2
        .value_kind:     hidden_grid_dims
    .group_segment_fixed_size: 128
    .kernarg_segment_align: 8
    .kernarg_segment_size: 352
    .language:       OpenCL C
    .language_version:
      - 2
      - 0
    .max_flat_workgroup_size: 1024
    .name:           _ZL18rocblas_dot_kernelIiLb1ELi1024ELi32ELb0EDF16_PKPKDF16_fEviT5_lT_lS4_lS5_liPT6_PT4_
    .private_segment_fixed_size: 0
    .sgpr_count:     40
    .sgpr_spill_count: 0
    .symbol:         _ZL18rocblas_dot_kernelIiLb1ELi1024ELi32ELb0EDF16_PKPKDF16_fEviT5_lT_lS4_lS5_liPT6_PT4_.kd
    .uniform_work_group_size: 1
    .uses_dynamic_stack: false
    .vgpr_count:     16
    .vgpr_spill_count: 0
    .wavefront_size: 32
  - .args:
      - .offset:         0
        .size:           4
        .value_kind:     by_value
      - .actual_access:  read_only
        .address_space:  global
        .offset:         8
        .size:           8
        .value_kind:     global_buffer
      - .offset:         16
        .size:           8
        .value_kind:     by_value
      - .offset:         24
        .size:           4
        .value_kind:     by_value
      - .offset:         32
        .size:           8
        .value_kind:     by_value
      - .offset:         40
        .size:           4
        .value_kind:     by_value
      - .actual_access:  read_only
        .address_space:  global
        .offset:         48
        .size:           8
        .value_kind:     global_buffer
      - .actual_access:  write_only
        .address_space:  global
        .offset:         56
        .size:           8
        .value_kind:     global_buffer
      - .offset:         64
        .size:           4
        .value_kind:     hidden_block_count_x
      - .offset:         68
        .size:           4
        .value_kind:     hidden_block_count_y
      - .offset:         72
        .size:           4
        .value_kind:     hidden_block_count_z
      - .offset:         76
        .size:           2
        .value_kind:     hidden_group_size_x
      - .offset:         78
        .size:           2
        .value_kind:     hidden_group_size_y
      - .offset:         80
        .size:           2
        .value_kind:     hidden_group_size_z
      - .offset:         82
        .size:           2
        .value_kind:     hidden_remainder_x
      - .offset:         84
        .size:           2
        .value_kind:     hidden_remainder_y
      - .offset:         86
        .size:           2
        .value_kind:     hidden_remainder_z
      - .offset:         104
        .size:           8
        .value_kind:     hidden_global_offset_x
      - .offset:         112
        .size:           8
        .value_kind:     hidden_global_offset_y
      - .offset:         120
        .size:           8
        .value_kind:     hidden_global_offset_z
      - .offset:         128
        .size:           2
        .value_kind:     hidden_grid_dims
    .group_segment_fixed_size: 128
    .kernarg_segment_align: 8
    .kernarg_segment_size: 320
    .language:       OpenCL C
    .language_version:
      - 2
      - 0
    .max_flat_workgroup_size: 1024
    .name:           _ZL24rocblas_dot_kernel_magsqIiLb1ELi1024ELi32ELb0EDF16_PKPKDF16_fEviT5_lT_liPT6_PT4_
    .private_segment_fixed_size: 0
    .sgpr_count:     24
    .sgpr_spill_count: 0
    .symbol:         _ZL24rocblas_dot_kernel_magsqIiLb1ELi1024ELi32ELb0EDF16_PKPKDF16_fEviT5_lT_liPT6_PT4_.kd
    .uniform_work_group_size: 1
    .uses_dynamic_stack: false
    .vgpr_count:     13
    .vgpr_spill_count: 0
    .wavefront_size: 32
  - .args:
      - .offset:         0
        .size:           4
        .value_kind:     by_value
      - .actual_access:  read_only
        .address_space:  global
        .offset:         8
        .size:           8
        .value_kind:     global_buffer
      - .offset:         16
        .size:           8
        .value_kind:     by_value
      - .offset:         24
        .size:           4
        .value_kind:     by_value
      - .offset:         32
        .size:           8
        .value_kind:     by_value
      - .actual_access:  read_only
        .address_space:  global
        .offset:         40
        .size:           8
        .value_kind:     global_buffer
      - .offset:         48
        .size:           8
        .value_kind:     by_value
      - .offset:         56
        .size:           4
        .value_kind:     by_value
      - .offset:         64
        .size:           8
        .value_kind:     by_value
      - .actual_access:  read_only
        .address_space:  global
        .offset:         72
        .size:           8
        .value_kind:     global_buffer
      - .actual_access:  read_only
        .address_space:  global
        .offset:         80
        .size:           8
        .value_kind:     global_buffer
    .group_segment_fixed_size: 0
    .kernarg_segment_align: 8
    .kernarg_segment_size: 88
    .language:       OpenCL C
    .language_version:
      - 2
      - 0
    .max_flat_workgroup_size: 1024
    .name:           _ZL38rocblas_dot_kernel_gfx942_float_doubleIiLi1024EDF16_PKPKDF16_fEviT2_lT_lS4_lS5_lPT3_PT1_
    .private_segment_fixed_size: 0
    .sgpr_count:     0
    .sgpr_spill_count: 0
    .symbol:         _ZL38rocblas_dot_kernel_gfx942_float_doubleIiLi1024EDF16_PKPKDF16_fEviT2_lT_lS4_lS5_lPT3_PT1_.kd
    .uniform_work_group_size: 1
    .uses_dynamic_stack: false
    .vgpr_count:     0
    .vgpr_spill_count: 0
    .wavefront_size: 32
  - .args:
      - .offset:         0
        .size:           4
        .value_kind:     by_value
      - .actual_access:  read_only
        .address_space:  global
        .offset:         8
        .size:           8
        .value_kind:     global_buffer
      - .offset:         16
        .size:           8
        .value_kind:     by_value
      - .offset:         24
        .size:           8
        .value_kind:     by_value
      - .actual_access:  read_only
        .address_space:  global
        .offset:         32
        .size:           8
        .value_kind:     global_buffer
      - .offset:         40
        .size:           8
        .value_kind:     by_value
      - .offset:         48
        .size:           8
        .value_kind:     by_value
      - .offset:         56
        .size:           4
        .value_kind:     by_value
      - .actual_access:  write_only
        .address_space:  global
        .offset:         64
        .size:           8
        .value_kind:     global_buffer
      - .actual_access:  write_only
        .address_space:  global
        .offset:         72
        .size:           8
        .value_kind:     global_buffer
      - .offset:         80
        .size:           4
        .value_kind:     hidden_block_count_x
      - .offset:         84
        .size:           4
        .value_kind:     hidden_block_count_y
      - .offset:         88
        .size:           4
        .value_kind:     hidden_block_count_z
      - .offset:         92
        .size:           2
        .value_kind:     hidden_group_size_x
      - .offset:         94
        .size:           2
        .value_kind:     hidden_group_size_y
      - .offset:         96
        .size:           2
        .value_kind:     hidden_group_size_z
      - .offset:         98
        .size:           2
        .value_kind:     hidden_remainder_x
      - .offset:         100
        .size:           2
        .value_kind:     hidden_remainder_y
      - .offset:         102
        .size:           2
        .value_kind:     hidden_remainder_z
      - .offset:         120
        .size:           8
        .value_kind:     hidden_global_offset_x
      - .offset:         128
        .size:           8
        .value_kind:     hidden_global_offset_y
      - .offset:         136
        .size:           8
        .value_kind:     hidden_global_offset_z
      - .offset:         144
        .size:           2
        .value_kind:     hidden_grid_dims
    .group_segment_fixed_size: 128
    .kernarg_segment_align: 8
    .kernarg_segment_size: 336
    .language:       OpenCL C
    .language_version:
      - 2
      - 0
    .max_flat_workgroup_size: 512
    .name:           _ZL23rocblas_dot_kernel_inc1ILb0ELi512ELi8ELb0EDF16_PKPKDF16_fEviT4_llS4_lliPT5_PT3_
    .private_segment_fixed_size: 0
    .sgpr_count:     40
    .sgpr_spill_count: 0
    .symbol:         _ZL23rocblas_dot_kernel_inc1ILb0ELi512ELi8ELb0EDF16_PKPKDF16_fEviT4_llS4_lliPT5_PT3_.kd
    .uniform_work_group_size: 1
    .uses_dynamic_stack: false
    .vgpr_count:     18
    .vgpr_spill_count: 0
    .wavefront_size: 32
  - .args:
      - .offset:         0
        .size:           4
        .value_kind:     by_value
      - .actual_access:  read_only
        .address_space:  global
        .offset:         8
        .size:           8
        .value_kind:     global_buffer
      - .offset:         16
        .size:           8
        .value_kind:     by_value
      - .offset:         24
        .size:           4
        .value_kind:     by_value
      - .offset:         32
        .size:           8
        .value_kind:     by_value
      - .actual_access:  read_only
        .address_space:  global
        .offset:         40
        .size:           8
        .value_kind:     global_buffer
      - .offset:         48
        .size:           8
        .value_kind:     by_value
      - .offset:         56
        .size:           4
        .value_kind:     by_value
      - .offset:         64
        .size:           8
        .value_kind:     by_value
      - .offset:         72
        .size:           4
        .value_kind:     by_value
      - .actual_access:  write_only
        .address_space:  global
        .offset:         80
        .size:           8
        .value_kind:     global_buffer
      - .actual_access:  write_only
        .address_space:  global
        .offset:         88
        .size:           8
        .value_kind:     global_buffer
      - .offset:         96
        .size:           4
        .value_kind:     hidden_block_count_x
      - .offset:         100
        .size:           4
        .value_kind:     hidden_block_count_y
      - .offset:         104
        .size:           4
        .value_kind:     hidden_block_count_z
      - .offset:         108
        .size:           2
        .value_kind:     hidden_group_size_x
      - .offset:         110
        .size:           2
        .value_kind:     hidden_group_size_y
      - .offset:         112
        .size:           2
        .value_kind:     hidden_group_size_z
      - .offset:         114
        .size:           2
        .value_kind:     hidden_remainder_x
      - .offset:         116
        .size:           2
        .value_kind:     hidden_remainder_y
      - .offset:         118
        .size:           2
        .value_kind:     hidden_remainder_z
      - .offset:         136
        .size:           8
        .value_kind:     hidden_global_offset_x
      - .offset:         144
        .size:           8
        .value_kind:     hidden_global_offset_y
      - .offset:         152
        .size:           8
        .value_kind:     hidden_global_offset_z
      - .offset:         160
        .size:           2
        .value_kind:     hidden_grid_dims
    .group_segment_fixed_size: 128
    .kernarg_segment_align: 8
    .kernarg_segment_size: 352
    .language:       OpenCL C
    .language_version:
      - 2
      - 0
    .max_flat_workgroup_size: 512
    .name:           _ZL18rocblas_dot_kernelIiLb0ELi512ELi8ELb0EDF16_PKPKDF16_fEviT5_lT_lS4_lS5_liPT6_PT4_
    .private_segment_fixed_size: 0
    .sgpr_count:     44
    .sgpr_spill_count: 0
    .symbol:         _ZL18rocblas_dot_kernelIiLb0ELi512ELi8ELb0EDF16_PKPKDF16_fEviT5_lT_lS4_lS5_liPT6_PT4_.kd
    .uniform_work_group_size: 1
    .uses_dynamic_stack: false
    .vgpr_count:     16
    .vgpr_spill_count: 0
    .wavefront_size: 32
  - .args:
      - .offset:         0
        .size:           4
        .value_kind:     by_value
      - .actual_access:  read_only
        .address_space:  global
        .offset:         8
        .size:           8
        .value_kind:     global_buffer
      - .offset:         16
        .size:           8
        .value_kind:     by_value
      - .offset:         24
        .size:           4
        .value_kind:     by_value
      - .offset:         32
        .size:           8
        .value_kind:     by_value
      - .offset:         40
        .size:           4
        .value_kind:     by_value
      - .actual_access:  write_only
        .address_space:  global
        .offset:         48
        .size:           8
        .value_kind:     global_buffer
      - .actual_access:  write_only
        .address_space:  global
        .offset:         56
        .size:           8
        .value_kind:     global_buffer
      - .offset:         64
        .size:           4
        .value_kind:     hidden_block_count_x
      - .offset:         68
        .size:           4
        .value_kind:     hidden_block_count_y
      - .offset:         72
        .size:           4
        .value_kind:     hidden_block_count_z
      - .offset:         76
        .size:           2
        .value_kind:     hidden_group_size_x
      - .offset:         78
        .size:           2
        .value_kind:     hidden_group_size_y
      - .offset:         80
        .size:           2
        .value_kind:     hidden_group_size_z
      - .offset:         82
        .size:           2
        .value_kind:     hidden_remainder_x
      - .offset:         84
        .size:           2
        .value_kind:     hidden_remainder_y
      - .offset:         86
        .size:           2
        .value_kind:     hidden_remainder_z
      - .offset:         104
        .size:           8
        .value_kind:     hidden_global_offset_x
      - .offset:         112
        .size:           8
        .value_kind:     hidden_global_offset_y
      - .offset:         120
        .size:           8
        .value_kind:     hidden_global_offset_z
      - .offset:         128
        .size:           2
        .value_kind:     hidden_grid_dims
    .group_segment_fixed_size: 128
    .kernarg_segment_align: 8
    .kernarg_segment_size: 320
    .language:       OpenCL C
    .language_version:
      - 2
      - 0
    .max_flat_workgroup_size: 512
    .name:           _ZL24rocblas_dot_kernel_magsqIiLb0ELi512ELi8ELb0EDF16_PKPKDF16_fEviT5_lT_liPT6_PT4_
    .private_segment_fixed_size: 0
    .sgpr_count:     30
    .sgpr_spill_count: 0
    .symbol:         _ZL24rocblas_dot_kernel_magsqIiLb0ELi512ELi8ELb0EDF16_PKPKDF16_fEviT5_lT_liPT6_PT4_.kd
    .uniform_work_group_size: 1
    .uses_dynamic_stack: false
    .vgpr_count:     13
    .vgpr_spill_count: 0
    .wavefront_size: 32
  - .args:
      - .offset:         0
        .size:           4
        .value_kind:     by_value
      - .actual_access:  read_only
        .address_space:  global
        .offset:         8
        .size:           8
        .value_kind:     global_buffer
      - .offset:         16
        .size:           8
        .value_kind:     by_value
      - .offset:         24
        .size:           4
        .value_kind:     by_value
      - .offset:         32
        .size:           8
        .value_kind:     by_value
      - .actual_access:  read_only
        .address_space:  global
        .offset:         40
        .size:           8
        .value_kind:     global_buffer
      - .offset:         48
        .size:           8
        .value_kind:     by_value
      - .offset:         56
        .size:           4
        .value_kind:     by_value
      - .offset:         64
        .size:           8
        .value_kind:     by_value
      - .offset:         72
        .size:           4
        .value_kind:     by_value
      - .actual_access:  write_only
        .address_space:  global
        .offset:         80
        .size:           8
        .value_kind:     global_buffer
    .group_segment_fixed_size: 0
    .kernarg_segment_align: 8
    .kernarg_segment_size: 88
    .language:       OpenCL C
    .language_version:
      - 2
      - 0
    .max_flat_workgroup_size: 128
    .name:           _ZL28rocblas_dot_batched_4_kernelIiLi32ELi4ELb1EfDF16_PKDF16_EviT5_lT_lS2_lS3_liPT4_
    .private_segment_fixed_size: 0
    .sgpr_count:     21
    .sgpr_spill_count: 0
    .symbol:         _ZL28rocblas_dot_batched_4_kernelIiLi32ELi4ELb1EfDF16_PKDF16_EviT5_lT_lS2_lS3_liPT4_.kd
    .uniform_work_group_size: 1
    .uses_dynamic_stack: false
    .vgpr_count:     12
    .vgpr_spill_count: 0
    .wavefront_size: 32
  - .args:
      - .offset:         0
        .size:           4
        .value_kind:     by_value
      - .actual_access:  read_only
        .address_space:  global
        .offset:         8
        .size:           8
        .value_kind:     global_buffer
      - .offset:         16
        .size:           8
        .value_kind:     by_value
      - .offset:         24
        .size:           4
        .value_kind:     by_value
      - .offset:         32
        .size:           8
        .value_kind:     by_value
      - .actual_access:  read_only
        .address_space:  global
        .offset:         40
        .size:           8
        .value_kind:     global_buffer
      - .offset:         48
        .size:           8
        .value_kind:     by_value
      - .offset:         56
        .size:           4
        .value_kind:     by_value
      - .offset:         64
        .size:           8
        .value_kind:     by_value
      - .offset:         72
        .size:           4
        .value_kind:     by_value
      - .actual_access:  write_only
        .address_space:  global
        .offset:         80
        .size:           8
        .value_kind:     global_buffer
    .group_segment_fixed_size: 0
    .kernarg_segment_align: 8
    .kernarg_segment_size: 88
    .language:       OpenCL C
    .language_version:
      - 2
      - 0
    .max_flat_workgroup_size: 256
    .name:           _ZL28rocblas_dot_batched_4_kernelIiLi64ELi4ELb1EfDF16_PKDF16_EviT5_lT_lS2_lS3_liPT4_
    .private_segment_fixed_size: 0
    .sgpr_count:     21
    .sgpr_spill_count: 0
    .symbol:         _ZL28rocblas_dot_batched_4_kernelIiLi64ELi4ELb1EfDF16_PKDF16_EviT5_lT_lS2_lS3_liPT4_.kd
    .uniform_work_group_size: 1
    .uses_dynamic_stack: false
    .vgpr_count:     12
    .vgpr_spill_count: 0
    .wavefront_size: 32
  - .args:
      - .offset:         0
        .size:           4
        .value_kind:     by_value
      - .actual_access:  read_only
        .address_space:  global
        .offset:         8
        .size:           8
        .value_kind:     global_buffer
      - .offset:         16
        .size:           8
        .value_kind:     by_value
      - .offset:         24
        .size:           8
        .value_kind:     by_value
      - .actual_access:  read_only
        .address_space:  global
        .offset:         32
        .size:           8
        .value_kind:     global_buffer
      - .offset:         40
        .size:           8
        .value_kind:     by_value
      - .offset:         48
        .size:           8
        .value_kind:     by_value
      - .offset:         56
        .size:           4
        .value_kind:     by_value
      - .actual_access:  read_only
        .address_space:  global
        .offset:         64
        .size:           8
        .value_kind:     global_buffer
      - .actual_access:  write_only
        .address_space:  global
        .offset:         72
        .size:           8
        .value_kind:     global_buffer
    .group_segment_fixed_size: 128
    .kernarg_segment_align: 8
    .kernarg_segment_size: 80
    .language:       OpenCL C
    .language_version:
      - 2
      - 0
    .max_flat_workgroup_size: 1024
    .name:           _ZL26rocblas_dot_kernel_inc1by2ILb1ELi1024ELi32ELb1EDF16_PKDF16_fEviT4_llS2_lliPT5_PT3_
    .private_segment_fixed_size: 0
    .sgpr_count:     32
    .sgpr_spill_count: 0
    .symbol:         _ZL26rocblas_dot_kernel_inc1by2ILb1ELi1024ELi32ELb1EDF16_PKDF16_fEviT4_llS2_lliPT5_PT3_.kd
    .uniform_work_group_size: 1
    .uses_dynamic_stack: false
    .vgpr_count:     19
    .vgpr_spill_count: 0
    .wavefront_size: 32
  - .args:
      - .offset:         0
        .size:           4
        .value_kind:     by_value
      - .actual_access:  read_only
        .address_space:  global
        .offset:         8
        .size:           8
        .value_kind:     global_buffer
      - .offset:         16
        .size:           8
        .value_kind:     by_value
      - .offset:         24
        .size:           4
        .value_kind:     by_value
      - .offset:         32
        .size:           8
        .value_kind:     by_value
      - .actual_access:  read_only
        .address_space:  global
        .offset:         40
        .size:           8
        .value_kind:     global_buffer
      - .offset:         48
        .size:           8
        .value_kind:     by_value
      - .offset:         56
        .size:           4
        .value_kind:     by_value
      - .offset:         64
        .size:           8
        .value_kind:     by_value
      - .offset:         72
        .size:           4
        .value_kind:     by_value
      - .actual_access:  read_only
        .address_space:  global
        .offset:         80
        .size:           8
        .value_kind:     global_buffer
      - .actual_access:  write_only
        .address_space:  global
        .offset:         88
        .size:           8
        .value_kind:     global_buffer
      - .offset:         96
        .size:           4
        .value_kind:     hidden_block_count_x
      - .offset:         100
        .size:           4
        .value_kind:     hidden_block_count_y
      - .offset:         104
        .size:           4
        .value_kind:     hidden_block_count_z
      - .offset:         108
        .size:           2
        .value_kind:     hidden_group_size_x
      - .offset:         110
        .size:           2
        .value_kind:     hidden_group_size_y
      - .offset:         112
        .size:           2
        .value_kind:     hidden_group_size_z
      - .offset:         114
        .size:           2
        .value_kind:     hidden_remainder_x
      - .offset:         116
        .size:           2
        .value_kind:     hidden_remainder_y
      - .offset:         118
        .size:           2
        .value_kind:     hidden_remainder_z
      - .offset:         136
        .size:           8
        .value_kind:     hidden_global_offset_x
      - .offset:         144
        .size:           8
        .value_kind:     hidden_global_offset_y
      - .offset:         152
        .size:           8
        .value_kind:     hidden_global_offset_z
      - .offset:         160
        .size:           2
        .value_kind:     hidden_grid_dims
    .group_segment_fixed_size: 128
    .kernarg_segment_align: 8
    .kernarg_segment_size: 352
    .language:       OpenCL C
    .language_version:
      - 2
      - 0
    .max_flat_workgroup_size: 1024
    .name:           _ZL18rocblas_dot_kernelIiLb1ELi1024ELi32ELb1EDF16_PKDF16_fEviT5_lT_lS2_lS3_liPT6_PT4_
    .private_segment_fixed_size: 0
    .sgpr_count:     34
    .sgpr_spill_count: 0
    .symbol:         _ZL18rocblas_dot_kernelIiLb1ELi1024ELi32ELb1EDF16_PKDF16_fEviT5_lT_lS2_lS3_liPT6_PT4_.kd
    .uniform_work_group_size: 1
    .uses_dynamic_stack: false
    .vgpr_count:     16
    .vgpr_spill_count: 0
    .wavefront_size: 32
  - .args:
      - .offset:         0
        .size:           4
        .value_kind:     by_value
      - .actual_access:  read_only
        .address_space:  global
        .offset:         8
        .size:           8
        .value_kind:     global_buffer
      - .offset:         16
        .size:           8
        .value_kind:     by_value
      - .offset:         24
        .size:           4
        .value_kind:     by_value
      - .offset:         32
        .size:           8
        .value_kind:     by_value
      - .offset:         40
        .size:           4
        .value_kind:     by_value
      - .actual_access:  read_only
        .address_space:  global
        .offset:         48
        .size:           8
        .value_kind:     global_buffer
      - .actual_access:  write_only
        .address_space:  global
        .offset:         56
        .size:           8
        .value_kind:     global_buffer
      - .offset:         64
        .size:           4
        .value_kind:     hidden_block_count_x
      - .offset:         68
        .size:           4
        .value_kind:     hidden_block_count_y
      - .offset:         72
        .size:           4
        .value_kind:     hidden_block_count_z
      - .offset:         76
        .size:           2
        .value_kind:     hidden_group_size_x
      - .offset:         78
        .size:           2
        .value_kind:     hidden_group_size_y
      - .offset:         80
        .size:           2
        .value_kind:     hidden_group_size_z
      - .offset:         82
        .size:           2
        .value_kind:     hidden_remainder_x
      - .offset:         84
        .size:           2
        .value_kind:     hidden_remainder_y
      - .offset:         86
        .size:           2
        .value_kind:     hidden_remainder_z
      - .offset:         104
        .size:           8
        .value_kind:     hidden_global_offset_x
      - .offset:         112
        .size:           8
        .value_kind:     hidden_global_offset_y
      - .offset:         120
        .size:           8
        .value_kind:     hidden_global_offset_z
      - .offset:         128
        .size:           2
        .value_kind:     hidden_grid_dims
    .group_segment_fixed_size: 128
    .kernarg_segment_align: 8
    .kernarg_segment_size: 320
    .language:       OpenCL C
    .language_version:
      - 2
      - 0
    .max_flat_workgroup_size: 1024
    .name:           _ZL24rocblas_dot_kernel_magsqIiLb1ELi1024ELi32ELb1EDF16_PKDF16_fEviT5_lT_liPT6_PT4_
    .private_segment_fixed_size: 0
    .sgpr_count:     24
    .sgpr_spill_count: 0
    .symbol:         _ZL24rocblas_dot_kernel_magsqIiLb1ELi1024ELi32ELb1EDF16_PKDF16_fEviT5_lT_liPT6_PT4_.kd
    .uniform_work_group_size: 1
    .uses_dynamic_stack: false
    .vgpr_count:     13
    .vgpr_spill_count: 0
    .wavefront_size: 32
  - .args:
      - .offset:         0
        .size:           4
        .value_kind:     by_value
      - .actual_access:  read_only
        .address_space:  global
        .offset:         8
        .size:           8
        .value_kind:     global_buffer
      - .offset:         16
        .size:           8
        .value_kind:     by_value
      - .offset:         24
        .size:           8
        .value_kind:     by_value
      - .actual_access:  read_only
        .address_space:  global
        .offset:         32
        .size:           8
        .value_kind:     global_buffer
      - .offset:         40
        .size:           8
        .value_kind:     by_value
      - .offset:         48
        .size:           8
        .value_kind:     by_value
      - .offset:         56
        .size:           4
        .value_kind:     by_value
      - .actual_access:  write_only
        .address_space:  global
        .offset:         64
        .size:           8
        .value_kind:     global_buffer
      - .actual_access:  write_only
        .address_space:  global
        .offset:         72
        .size:           8
        .value_kind:     global_buffer
      - .offset:         80
        .size:           4
        .value_kind:     hidden_block_count_x
      - .offset:         84
        .size:           4
        .value_kind:     hidden_block_count_y
      - .offset:         88
        .size:           4
        .value_kind:     hidden_block_count_z
      - .offset:         92
        .size:           2
        .value_kind:     hidden_group_size_x
      - .offset:         94
        .size:           2
        .value_kind:     hidden_group_size_y
      - .offset:         96
        .size:           2
        .value_kind:     hidden_group_size_z
      - .offset:         98
        .size:           2
        .value_kind:     hidden_remainder_x
      - .offset:         100
        .size:           2
        .value_kind:     hidden_remainder_y
      - .offset:         102
        .size:           2
        .value_kind:     hidden_remainder_z
      - .offset:         120
        .size:           8
        .value_kind:     hidden_global_offset_x
      - .offset:         128
        .size:           8
        .value_kind:     hidden_global_offset_y
      - .offset:         136
        .size:           8
        .value_kind:     hidden_global_offset_z
      - .offset:         144
        .size:           2
        .value_kind:     hidden_grid_dims
    .group_segment_fixed_size: 128
    .kernarg_segment_align: 8
    .kernarg_segment_size: 336
    .language:       OpenCL C
    .language_version:
      - 2
      - 0
    .max_flat_workgroup_size: 512
    .name:           _ZL23rocblas_dot_kernel_inc1ILb0ELi512ELi8ELb1EDF16_PKDF16_fEviT4_llS2_lliPT5_PT3_
    .private_segment_fixed_size: 0
    .sgpr_count:     37
    .sgpr_spill_count: 0
    .symbol:         _ZL23rocblas_dot_kernel_inc1ILb0ELi512ELi8ELb1EDF16_PKDF16_fEviT4_llS2_lliPT5_PT3_.kd
    .uniform_work_group_size: 1
    .uses_dynamic_stack: false
    .vgpr_count:     18
    .vgpr_spill_count: 0
    .wavefront_size: 32
  - .args:
      - .offset:         0
        .size:           4
        .value_kind:     by_value
      - .actual_access:  read_only
        .address_space:  global
        .offset:         8
        .size:           8
        .value_kind:     global_buffer
      - .offset:         16
        .size:           8
        .value_kind:     by_value
      - .offset:         24
        .size:           4
        .value_kind:     by_value
      - .offset:         32
        .size:           8
        .value_kind:     by_value
      - .actual_access:  read_only
        .address_space:  global
        .offset:         40
        .size:           8
        .value_kind:     global_buffer
      - .offset:         48
        .size:           8
        .value_kind:     by_value
      - .offset:         56
        .size:           4
        .value_kind:     by_value
      - .offset:         64
        .size:           8
        .value_kind:     by_value
      - .offset:         72
        .size:           4
        .value_kind:     by_value
      - .actual_access:  write_only
        .address_space:  global
        .offset:         80
        .size:           8
        .value_kind:     global_buffer
      - .actual_access:  write_only
        .address_space:  global
        .offset:         88
        .size:           8
        .value_kind:     global_buffer
      - .offset:         96
        .size:           4
        .value_kind:     hidden_block_count_x
      - .offset:         100
        .size:           4
        .value_kind:     hidden_block_count_y
      - .offset:         104
        .size:           4
        .value_kind:     hidden_block_count_z
      - .offset:         108
        .size:           2
        .value_kind:     hidden_group_size_x
      - .offset:         110
        .size:           2
        .value_kind:     hidden_group_size_y
      - .offset:         112
        .size:           2
        .value_kind:     hidden_group_size_z
      - .offset:         114
        .size:           2
        .value_kind:     hidden_remainder_x
      - .offset:         116
        .size:           2
        .value_kind:     hidden_remainder_y
      - .offset:         118
        .size:           2
        .value_kind:     hidden_remainder_z
      - .offset:         136
        .size:           8
        .value_kind:     hidden_global_offset_x
      - .offset:         144
        .size:           8
        .value_kind:     hidden_global_offset_y
      - .offset:         152
        .size:           8
        .value_kind:     hidden_global_offset_z
      - .offset:         160
        .size:           2
        .value_kind:     hidden_grid_dims
    .group_segment_fixed_size: 128
    .kernarg_segment_align: 8
    .kernarg_segment_size: 352
    .language:       OpenCL C
    .language_version:
      - 2
      - 0
    .max_flat_workgroup_size: 512
    .name:           _ZL18rocblas_dot_kernelIiLb0ELi512ELi8ELb1EDF16_PKDF16_fEviT5_lT_lS2_lS3_liPT6_PT4_
    .private_segment_fixed_size: 0
    .sgpr_count:     40
    .sgpr_spill_count: 0
    .symbol:         _ZL18rocblas_dot_kernelIiLb0ELi512ELi8ELb1EDF16_PKDF16_fEviT5_lT_lS2_lS3_liPT6_PT4_.kd
    .uniform_work_group_size: 1
    .uses_dynamic_stack: false
    .vgpr_count:     16
    .vgpr_spill_count: 0
    .wavefront_size: 32
  - .args:
      - .offset:         0
        .size:           4
        .value_kind:     by_value
      - .actual_access:  read_only
        .address_space:  global
        .offset:         8
        .size:           8
        .value_kind:     global_buffer
      - .offset:         16
        .size:           8
        .value_kind:     by_value
      - .offset:         24
        .size:           4
        .value_kind:     by_value
      - .offset:         32
        .size:           8
        .value_kind:     by_value
      - .offset:         40
        .size:           4
        .value_kind:     by_value
      - .actual_access:  write_only
        .address_space:  global
        .offset:         48
        .size:           8
        .value_kind:     global_buffer
      - .actual_access:  write_only
        .address_space:  global
        .offset:         56
        .size:           8
        .value_kind:     global_buffer
      - .offset:         64
        .size:           4
        .value_kind:     hidden_block_count_x
      - .offset:         68
        .size:           4
        .value_kind:     hidden_block_count_y
      - .offset:         72
        .size:           4
        .value_kind:     hidden_block_count_z
      - .offset:         76
        .size:           2
        .value_kind:     hidden_group_size_x
      - .offset:         78
        .size:           2
        .value_kind:     hidden_group_size_y
      - .offset:         80
        .size:           2
        .value_kind:     hidden_group_size_z
      - .offset:         82
        .size:           2
        .value_kind:     hidden_remainder_x
      - .offset:         84
        .size:           2
        .value_kind:     hidden_remainder_y
      - .offset:         86
        .size:           2
        .value_kind:     hidden_remainder_z
      - .offset:         104
        .size:           8
        .value_kind:     hidden_global_offset_x
      - .offset:         112
        .size:           8
        .value_kind:     hidden_global_offset_y
      - .offset:         120
        .size:           8
        .value_kind:     hidden_global_offset_z
      - .offset:         128
        .size:           2
        .value_kind:     hidden_grid_dims
    .group_segment_fixed_size: 128
    .kernarg_segment_align: 8
    .kernarg_segment_size: 320
    .language:       OpenCL C
    .language_version:
      - 2
      - 0
    .max_flat_workgroup_size: 512
    .name:           _ZL24rocblas_dot_kernel_magsqIiLb0ELi512ELi8ELb1EDF16_PKDF16_fEviT5_lT_liPT6_PT4_
    .private_segment_fixed_size: 0
    .sgpr_count:     30
    .sgpr_spill_count: 0
    .symbol:         _ZL24rocblas_dot_kernel_magsqIiLb0ELi512ELi8ELb1EDF16_PKDF16_fEviT5_lT_liPT6_PT4_.kd
    .uniform_work_group_size: 1
    .uses_dynamic_stack: false
    .vgpr_count:     13
    .vgpr_spill_count: 0
    .wavefront_size: 32
  - .args:
      - .offset:         0
        .size:           4
        .value_kind:     by_value
      - .actual_access:  read_only
        .address_space:  global
        .offset:         8
        .size:           8
        .value_kind:     global_buffer
      - .offset:         16
        .size:           8
        .value_kind:     by_value
      - .offset:         24
        .size:           4
        .value_kind:     by_value
      - .offset:         32
        .size:           8
        .value_kind:     by_value
      - .actual_access:  read_only
        .address_space:  global
        .offset:         40
        .size:           8
        .value_kind:     global_buffer
      - .offset:         48
        .size:           8
        .value_kind:     by_value
      - .offset:         56
        .size:           4
        .value_kind:     by_value
      - .offset:         64
        .size:           8
        .value_kind:     by_value
      - .offset:         72
        .size:           4
        .value_kind:     by_value
      - .actual_access:  write_only
        .address_space:  global
        .offset:         80
        .size:           8
        .value_kind:     global_buffer
    .group_segment_fixed_size: 0
    .kernarg_segment_align: 8
    .kernarg_segment_size: 88
    .language:       OpenCL C
    .language_version:
      - 2
      - 0
    .max_flat_workgroup_size: 128
    .name:           _ZL28rocblas_dot_batched_4_kernelIiLi32ELi4ELb1EfDF16_PKPKDF16_EviT5_lT_lS4_lS5_liPT4_
    .private_segment_fixed_size: 0
    .sgpr_count:     18
    .sgpr_spill_count: 0
    .symbol:         _ZL28rocblas_dot_batched_4_kernelIiLi32ELi4ELb1EfDF16_PKPKDF16_EviT5_lT_lS4_lS5_liPT4_.kd
    .uniform_work_group_size: 1
    .uses_dynamic_stack: false
    .vgpr_count:     12
    .vgpr_spill_count: 0
    .wavefront_size: 32
  - .args:
      - .offset:         0
        .size:           4
        .value_kind:     by_value
      - .actual_access:  read_only
        .address_space:  global
        .offset:         8
        .size:           8
        .value_kind:     global_buffer
      - .offset:         16
        .size:           8
        .value_kind:     by_value
      - .offset:         24
        .size:           4
        .value_kind:     by_value
      - .offset:         32
        .size:           8
        .value_kind:     by_value
      - .actual_access:  read_only
        .address_space:  global
        .offset:         40
        .size:           8
        .value_kind:     global_buffer
      - .offset:         48
        .size:           8
        .value_kind:     by_value
      - .offset:         56
        .size:           4
        .value_kind:     by_value
      - .offset:         64
        .size:           8
        .value_kind:     by_value
      - .offset:         72
        .size:           4
        .value_kind:     by_value
      - .actual_access:  write_only
        .address_space:  global
        .offset:         80
        .size:           8
        .value_kind:     global_buffer
    .group_segment_fixed_size: 0
    .kernarg_segment_align: 8
    .kernarg_segment_size: 88
    .language:       OpenCL C
    .language_version:
      - 2
      - 0
    .max_flat_workgroup_size: 256
    .name:           _ZL28rocblas_dot_batched_4_kernelIiLi64ELi4ELb1EfDF16_PKPKDF16_EviT5_lT_lS4_lS5_liPT4_
    .private_segment_fixed_size: 0
    .sgpr_count:     18
    .sgpr_spill_count: 0
    .symbol:         _ZL28rocblas_dot_batched_4_kernelIiLi64ELi4ELb1EfDF16_PKPKDF16_EviT5_lT_lS4_lS5_liPT4_.kd
    .uniform_work_group_size: 1
    .uses_dynamic_stack: false
    .vgpr_count:     12
    .vgpr_spill_count: 0
    .wavefront_size: 32
  - .args:
      - .offset:         0
        .size:           4
        .value_kind:     by_value
      - .actual_access:  read_only
        .address_space:  global
        .offset:         8
        .size:           8
        .value_kind:     global_buffer
      - .offset:         16
        .size:           8
        .value_kind:     by_value
      - .offset:         24
        .size:           8
        .value_kind:     by_value
      - .actual_access:  read_only
        .address_space:  global
        .offset:         32
        .size:           8
        .value_kind:     global_buffer
      - .offset:         40
        .size:           8
        .value_kind:     by_value
      - .offset:         48
        .size:           8
        .value_kind:     by_value
      - .offset:         56
        .size:           4
        .value_kind:     by_value
      - .actual_access:  read_only
        .address_space:  global
        .offset:         64
        .size:           8
        .value_kind:     global_buffer
      - .actual_access:  write_only
        .address_space:  global
        .offset:         72
        .size:           8
        .value_kind:     global_buffer
    .group_segment_fixed_size: 128
    .kernarg_segment_align: 8
    .kernarg_segment_size: 80
    .language:       OpenCL C
    .language_version:
      - 2
      - 0
    .max_flat_workgroup_size: 1024
    .name:           _ZL26rocblas_dot_kernel_inc1by2ILb1ELi1024ELi32ELb1EDF16_PKPKDF16_fEviT4_llS4_lliPT5_PT3_
    .private_segment_fixed_size: 0
    .sgpr_count:     30
    .sgpr_spill_count: 0
    .symbol:         _ZL26rocblas_dot_kernel_inc1by2ILb1ELi1024ELi32ELb1EDF16_PKPKDF16_fEviT4_llS4_lliPT5_PT3_.kd
    .uniform_work_group_size: 1
    .uses_dynamic_stack: false
    .vgpr_count:     19
    .vgpr_spill_count: 0
    .wavefront_size: 32
  - .args:
      - .offset:         0
        .size:           4
        .value_kind:     by_value
      - .actual_access:  read_only
        .address_space:  global
        .offset:         8
        .size:           8
        .value_kind:     global_buffer
      - .offset:         16
        .size:           8
        .value_kind:     by_value
      - .offset:         24
        .size:           4
        .value_kind:     by_value
      - .offset:         32
        .size:           8
        .value_kind:     by_value
      - .actual_access:  read_only
        .address_space:  global
        .offset:         40
        .size:           8
        .value_kind:     global_buffer
      - .offset:         48
        .size:           8
        .value_kind:     by_value
      - .offset:         56
        .size:           4
        .value_kind:     by_value
      - .offset:         64
        .size:           8
        .value_kind:     by_value
      - .offset:         72
        .size:           4
        .value_kind:     by_value
      - .actual_access:  read_only
        .address_space:  global
        .offset:         80
        .size:           8
        .value_kind:     global_buffer
      - .actual_access:  write_only
        .address_space:  global
        .offset:         88
        .size:           8
        .value_kind:     global_buffer
      - .offset:         96
        .size:           4
        .value_kind:     hidden_block_count_x
      - .offset:         100
        .size:           4
        .value_kind:     hidden_block_count_y
      - .offset:         104
        .size:           4
        .value_kind:     hidden_block_count_z
      - .offset:         108
        .size:           2
        .value_kind:     hidden_group_size_x
      - .offset:         110
        .size:           2
        .value_kind:     hidden_group_size_y
      - .offset:         112
        .size:           2
        .value_kind:     hidden_group_size_z
      - .offset:         114
        .size:           2
        .value_kind:     hidden_remainder_x
      - .offset:         116
        .size:           2
        .value_kind:     hidden_remainder_y
      - .offset:         118
        .size:           2
        .value_kind:     hidden_remainder_z
      - .offset:         136
        .size:           8
        .value_kind:     hidden_global_offset_x
      - .offset:         144
        .size:           8
        .value_kind:     hidden_global_offset_y
      - .offset:         152
        .size:           8
        .value_kind:     hidden_global_offset_z
      - .offset:         160
        .size:           2
        .value_kind:     hidden_grid_dims
    .group_segment_fixed_size: 128
    .kernarg_segment_align: 8
    .kernarg_segment_size: 352
    .language:       OpenCL C
    .language_version:
      - 2
      - 0
    .max_flat_workgroup_size: 1024
    .name:           _ZL18rocblas_dot_kernelIiLb1ELi1024ELi32ELb1EDF16_PKPKDF16_fEviT5_lT_lS4_lS5_liPT6_PT4_
    .private_segment_fixed_size: 0
    .sgpr_count:     40
    .sgpr_spill_count: 0
    .symbol:         _ZL18rocblas_dot_kernelIiLb1ELi1024ELi32ELb1EDF16_PKPKDF16_fEviT5_lT_lS4_lS5_liPT6_PT4_.kd
    .uniform_work_group_size: 1
    .uses_dynamic_stack: false
    .vgpr_count:     16
    .vgpr_spill_count: 0
    .wavefront_size: 32
  - .args:
      - .offset:         0
        .size:           4
        .value_kind:     by_value
      - .actual_access:  read_only
        .address_space:  global
        .offset:         8
        .size:           8
        .value_kind:     global_buffer
      - .offset:         16
        .size:           8
        .value_kind:     by_value
      - .offset:         24
        .size:           4
        .value_kind:     by_value
      - .offset:         32
        .size:           8
        .value_kind:     by_value
      - .offset:         40
        .size:           4
        .value_kind:     by_value
      - .actual_access:  read_only
        .address_space:  global
        .offset:         48
        .size:           8
        .value_kind:     global_buffer
      - .actual_access:  write_only
        .address_space:  global
        .offset:         56
        .size:           8
        .value_kind:     global_buffer
      - .offset:         64
        .size:           4
        .value_kind:     hidden_block_count_x
      - .offset:         68
        .size:           4
        .value_kind:     hidden_block_count_y
      - .offset:         72
        .size:           4
        .value_kind:     hidden_block_count_z
      - .offset:         76
        .size:           2
        .value_kind:     hidden_group_size_x
      - .offset:         78
        .size:           2
        .value_kind:     hidden_group_size_y
      - .offset:         80
        .size:           2
        .value_kind:     hidden_group_size_z
      - .offset:         82
        .size:           2
        .value_kind:     hidden_remainder_x
      - .offset:         84
        .size:           2
        .value_kind:     hidden_remainder_y
      - .offset:         86
        .size:           2
        .value_kind:     hidden_remainder_z
      - .offset:         104
        .size:           8
        .value_kind:     hidden_global_offset_x
      - .offset:         112
        .size:           8
        .value_kind:     hidden_global_offset_y
      - .offset:         120
        .size:           8
        .value_kind:     hidden_global_offset_z
      - .offset:         128
        .size:           2
        .value_kind:     hidden_grid_dims
    .group_segment_fixed_size: 128
    .kernarg_segment_align: 8
    .kernarg_segment_size: 320
    .language:       OpenCL C
    .language_version:
      - 2
      - 0
    .max_flat_workgroup_size: 1024
    .name:           _ZL24rocblas_dot_kernel_magsqIiLb1ELi1024ELi32ELb1EDF16_PKPKDF16_fEviT5_lT_liPT6_PT4_
    .private_segment_fixed_size: 0
    .sgpr_count:     24
    .sgpr_spill_count: 0
    .symbol:         _ZL24rocblas_dot_kernel_magsqIiLb1ELi1024ELi32ELb1EDF16_PKPKDF16_fEviT5_lT_liPT6_PT4_.kd
    .uniform_work_group_size: 1
    .uses_dynamic_stack: false
    .vgpr_count:     13
    .vgpr_spill_count: 0
    .wavefront_size: 32
  - .args:
      - .offset:         0
        .size:           4
        .value_kind:     by_value
      - .actual_access:  read_only
        .address_space:  global
        .offset:         8
        .size:           8
        .value_kind:     global_buffer
      - .offset:         16
        .size:           8
        .value_kind:     by_value
      - .offset:         24
        .size:           8
        .value_kind:     by_value
      - .actual_access:  read_only
        .address_space:  global
        .offset:         32
        .size:           8
        .value_kind:     global_buffer
      - .offset:         40
        .size:           8
        .value_kind:     by_value
      - .offset:         48
        .size:           8
        .value_kind:     by_value
      - .offset:         56
        .size:           4
        .value_kind:     by_value
      - .actual_access:  write_only
        .address_space:  global
        .offset:         64
        .size:           8
        .value_kind:     global_buffer
      - .actual_access:  write_only
        .address_space:  global
        .offset:         72
        .size:           8
        .value_kind:     global_buffer
      - .offset:         80
        .size:           4
        .value_kind:     hidden_block_count_x
      - .offset:         84
        .size:           4
        .value_kind:     hidden_block_count_y
      - .offset:         88
        .size:           4
        .value_kind:     hidden_block_count_z
      - .offset:         92
        .size:           2
        .value_kind:     hidden_group_size_x
      - .offset:         94
        .size:           2
        .value_kind:     hidden_group_size_y
      - .offset:         96
        .size:           2
        .value_kind:     hidden_group_size_z
      - .offset:         98
        .size:           2
        .value_kind:     hidden_remainder_x
      - .offset:         100
        .size:           2
        .value_kind:     hidden_remainder_y
      - .offset:         102
        .size:           2
        .value_kind:     hidden_remainder_z
      - .offset:         120
        .size:           8
        .value_kind:     hidden_global_offset_x
      - .offset:         128
        .size:           8
        .value_kind:     hidden_global_offset_y
      - .offset:         136
        .size:           8
        .value_kind:     hidden_global_offset_z
      - .offset:         144
        .size:           2
        .value_kind:     hidden_grid_dims
    .group_segment_fixed_size: 128
    .kernarg_segment_align: 8
    .kernarg_segment_size: 336
    .language:       OpenCL C
    .language_version:
      - 2
      - 0
    .max_flat_workgroup_size: 512
    .name:           _ZL23rocblas_dot_kernel_inc1ILb0ELi512ELi8ELb1EDF16_PKPKDF16_fEviT4_llS4_lliPT5_PT3_
    .private_segment_fixed_size: 0
    .sgpr_count:     40
    .sgpr_spill_count: 0
    .symbol:         _ZL23rocblas_dot_kernel_inc1ILb0ELi512ELi8ELb1EDF16_PKPKDF16_fEviT4_llS4_lliPT5_PT3_.kd
    .uniform_work_group_size: 1
    .uses_dynamic_stack: false
    .vgpr_count:     18
    .vgpr_spill_count: 0
    .wavefront_size: 32
  - .args:
      - .offset:         0
        .size:           4
        .value_kind:     by_value
      - .actual_access:  read_only
        .address_space:  global
        .offset:         8
        .size:           8
        .value_kind:     global_buffer
      - .offset:         16
        .size:           8
        .value_kind:     by_value
      - .offset:         24
        .size:           4
        .value_kind:     by_value
      - .offset:         32
        .size:           8
        .value_kind:     by_value
      - .actual_access:  read_only
        .address_space:  global
        .offset:         40
        .size:           8
        .value_kind:     global_buffer
      - .offset:         48
        .size:           8
        .value_kind:     by_value
      - .offset:         56
        .size:           4
        .value_kind:     by_value
      - .offset:         64
        .size:           8
        .value_kind:     by_value
      - .offset:         72
        .size:           4
        .value_kind:     by_value
      - .actual_access:  write_only
        .address_space:  global
        .offset:         80
        .size:           8
        .value_kind:     global_buffer
      - .actual_access:  write_only
        .address_space:  global
        .offset:         88
        .size:           8
        .value_kind:     global_buffer
      - .offset:         96
        .size:           4
        .value_kind:     hidden_block_count_x
      - .offset:         100
        .size:           4
        .value_kind:     hidden_block_count_y
      - .offset:         104
        .size:           4
        .value_kind:     hidden_block_count_z
      - .offset:         108
        .size:           2
        .value_kind:     hidden_group_size_x
      - .offset:         110
        .size:           2
        .value_kind:     hidden_group_size_y
      - .offset:         112
        .size:           2
        .value_kind:     hidden_group_size_z
      - .offset:         114
        .size:           2
        .value_kind:     hidden_remainder_x
      - .offset:         116
        .size:           2
        .value_kind:     hidden_remainder_y
      - .offset:         118
        .size:           2
        .value_kind:     hidden_remainder_z
      - .offset:         136
        .size:           8
        .value_kind:     hidden_global_offset_x
      - .offset:         144
        .size:           8
        .value_kind:     hidden_global_offset_y
      - .offset:         152
        .size:           8
        .value_kind:     hidden_global_offset_z
      - .offset:         160
        .size:           2
        .value_kind:     hidden_grid_dims
    .group_segment_fixed_size: 128
    .kernarg_segment_align: 8
    .kernarg_segment_size: 352
    .language:       OpenCL C
    .language_version:
      - 2
      - 0
    .max_flat_workgroup_size: 512
    .name:           _ZL18rocblas_dot_kernelIiLb0ELi512ELi8ELb1EDF16_PKPKDF16_fEviT5_lT_lS4_lS5_liPT6_PT4_
    .private_segment_fixed_size: 0
    .sgpr_count:     44
    .sgpr_spill_count: 0
    .symbol:         _ZL18rocblas_dot_kernelIiLb0ELi512ELi8ELb1EDF16_PKPKDF16_fEviT5_lT_lS4_lS5_liPT6_PT4_.kd
    .uniform_work_group_size: 1
    .uses_dynamic_stack: false
    .vgpr_count:     16
    .vgpr_spill_count: 0
    .wavefront_size: 32
  - .args:
      - .offset:         0
        .size:           4
        .value_kind:     by_value
      - .actual_access:  read_only
        .address_space:  global
        .offset:         8
        .size:           8
        .value_kind:     global_buffer
      - .offset:         16
        .size:           8
        .value_kind:     by_value
      - .offset:         24
        .size:           4
        .value_kind:     by_value
      - .offset:         32
        .size:           8
        .value_kind:     by_value
      - .offset:         40
        .size:           4
        .value_kind:     by_value
      - .actual_access:  write_only
        .address_space:  global
        .offset:         48
        .size:           8
        .value_kind:     global_buffer
      - .actual_access:  write_only
        .address_space:  global
        .offset:         56
        .size:           8
        .value_kind:     global_buffer
      - .offset:         64
        .size:           4
        .value_kind:     hidden_block_count_x
      - .offset:         68
        .size:           4
        .value_kind:     hidden_block_count_y
      - .offset:         72
        .size:           4
        .value_kind:     hidden_block_count_z
      - .offset:         76
        .size:           2
        .value_kind:     hidden_group_size_x
      - .offset:         78
        .size:           2
        .value_kind:     hidden_group_size_y
      - .offset:         80
        .size:           2
        .value_kind:     hidden_group_size_z
      - .offset:         82
        .size:           2
        .value_kind:     hidden_remainder_x
      - .offset:         84
        .size:           2
        .value_kind:     hidden_remainder_y
      - .offset:         86
        .size:           2
        .value_kind:     hidden_remainder_z
      - .offset:         104
        .size:           8
        .value_kind:     hidden_global_offset_x
      - .offset:         112
        .size:           8
        .value_kind:     hidden_global_offset_y
      - .offset:         120
        .size:           8
        .value_kind:     hidden_global_offset_z
      - .offset:         128
        .size:           2
        .value_kind:     hidden_grid_dims
    .group_segment_fixed_size: 128
    .kernarg_segment_align: 8
    .kernarg_segment_size: 320
    .language:       OpenCL C
    .language_version:
      - 2
      - 0
    .max_flat_workgroup_size: 512
    .name:           _ZL24rocblas_dot_kernel_magsqIiLb0ELi512ELi8ELb1EDF16_PKPKDF16_fEviT5_lT_liPT6_PT4_
    .private_segment_fixed_size: 0
    .sgpr_count:     30
    .sgpr_spill_count: 0
    .symbol:         _ZL24rocblas_dot_kernel_magsqIiLb0ELi512ELi8ELb1EDF16_PKPKDF16_fEviT5_lT_liPT6_PT4_.kd
    .uniform_work_group_size: 1
    .uses_dynamic_stack: false
    .vgpr_count:     13
    .vgpr_spill_count: 0
    .wavefront_size: 32
  - .args:
      - .offset:         0
        .size:           4
        .value_kind:     by_value
      - .actual_access:  read_only
        .address_space:  global
        .offset:         8
        .size:           8
        .value_kind:     global_buffer
      - .offset:         16
        .size:           8
        .value_kind:     by_value
      - .offset:         24
        .size:           4
        .value_kind:     by_value
      - .offset:         32
        .size:           8
        .value_kind:     by_value
      - .actual_access:  read_only
        .address_space:  global
        .offset:         40
        .size:           8
        .value_kind:     global_buffer
      - .offset:         48
        .size:           8
        .value_kind:     by_value
      - .offset:         56
        .size:           4
        .value_kind:     by_value
      - .offset:         64
        .size:           8
        .value_kind:     by_value
      - .offset:         72
        .size:           4
        .value_kind:     by_value
      - .actual_access:  write_only
        .address_space:  global
        .offset:         80
        .size:           8
        .value_kind:     global_buffer
    .group_segment_fixed_size: 0
    .kernarg_segment_align: 8
    .kernarg_segment_size: 88
    .language:       OpenCL C
    .language_version:
      - 2
      - 0
    .max_flat_workgroup_size: 128
    .name:           _ZL28rocblas_dot_batched_4_kernelIiLi32ELi4ELb1EDF16_DF16_PKDF16_EviT5_lT_lS2_lS3_liPT4_
    .private_segment_fixed_size: 0
    .sgpr_count:     21
    .sgpr_spill_count: 0
    .symbol:         _ZL28rocblas_dot_batched_4_kernelIiLi32ELi4ELb1EDF16_DF16_PKDF16_EviT5_lT_lS2_lS3_liPT4_.kd
    .uniform_work_group_size: 1
    .uses_dynamic_stack: false
    .vgpr_count:     12
    .vgpr_spill_count: 0
    .wavefront_size: 32
  - .args:
      - .offset:         0
        .size:           4
        .value_kind:     by_value
      - .actual_access:  read_only
        .address_space:  global
        .offset:         8
        .size:           8
        .value_kind:     global_buffer
      - .offset:         16
        .size:           8
        .value_kind:     by_value
      - .offset:         24
        .size:           4
        .value_kind:     by_value
      - .offset:         32
        .size:           8
        .value_kind:     by_value
      - .actual_access:  read_only
        .address_space:  global
        .offset:         40
        .size:           8
        .value_kind:     global_buffer
      - .offset:         48
        .size:           8
        .value_kind:     by_value
      - .offset:         56
        .size:           4
        .value_kind:     by_value
      - .offset:         64
        .size:           8
        .value_kind:     by_value
      - .offset:         72
        .size:           4
        .value_kind:     by_value
      - .actual_access:  write_only
        .address_space:  global
        .offset:         80
        .size:           8
        .value_kind:     global_buffer
    .group_segment_fixed_size: 0
    .kernarg_segment_align: 8
    .kernarg_segment_size: 88
    .language:       OpenCL C
    .language_version:
      - 2
      - 0
    .max_flat_workgroup_size: 256
    .name:           _ZL28rocblas_dot_batched_4_kernelIiLi64ELi4ELb1EDF16_DF16_PKDF16_EviT5_lT_lS2_lS3_liPT4_
    .private_segment_fixed_size: 0
    .sgpr_count:     21
    .sgpr_spill_count: 0
    .symbol:         _ZL28rocblas_dot_batched_4_kernelIiLi64ELi4ELb1EDF16_DF16_PKDF16_EviT5_lT_lS2_lS3_liPT4_.kd
    .uniform_work_group_size: 1
    .uses_dynamic_stack: false
    .vgpr_count:     12
    .vgpr_spill_count: 0
    .wavefront_size: 32
  - .args:
      - .offset:         0
        .size:           4
        .value_kind:     by_value
      - .actual_access:  read_only
        .address_space:  global
        .offset:         8
        .size:           8
        .value_kind:     global_buffer
      - .offset:         16
        .size:           8
        .value_kind:     by_value
      - .offset:         24
        .size:           8
        .value_kind:     by_value
      - .actual_access:  read_only
        .address_space:  global
        .offset:         32
        .size:           8
        .value_kind:     global_buffer
      - .offset:         40
        .size:           8
        .value_kind:     by_value
      - .offset:         48
        .size:           8
        .value_kind:     by_value
      - .offset:         56
        .size:           4
        .value_kind:     by_value
      - .actual_access:  read_only
        .address_space:  global
        .offset:         64
        .size:           8
        .value_kind:     global_buffer
      - .actual_access:  write_only
        .address_space:  global
        .offset:         72
        .size:           8
        .value_kind:     global_buffer
    .group_segment_fixed_size: 64
    .kernarg_segment_align: 8
    .kernarg_segment_size: 80
    .language:       OpenCL C
    .language_version:
      - 2
      - 0
    .max_flat_workgroup_size: 1024
    .name:           _ZL26rocblas_dot_kernel_inc1by2ILb1ELi1024ELi32ELb1EDF16_PKDF16_DF16_EviT4_llS2_lliPT5_PT3_
    .private_segment_fixed_size: 0
    .sgpr_count:     32
    .sgpr_spill_count: 0
    .symbol:         _ZL26rocblas_dot_kernel_inc1by2ILb1ELi1024ELi32ELb1EDF16_PKDF16_DF16_EviT4_llS2_lliPT5_PT3_.kd
    .uniform_work_group_size: 1
    .uses_dynamic_stack: false
    .vgpr_count:     16
    .vgpr_spill_count: 0
    .wavefront_size: 32
  - .args:
      - .offset:         0
        .size:           4
        .value_kind:     by_value
      - .actual_access:  read_only
        .address_space:  global
        .offset:         8
        .size:           8
        .value_kind:     global_buffer
      - .offset:         16
        .size:           8
        .value_kind:     by_value
      - .offset:         24
        .size:           4
        .value_kind:     by_value
      - .offset:         32
        .size:           8
        .value_kind:     by_value
      - .actual_access:  read_only
        .address_space:  global
        .offset:         40
        .size:           8
        .value_kind:     global_buffer
      - .offset:         48
        .size:           8
        .value_kind:     by_value
      - .offset:         56
        .size:           4
        .value_kind:     by_value
      - .offset:         64
        .size:           8
        .value_kind:     by_value
      - .offset:         72
        .size:           4
        .value_kind:     by_value
      - .actual_access:  read_only
        .address_space:  global
        .offset:         80
        .size:           8
        .value_kind:     global_buffer
      - .actual_access:  write_only
        .address_space:  global
        .offset:         88
        .size:           8
        .value_kind:     global_buffer
      - .offset:         96
        .size:           4
        .value_kind:     hidden_block_count_x
      - .offset:         100
        .size:           4
        .value_kind:     hidden_block_count_y
      - .offset:         104
        .size:           4
        .value_kind:     hidden_block_count_z
      - .offset:         108
        .size:           2
        .value_kind:     hidden_group_size_x
      - .offset:         110
        .size:           2
        .value_kind:     hidden_group_size_y
      - .offset:         112
        .size:           2
        .value_kind:     hidden_group_size_z
      - .offset:         114
        .size:           2
        .value_kind:     hidden_remainder_x
      - .offset:         116
        .size:           2
        .value_kind:     hidden_remainder_y
      - .offset:         118
        .size:           2
        .value_kind:     hidden_remainder_z
      - .offset:         136
        .size:           8
        .value_kind:     hidden_global_offset_x
      - .offset:         144
        .size:           8
        .value_kind:     hidden_global_offset_y
      - .offset:         152
        .size:           8
        .value_kind:     hidden_global_offset_z
      - .offset:         160
        .size:           2
        .value_kind:     hidden_grid_dims
    .group_segment_fixed_size: 64
    .kernarg_segment_align: 8
    .kernarg_segment_size: 352
    .language:       OpenCL C
    .language_version:
      - 2
      - 0
    .max_flat_workgroup_size: 1024
    .name:           _ZL18rocblas_dot_kernelIiLb1ELi1024ELi32ELb1EDF16_PKDF16_DF16_EviT5_lT_lS2_lS3_liPT6_PT4_
    .private_segment_fixed_size: 0
    .sgpr_count:     34
    .sgpr_spill_count: 0
    .symbol:         _ZL18rocblas_dot_kernelIiLb1ELi1024ELi32ELb1EDF16_PKDF16_DF16_EviT5_lT_lS2_lS3_liPT6_PT4_.kd
    .uniform_work_group_size: 1
    .uses_dynamic_stack: false
    .vgpr_count:     16
    .vgpr_spill_count: 0
    .wavefront_size: 32
  - .args:
      - .offset:         0
        .size:           4
        .value_kind:     by_value
      - .actual_access:  read_only
        .address_space:  global
        .offset:         8
        .size:           8
        .value_kind:     global_buffer
      - .offset:         16
        .size:           8
        .value_kind:     by_value
      - .offset:         24
        .size:           4
        .value_kind:     by_value
      - .offset:         32
        .size:           8
        .value_kind:     by_value
      - .offset:         40
        .size:           4
        .value_kind:     by_value
      - .actual_access:  read_only
        .address_space:  global
        .offset:         48
        .size:           8
        .value_kind:     global_buffer
      - .actual_access:  write_only
        .address_space:  global
        .offset:         56
        .size:           8
        .value_kind:     global_buffer
      - .offset:         64
        .size:           4
        .value_kind:     hidden_block_count_x
      - .offset:         68
        .size:           4
        .value_kind:     hidden_block_count_y
      - .offset:         72
        .size:           4
        .value_kind:     hidden_block_count_z
      - .offset:         76
        .size:           2
        .value_kind:     hidden_group_size_x
      - .offset:         78
        .size:           2
        .value_kind:     hidden_group_size_y
      - .offset:         80
        .size:           2
        .value_kind:     hidden_group_size_z
      - .offset:         82
        .size:           2
        .value_kind:     hidden_remainder_x
      - .offset:         84
        .size:           2
        .value_kind:     hidden_remainder_y
      - .offset:         86
        .size:           2
        .value_kind:     hidden_remainder_z
      - .offset:         104
        .size:           8
        .value_kind:     hidden_global_offset_x
      - .offset:         112
        .size:           8
        .value_kind:     hidden_global_offset_y
      - .offset:         120
        .size:           8
        .value_kind:     hidden_global_offset_z
      - .offset:         128
        .size:           2
        .value_kind:     hidden_grid_dims
    .group_segment_fixed_size: 64
    .kernarg_segment_align: 8
    .kernarg_segment_size: 320
    .language:       OpenCL C
    .language_version:
      - 2
      - 0
    .max_flat_workgroup_size: 1024
    .name:           _ZL24rocblas_dot_kernel_magsqIiLb1ELi1024ELi32ELb1EDF16_PKDF16_DF16_EviT5_lT_liPT6_PT4_
    .private_segment_fixed_size: 0
    .sgpr_count:     24
    .sgpr_spill_count: 0
    .symbol:         _ZL24rocblas_dot_kernel_magsqIiLb1ELi1024ELi32ELb1EDF16_PKDF16_DF16_EviT5_lT_liPT6_PT4_.kd
    .uniform_work_group_size: 1
    .uses_dynamic_stack: false
    .vgpr_count:     13
    .vgpr_spill_count: 0
    .wavefront_size: 32
  - .args:
      - .offset:         0
        .size:           4
        .value_kind:     by_value
      - .actual_access:  read_only
        .address_space:  global
        .offset:         8
        .size:           8
        .value_kind:     global_buffer
      - .offset:         16
        .size:           8
        .value_kind:     by_value
      - .offset:         24
        .size:           4
        .value_kind:     by_value
      - .offset:         32
        .size:           8
        .value_kind:     by_value
      - .actual_access:  read_only
        .address_space:  global
        .offset:         40
        .size:           8
        .value_kind:     global_buffer
      - .offset:         48
        .size:           8
        .value_kind:     by_value
      - .offset:         56
        .size:           4
        .value_kind:     by_value
      - .offset:         64
        .size:           8
        .value_kind:     by_value
      - .actual_access:  read_only
        .address_space:  global
        .offset:         72
        .size:           8
        .value_kind:     global_buffer
      - .actual_access:  read_only
        .address_space:  global
        .offset:         80
        .size:           8
        .value_kind:     global_buffer
    .group_segment_fixed_size: 0
    .kernarg_segment_align: 8
    .kernarg_segment_size: 88
    .language:       OpenCL C
    .language_version:
      - 2
      - 0
    .max_flat_workgroup_size: 1024
    .name:           _ZL38rocblas_dot_kernel_gfx942_float_doubleIiLi1024EDF16_PKDF16_DF16_EviT2_lT_lS2_lS3_lPT3_PT1_
    .private_segment_fixed_size: 0
    .sgpr_count:     0
    .sgpr_spill_count: 0
    .symbol:         _ZL38rocblas_dot_kernel_gfx942_float_doubleIiLi1024EDF16_PKDF16_DF16_EviT2_lT_lS2_lS3_lPT3_PT1_.kd
    .uniform_work_group_size: 1
    .uses_dynamic_stack: false
    .vgpr_count:     0
    .vgpr_spill_count: 0
    .wavefront_size: 32
  - .args:
      - .offset:         0
        .size:           4
        .value_kind:     by_value
      - .actual_access:  read_only
        .address_space:  global
        .offset:         8
        .size:           8
        .value_kind:     global_buffer
      - .actual_access:  write_only
        .address_space:  global
        .offset:         16
        .size:           8
        .value_kind:     global_buffer
    .group_segment_fixed_size: 64
    .kernarg_segment_align: 8
    .kernarg_segment_size: 24
    .language:       OpenCL C
    .language_version:
      - 2
      - 0
    .max_flat_workgroup_size: 1024
    .name:           _ZL30rocblas_reduction_kernel_part2ILi1024ELi4E25rocblas_finalize_identityDF16_DF16_EviPT2_PT3_
    .private_segment_fixed_size: 0
    .sgpr_count:     18
    .sgpr_spill_count: 0
    .symbol:         _ZL30rocblas_reduction_kernel_part2ILi1024ELi4E25rocblas_finalize_identityDF16_DF16_EviPT2_PT3_.kd
    .uniform_work_group_size: 1
    .uses_dynamic_stack: false
    .vgpr_count:     11
    .vgpr_spill_count: 0
    .wavefront_size: 32
  - .args:
      - .offset:         0
        .size:           4
        .value_kind:     by_value
      - .actual_access:  read_only
        .address_space:  global
        .offset:         8
        .size:           8
        .value_kind:     global_buffer
      - .offset:         16
        .size:           8
        .value_kind:     by_value
      - .offset:         24
        .size:           8
        .value_kind:     by_value
      - .actual_access:  read_only
        .address_space:  global
        .offset:         32
        .size:           8
        .value_kind:     global_buffer
      - .offset:         40
        .size:           8
        .value_kind:     by_value
      - .offset:         48
        .size:           8
        .value_kind:     by_value
      - .offset:         56
        .size:           4
        .value_kind:     by_value
      - .actual_access:  write_only
        .address_space:  global
        .offset:         64
        .size:           8
        .value_kind:     global_buffer
      - .actual_access:  write_only
        .address_space:  global
        .offset:         72
        .size:           8
        .value_kind:     global_buffer
      - .offset:         80
        .size:           4
        .value_kind:     hidden_block_count_x
      - .offset:         84
        .size:           4
        .value_kind:     hidden_block_count_y
      - .offset:         88
        .size:           4
        .value_kind:     hidden_block_count_z
      - .offset:         92
        .size:           2
        .value_kind:     hidden_group_size_x
      - .offset:         94
        .size:           2
        .value_kind:     hidden_group_size_y
      - .offset:         96
        .size:           2
        .value_kind:     hidden_group_size_z
      - .offset:         98
        .size:           2
        .value_kind:     hidden_remainder_x
      - .offset:         100
        .size:           2
        .value_kind:     hidden_remainder_y
      - .offset:         102
        .size:           2
        .value_kind:     hidden_remainder_z
      - .offset:         120
        .size:           8
        .value_kind:     hidden_global_offset_x
      - .offset:         128
        .size:           8
        .value_kind:     hidden_global_offset_y
      - .offset:         136
        .size:           8
        .value_kind:     hidden_global_offset_z
      - .offset:         144
        .size:           2
        .value_kind:     hidden_grid_dims
    .group_segment_fixed_size: 64
    .kernarg_segment_align: 8
    .kernarg_segment_size: 336
    .language:       OpenCL C
    .language_version:
      - 2
      - 0
    .max_flat_workgroup_size: 512
    .name:           _ZL23rocblas_dot_kernel_inc1ILb0ELi512ELi8ELb1EDF16_PKDF16_DF16_EviT4_llS2_lliPT5_PT3_
    .private_segment_fixed_size: 0
    .sgpr_count:     37
    .sgpr_spill_count: 0
    .symbol:         _ZL23rocblas_dot_kernel_inc1ILb0ELi512ELi8ELb1EDF16_PKDF16_DF16_EviT4_llS2_lliPT5_PT3_.kd
    .uniform_work_group_size: 1
    .uses_dynamic_stack: false
    .vgpr_count:     18
    .vgpr_spill_count: 0
    .wavefront_size: 32
  - .args:
      - .offset:         0
        .size:           4
        .value_kind:     by_value
      - .actual_access:  read_only
        .address_space:  global
        .offset:         8
        .size:           8
        .value_kind:     global_buffer
      - .offset:         16
        .size:           8
        .value_kind:     by_value
      - .offset:         24
        .size:           4
        .value_kind:     by_value
      - .offset:         32
        .size:           8
        .value_kind:     by_value
      - .actual_access:  read_only
        .address_space:  global
        .offset:         40
        .size:           8
        .value_kind:     global_buffer
      - .offset:         48
        .size:           8
        .value_kind:     by_value
      - .offset:         56
        .size:           4
        .value_kind:     by_value
      - .offset:         64
        .size:           8
        .value_kind:     by_value
      - .offset:         72
        .size:           4
        .value_kind:     by_value
      - .actual_access:  write_only
        .address_space:  global
        .offset:         80
        .size:           8
        .value_kind:     global_buffer
      - .actual_access:  write_only
        .address_space:  global
        .offset:         88
        .size:           8
        .value_kind:     global_buffer
      - .offset:         96
        .size:           4
        .value_kind:     hidden_block_count_x
      - .offset:         100
        .size:           4
        .value_kind:     hidden_block_count_y
      - .offset:         104
        .size:           4
        .value_kind:     hidden_block_count_z
      - .offset:         108
        .size:           2
        .value_kind:     hidden_group_size_x
      - .offset:         110
        .size:           2
        .value_kind:     hidden_group_size_y
      - .offset:         112
        .size:           2
        .value_kind:     hidden_group_size_z
      - .offset:         114
        .size:           2
        .value_kind:     hidden_remainder_x
      - .offset:         116
        .size:           2
        .value_kind:     hidden_remainder_y
      - .offset:         118
        .size:           2
        .value_kind:     hidden_remainder_z
      - .offset:         136
        .size:           8
        .value_kind:     hidden_global_offset_x
      - .offset:         144
        .size:           8
        .value_kind:     hidden_global_offset_y
      - .offset:         152
        .size:           8
        .value_kind:     hidden_global_offset_z
      - .offset:         160
        .size:           2
        .value_kind:     hidden_grid_dims
    .group_segment_fixed_size: 64
    .kernarg_segment_align: 8
    .kernarg_segment_size: 352
    .language:       OpenCL C
    .language_version:
      - 2
      - 0
    .max_flat_workgroup_size: 512
    .name:           _ZL18rocblas_dot_kernelIiLb0ELi512ELi8ELb1EDF16_PKDF16_DF16_EviT5_lT_lS2_lS3_liPT6_PT4_
    .private_segment_fixed_size: 0
    .sgpr_count:     40
    .sgpr_spill_count: 0
    .symbol:         _ZL18rocblas_dot_kernelIiLb0ELi512ELi8ELb1EDF16_PKDF16_DF16_EviT5_lT_lS2_lS3_liPT6_PT4_.kd
    .uniform_work_group_size: 1
    .uses_dynamic_stack: false
    .vgpr_count:     16
    .vgpr_spill_count: 0
    .wavefront_size: 32
  - .args:
      - .offset:         0
        .size:           4
        .value_kind:     by_value
      - .actual_access:  read_only
        .address_space:  global
        .offset:         8
        .size:           8
        .value_kind:     global_buffer
      - .offset:         16
        .size:           8
        .value_kind:     by_value
      - .offset:         24
        .size:           4
        .value_kind:     by_value
      - .offset:         32
        .size:           8
        .value_kind:     by_value
      - .offset:         40
        .size:           4
        .value_kind:     by_value
      - .actual_access:  write_only
        .address_space:  global
        .offset:         48
        .size:           8
        .value_kind:     global_buffer
      - .actual_access:  write_only
        .address_space:  global
        .offset:         56
        .size:           8
        .value_kind:     global_buffer
      - .offset:         64
        .size:           4
        .value_kind:     hidden_block_count_x
      - .offset:         68
        .size:           4
        .value_kind:     hidden_block_count_y
      - .offset:         72
        .size:           4
        .value_kind:     hidden_block_count_z
      - .offset:         76
        .size:           2
        .value_kind:     hidden_group_size_x
      - .offset:         78
        .size:           2
        .value_kind:     hidden_group_size_y
      - .offset:         80
        .size:           2
        .value_kind:     hidden_group_size_z
      - .offset:         82
        .size:           2
        .value_kind:     hidden_remainder_x
      - .offset:         84
        .size:           2
        .value_kind:     hidden_remainder_y
      - .offset:         86
        .size:           2
        .value_kind:     hidden_remainder_z
      - .offset:         104
        .size:           8
        .value_kind:     hidden_global_offset_x
      - .offset:         112
        .size:           8
        .value_kind:     hidden_global_offset_y
      - .offset:         120
        .size:           8
        .value_kind:     hidden_global_offset_z
      - .offset:         128
        .size:           2
        .value_kind:     hidden_grid_dims
    .group_segment_fixed_size: 64
    .kernarg_segment_align: 8
    .kernarg_segment_size: 320
    .language:       OpenCL C
    .language_version:
      - 2
      - 0
    .max_flat_workgroup_size: 512
    .name:           _ZL24rocblas_dot_kernel_magsqIiLb0ELi512ELi8ELb1EDF16_PKDF16_DF16_EviT5_lT_liPT6_PT4_
    .private_segment_fixed_size: 0
    .sgpr_count:     30
    .sgpr_spill_count: 0
    .symbol:         _ZL24rocblas_dot_kernel_magsqIiLb0ELi512ELi8ELb1EDF16_PKDF16_DF16_EviT5_lT_liPT6_PT4_.kd
    .uniform_work_group_size: 1
    .uses_dynamic_stack: false
    .vgpr_count:     13
    .vgpr_spill_count: 0
    .wavefront_size: 32
  - .args:
      - .offset:         0
        .size:           4
        .value_kind:     by_value
      - .actual_access:  read_only
        .address_space:  global
        .offset:         8
        .size:           8
        .value_kind:     global_buffer
      - .actual_access:  write_only
        .address_space:  global
        .offset:         16
        .size:           8
        .value_kind:     global_buffer
    .group_segment_fixed_size: 64
    .kernarg_segment_align: 8
    .kernarg_segment_size: 24
    .language:       OpenCL C
    .language_version:
      - 2
      - 0
    .max_flat_workgroup_size: 512
    .name:           _ZL30rocblas_reduction_kernel_part2ILi512ELi8E25rocblas_finalize_identityDF16_DF16_EviPT2_PT3_
    .private_segment_fixed_size: 0
    .sgpr_count:     18
    .sgpr_spill_count: 0
    .symbol:         _ZL30rocblas_reduction_kernel_part2ILi512ELi8E25rocblas_finalize_identityDF16_DF16_EviPT2_PT3_.kd
    .uniform_work_group_size: 1
    .uses_dynamic_stack: false
    .vgpr_count:     10
    .vgpr_spill_count: 0
    .wavefront_size: 32
  - .args:
      - .offset:         0
        .size:           4
        .value_kind:     by_value
      - .actual_access:  read_only
        .address_space:  global
        .offset:         8
        .size:           8
        .value_kind:     global_buffer
      - .offset:         16
        .size:           8
        .value_kind:     by_value
      - .offset:         24
        .size:           4
        .value_kind:     by_value
      - .offset:         32
        .size:           8
        .value_kind:     by_value
      - .actual_access:  read_only
        .address_space:  global
        .offset:         40
        .size:           8
        .value_kind:     global_buffer
      - .offset:         48
        .size:           8
        .value_kind:     by_value
      - .offset:         56
        .size:           4
        .value_kind:     by_value
      - .offset:         64
        .size:           8
        .value_kind:     by_value
      - .offset:         72
        .size:           4
        .value_kind:     by_value
      - .actual_access:  write_only
        .address_space:  global
        .offset:         80
        .size:           8
        .value_kind:     global_buffer
    .group_segment_fixed_size: 0
    .kernarg_segment_align: 8
    .kernarg_segment_size: 88
    .language:       OpenCL C
    .language_version:
      - 2
      - 0
    .max_flat_workgroup_size: 128
    .name:           _ZL28rocblas_dot_batched_4_kernelIiLi32ELi4ELb1EDF16_DF16_PKPKDF16_EviT5_lT_lS4_lS5_liPT4_
    .private_segment_fixed_size: 0
    .sgpr_count:     18
    .sgpr_spill_count: 0
    .symbol:         _ZL28rocblas_dot_batched_4_kernelIiLi32ELi4ELb1EDF16_DF16_PKPKDF16_EviT5_lT_lS4_lS5_liPT4_.kd
    .uniform_work_group_size: 1
    .uses_dynamic_stack: false
    .vgpr_count:     12
    .vgpr_spill_count: 0
    .wavefront_size: 32
  - .args:
      - .offset:         0
        .size:           4
        .value_kind:     by_value
      - .actual_access:  read_only
        .address_space:  global
        .offset:         8
        .size:           8
        .value_kind:     global_buffer
      - .offset:         16
        .size:           8
        .value_kind:     by_value
      - .offset:         24
        .size:           4
        .value_kind:     by_value
      - .offset:         32
        .size:           8
        .value_kind:     by_value
      - .actual_access:  read_only
        .address_space:  global
        .offset:         40
        .size:           8
        .value_kind:     global_buffer
      - .offset:         48
        .size:           8
        .value_kind:     by_value
      - .offset:         56
        .size:           4
        .value_kind:     by_value
      - .offset:         64
        .size:           8
        .value_kind:     by_value
      - .offset:         72
        .size:           4
        .value_kind:     by_value
      - .actual_access:  write_only
        .address_space:  global
        .offset:         80
        .size:           8
        .value_kind:     global_buffer
    .group_segment_fixed_size: 0
    .kernarg_segment_align: 8
    .kernarg_segment_size: 88
    .language:       OpenCL C
    .language_version:
      - 2
      - 0
    .max_flat_workgroup_size: 256
    .name:           _ZL28rocblas_dot_batched_4_kernelIiLi64ELi4ELb1EDF16_DF16_PKPKDF16_EviT5_lT_lS4_lS5_liPT4_
    .private_segment_fixed_size: 0
    .sgpr_count:     18
    .sgpr_spill_count: 0
    .symbol:         _ZL28rocblas_dot_batched_4_kernelIiLi64ELi4ELb1EDF16_DF16_PKPKDF16_EviT5_lT_lS4_lS5_liPT4_.kd
    .uniform_work_group_size: 1
    .uses_dynamic_stack: false
    .vgpr_count:     12
    .vgpr_spill_count: 0
    .wavefront_size: 32
  - .args:
      - .offset:         0
        .size:           4
        .value_kind:     by_value
      - .actual_access:  read_only
        .address_space:  global
        .offset:         8
        .size:           8
        .value_kind:     global_buffer
      - .offset:         16
        .size:           8
        .value_kind:     by_value
      - .offset:         24
        .size:           8
        .value_kind:     by_value
      - .actual_access:  read_only
        .address_space:  global
        .offset:         32
        .size:           8
        .value_kind:     global_buffer
      - .offset:         40
        .size:           8
        .value_kind:     by_value
      - .offset:         48
        .size:           8
        .value_kind:     by_value
      - .offset:         56
        .size:           4
        .value_kind:     by_value
      - .actual_access:  read_only
        .address_space:  global
        .offset:         64
        .size:           8
        .value_kind:     global_buffer
      - .actual_access:  write_only
        .address_space:  global
        .offset:         72
        .size:           8
        .value_kind:     global_buffer
    .group_segment_fixed_size: 64
    .kernarg_segment_align: 8
    .kernarg_segment_size: 80
    .language:       OpenCL C
    .language_version:
      - 2
      - 0
    .max_flat_workgroup_size: 1024
    .name:           _ZL26rocblas_dot_kernel_inc1by2ILb1ELi1024ELi32ELb1EDF16_PKPKDF16_DF16_EviT4_llS4_lliPT5_PT3_
    .private_segment_fixed_size: 0
    .sgpr_count:     30
    .sgpr_spill_count: 0
    .symbol:         _ZL26rocblas_dot_kernel_inc1by2ILb1ELi1024ELi32ELb1EDF16_PKPKDF16_DF16_EviT4_llS4_lliPT5_PT3_.kd
    .uniform_work_group_size: 1
    .uses_dynamic_stack: false
    .vgpr_count:     16
    .vgpr_spill_count: 0
    .wavefront_size: 32
  - .args:
      - .offset:         0
        .size:           4
        .value_kind:     by_value
      - .actual_access:  read_only
        .address_space:  global
        .offset:         8
        .size:           8
        .value_kind:     global_buffer
      - .offset:         16
        .size:           8
        .value_kind:     by_value
      - .offset:         24
        .size:           4
        .value_kind:     by_value
      - .offset:         32
        .size:           8
        .value_kind:     by_value
      - .actual_access:  read_only
        .address_space:  global
        .offset:         40
        .size:           8
        .value_kind:     global_buffer
      - .offset:         48
        .size:           8
        .value_kind:     by_value
      - .offset:         56
        .size:           4
        .value_kind:     by_value
      - .offset:         64
        .size:           8
        .value_kind:     by_value
      - .offset:         72
        .size:           4
        .value_kind:     by_value
      - .actual_access:  read_only
        .address_space:  global
        .offset:         80
        .size:           8
        .value_kind:     global_buffer
      - .actual_access:  write_only
        .address_space:  global
        .offset:         88
        .size:           8
        .value_kind:     global_buffer
      - .offset:         96
        .size:           4
        .value_kind:     hidden_block_count_x
      - .offset:         100
        .size:           4
        .value_kind:     hidden_block_count_y
      - .offset:         104
        .size:           4
        .value_kind:     hidden_block_count_z
      - .offset:         108
        .size:           2
        .value_kind:     hidden_group_size_x
      - .offset:         110
        .size:           2
        .value_kind:     hidden_group_size_y
      - .offset:         112
        .size:           2
        .value_kind:     hidden_group_size_z
      - .offset:         114
        .size:           2
        .value_kind:     hidden_remainder_x
      - .offset:         116
        .size:           2
        .value_kind:     hidden_remainder_y
      - .offset:         118
        .size:           2
        .value_kind:     hidden_remainder_z
      - .offset:         136
        .size:           8
        .value_kind:     hidden_global_offset_x
      - .offset:         144
        .size:           8
        .value_kind:     hidden_global_offset_y
      - .offset:         152
        .size:           8
        .value_kind:     hidden_global_offset_z
      - .offset:         160
        .size:           2
        .value_kind:     hidden_grid_dims
    .group_segment_fixed_size: 64
    .kernarg_segment_align: 8
    .kernarg_segment_size: 352
    .language:       OpenCL C
    .language_version:
      - 2
      - 0
    .max_flat_workgroup_size: 1024
    .name:           _ZL18rocblas_dot_kernelIiLb1ELi1024ELi32ELb1EDF16_PKPKDF16_DF16_EviT5_lT_lS4_lS5_liPT6_PT4_
    .private_segment_fixed_size: 0
    .sgpr_count:     40
    .sgpr_spill_count: 0
    .symbol:         _ZL18rocblas_dot_kernelIiLb1ELi1024ELi32ELb1EDF16_PKPKDF16_DF16_EviT5_lT_lS4_lS5_liPT6_PT4_.kd
    .uniform_work_group_size: 1
    .uses_dynamic_stack: false
    .vgpr_count:     16
    .vgpr_spill_count: 0
    .wavefront_size: 32
  - .args:
      - .offset:         0
        .size:           4
        .value_kind:     by_value
      - .actual_access:  read_only
        .address_space:  global
        .offset:         8
        .size:           8
        .value_kind:     global_buffer
      - .offset:         16
        .size:           8
        .value_kind:     by_value
      - .offset:         24
        .size:           4
        .value_kind:     by_value
      - .offset:         32
        .size:           8
        .value_kind:     by_value
      - .offset:         40
        .size:           4
        .value_kind:     by_value
      - .actual_access:  read_only
        .address_space:  global
        .offset:         48
        .size:           8
        .value_kind:     global_buffer
      - .actual_access:  write_only
        .address_space:  global
        .offset:         56
        .size:           8
        .value_kind:     global_buffer
      - .offset:         64
        .size:           4
        .value_kind:     hidden_block_count_x
      - .offset:         68
        .size:           4
        .value_kind:     hidden_block_count_y
      - .offset:         72
        .size:           4
        .value_kind:     hidden_block_count_z
      - .offset:         76
        .size:           2
        .value_kind:     hidden_group_size_x
      - .offset:         78
        .size:           2
        .value_kind:     hidden_group_size_y
      - .offset:         80
        .size:           2
        .value_kind:     hidden_group_size_z
      - .offset:         82
        .size:           2
        .value_kind:     hidden_remainder_x
      - .offset:         84
        .size:           2
        .value_kind:     hidden_remainder_y
      - .offset:         86
        .size:           2
        .value_kind:     hidden_remainder_z
      - .offset:         104
        .size:           8
        .value_kind:     hidden_global_offset_x
      - .offset:         112
        .size:           8
        .value_kind:     hidden_global_offset_y
      - .offset:         120
        .size:           8
        .value_kind:     hidden_global_offset_z
      - .offset:         128
        .size:           2
        .value_kind:     hidden_grid_dims
    .group_segment_fixed_size: 64
    .kernarg_segment_align: 8
    .kernarg_segment_size: 320
    .language:       OpenCL C
    .language_version:
      - 2
      - 0
    .max_flat_workgroup_size: 1024
    .name:           _ZL24rocblas_dot_kernel_magsqIiLb1ELi1024ELi32ELb1EDF16_PKPKDF16_DF16_EviT5_lT_liPT6_PT4_
    .private_segment_fixed_size: 0
    .sgpr_count:     24
    .sgpr_spill_count: 0
    .symbol:         _ZL24rocblas_dot_kernel_magsqIiLb1ELi1024ELi32ELb1EDF16_PKPKDF16_DF16_EviT5_lT_liPT6_PT4_.kd
    .uniform_work_group_size: 1
    .uses_dynamic_stack: false
    .vgpr_count:     13
    .vgpr_spill_count: 0
    .wavefront_size: 32
  - .args:
      - .offset:         0
        .size:           4
        .value_kind:     by_value
      - .actual_access:  read_only
        .address_space:  global
        .offset:         8
        .size:           8
        .value_kind:     global_buffer
      - .offset:         16
        .size:           8
        .value_kind:     by_value
      - .offset:         24
        .size:           4
        .value_kind:     by_value
      - .offset:         32
        .size:           8
        .value_kind:     by_value
      - .actual_access:  read_only
        .address_space:  global
        .offset:         40
        .size:           8
        .value_kind:     global_buffer
      - .offset:         48
        .size:           8
        .value_kind:     by_value
      - .offset:         56
        .size:           4
        .value_kind:     by_value
      - .offset:         64
        .size:           8
        .value_kind:     by_value
      - .actual_access:  read_only
        .address_space:  global
        .offset:         72
        .size:           8
        .value_kind:     global_buffer
      - .actual_access:  read_only
        .address_space:  global
        .offset:         80
        .size:           8
        .value_kind:     global_buffer
    .group_segment_fixed_size: 0
    .kernarg_segment_align: 8
    .kernarg_segment_size: 88
    .language:       OpenCL C
    .language_version:
      - 2
      - 0
    .max_flat_workgroup_size: 1024
    .name:           _ZL38rocblas_dot_kernel_gfx942_float_doubleIiLi1024EDF16_PKPKDF16_DF16_EviT2_lT_lS4_lS5_lPT3_PT1_
    .private_segment_fixed_size: 0
    .sgpr_count:     0
    .sgpr_spill_count: 0
    .symbol:         _ZL38rocblas_dot_kernel_gfx942_float_doubleIiLi1024EDF16_PKPKDF16_DF16_EviT2_lT_lS4_lS5_lPT3_PT1_.kd
    .uniform_work_group_size: 1
    .uses_dynamic_stack: false
    .vgpr_count:     0
    .vgpr_spill_count: 0
    .wavefront_size: 32
  - .args:
      - .offset:         0
        .size:           4
        .value_kind:     by_value
      - .actual_access:  read_only
        .address_space:  global
        .offset:         8
        .size:           8
        .value_kind:     global_buffer
      - .offset:         16
        .size:           8
        .value_kind:     by_value
      - .offset:         24
        .size:           8
        .value_kind:     by_value
      - .actual_access:  read_only
        .address_space:  global
        .offset:         32
        .size:           8
        .value_kind:     global_buffer
      - .offset:         40
        .size:           8
        .value_kind:     by_value
      - .offset:         48
        .size:           8
        .value_kind:     by_value
      - .offset:         56
        .size:           4
        .value_kind:     by_value
      - .actual_access:  write_only
        .address_space:  global
        .offset:         64
        .size:           8
        .value_kind:     global_buffer
      - .actual_access:  write_only
        .address_space:  global
        .offset:         72
        .size:           8
        .value_kind:     global_buffer
      - .offset:         80
        .size:           4
        .value_kind:     hidden_block_count_x
      - .offset:         84
        .size:           4
        .value_kind:     hidden_block_count_y
      - .offset:         88
        .size:           4
        .value_kind:     hidden_block_count_z
      - .offset:         92
        .size:           2
        .value_kind:     hidden_group_size_x
      - .offset:         94
        .size:           2
        .value_kind:     hidden_group_size_y
      - .offset:         96
        .size:           2
        .value_kind:     hidden_group_size_z
      - .offset:         98
        .size:           2
        .value_kind:     hidden_remainder_x
      - .offset:         100
        .size:           2
        .value_kind:     hidden_remainder_y
      - .offset:         102
        .size:           2
        .value_kind:     hidden_remainder_z
      - .offset:         120
        .size:           8
        .value_kind:     hidden_global_offset_x
      - .offset:         128
        .size:           8
        .value_kind:     hidden_global_offset_y
      - .offset:         136
        .size:           8
        .value_kind:     hidden_global_offset_z
      - .offset:         144
        .size:           2
        .value_kind:     hidden_grid_dims
    .group_segment_fixed_size: 64
    .kernarg_segment_align: 8
    .kernarg_segment_size: 336
    .language:       OpenCL C
    .language_version:
      - 2
      - 0
    .max_flat_workgroup_size: 512
    .name:           _ZL23rocblas_dot_kernel_inc1ILb0ELi512ELi8ELb1EDF16_PKPKDF16_DF16_EviT4_llS4_lliPT5_PT3_
    .private_segment_fixed_size: 0
    .sgpr_count:     40
    .sgpr_spill_count: 0
    .symbol:         _ZL23rocblas_dot_kernel_inc1ILb0ELi512ELi8ELb1EDF16_PKPKDF16_DF16_EviT4_llS4_lliPT5_PT3_.kd
    .uniform_work_group_size: 1
    .uses_dynamic_stack: false
    .vgpr_count:     18
    .vgpr_spill_count: 0
    .wavefront_size: 32
  - .args:
      - .offset:         0
        .size:           4
        .value_kind:     by_value
      - .actual_access:  read_only
        .address_space:  global
        .offset:         8
        .size:           8
        .value_kind:     global_buffer
      - .offset:         16
        .size:           8
        .value_kind:     by_value
      - .offset:         24
        .size:           4
        .value_kind:     by_value
      - .offset:         32
        .size:           8
        .value_kind:     by_value
      - .actual_access:  read_only
        .address_space:  global
        .offset:         40
        .size:           8
        .value_kind:     global_buffer
      - .offset:         48
        .size:           8
        .value_kind:     by_value
      - .offset:         56
        .size:           4
        .value_kind:     by_value
      - .offset:         64
        .size:           8
        .value_kind:     by_value
      - .offset:         72
        .size:           4
        .value_kind:     by_value
      - .actual_access:  write_only
        .address_space:  global
        .offset:         80
        .size:           8
        .value_kind:     global_buffer
      - .actual_access:  write_only
        .address_space:  global
        .offset:         88
        .size:           8
        .value_kind:     global_buffer
      - .offset:         96
        .size:           4
        .value_kind:     hidden_block_count_x
      - .offset:         100
        .size:           4
        .value_kind:     hidden_block_count_y
      - .offset:         104
        .size:           4
        .value_kind:     hidden_block_count_z
      - .offset:         108
        .size:           2
        .value_kind:     hidden_group_size_x
      - .offset:         110
        .size:           2
        .value_kind:     hidden_group_size_y
      - .offset:         112
        .size:           2
        .value_kind:     hidden_group_size_z
      - .offset:         114
        .size:           2
        .value_kind:     hidden_remainder_x
      - .offset:         116
        .size:           2
        .value_kind:     hidden_remainder_y
      - .offset:         118
        .size:           2
        .value_kind:     hidden_remainder_z
      - .offset:         136
        .size:           8
        .value_kind:     hidden_global_offset_x
      - .offset:         144
        .size:           8
        .value_kind:     hidden_global_offset_y
      - .offset:         152
        .size:           8
        .value_kind:     hidden_global_offset_z
      - .offset:         160
        .size:           2
        .value_kind:     hidden_grid_dims
    .group_segment_fixed_size: 64
    .kernarg_segment_align: 8
    .kernarg_segment_size: 352
    .language:       OpenCL C
    .language_version:
      - 2
      - 0
    .max_flat_workgroup_size: 512
    .name:           _ZL18rocblas_dot_kernelIiLb0ELi512ELi8ELb1EDF16_PKPKDF16_DF16_EviT5_lT_lS4_lS5_liPT6_PT4_
    .private_segment_fixed_size: 0
    .sgpr_count:     44
    .sgpr_spill_count: 0
    .symbol:         _ZL18rocblas_dot_kernelIiLb0ELi512ELi8ELb1EDF16_PKPKDF16_DF16_EviT5_lT_lS4_lS5_liPT6_PT4_.kd
    .uniform_work_group_size: 1
    .uses_dynamic_stack: false
    .vgpr_count:     16
    .vgpr_spill_count: 0
    .wavefront_size: 32
  - .args:
      - .offset:         0
        .size:           4
        .value_kind:     by_value
      - .actual_access:  read_only
        .address_space:  global
        .offset:         8
        .size:           8
        .value_kind:     global_buffer
      - .offset:         16
        .size:           8
        .value_kind:     by_value
      - .offset:         24
        .size:           4
        .value_kind:     by_value
      - .offset:         32
        .size:           8
        .value_kind:     by_value
      - .offset:         40
        .size:           4
        .value_kind:     by_value
      - .actual_access:  write_only
        .address_space:  global
        .offset:         48
        .size:           8
        .value_kind:     global_buffer
      - .actual_access:  write_only
        .address_space:  global
        .offset:         56
        .size:           8
        .value_kind:     global_buffer
      - .offset:         64
        .size:           4
        .value_kind:     hidden_block_count_x
      - .offset:         68
        .size:           4
        .value_kind:     hidden_block_count_y
      - .offset:         72
        .size:           4
        .value_kind:     hidden_block_count_z
      - .offset:         76
        .size:           2
        .value_kind:     hidden_group_size_x
      - .offset:         78
        .size:           2
        .value_kind:     hidden_group_size_y
      - .offset:         80
        .size:           2
        .value_kind:     hidden_group_size_z
      - .offset:         82
        .size:           2
        .value_kind:     hidden_remainder_x
      - .offset:         84
        .size:           2
        .value_kind:     hidden_remainder_y
      - .offset:         86
        .size:           2
        .value_kind:     hidden_remainder_z
      - .offset:         104
        .size:           8
        .value_kind:     hidden_global_offset_x
      - .offset:         112
        .size:           8
        .value_kind:     hidden_global_offset_y
      - .offset:         120
        .size:           8
        .value_kind:     hidden_global_offset_z
      - .offset:         128
        .size:           2
        .value_kind:     hidden_grid_dims
    .group_segment_fixed_size: 64
    .kernarg_segment_align: 8
    .kernarg_segment_size: 320
    .language:       OpenCL C
    .language_version:
      - 2
      - 0
    .max_flat_workgroup_size: 512
    .name:           _ZL24rocblas_dot_kernel_magsqIiLb0ELi512ELi8ELb1EDF16_PKPKDF16_DF16_EviT5_lT_liPT6_PT4_
    .private_segment_fixed_size: 0
    .sgpr_count:     30
    .sgpr_spill_count: 0
    .symbol:         _ZL24rocblas_dot_kernel_magsqIiLb0ELi512ELi8ELb1EDF16_PKPKDF16_DF16_EviT5_lT_liPT6_PT4_.kd
    .uniform_work_group_size: 1
    .uses_dynamic_stack: false
    .vgpr_count:     13
    .vgpr_spill_count: 0
    .wavefront_size: 32
  - .args:
      - .offset:         0
        .size:           4
        .value_kind:     by_value
      - .actual_access:  read_only
        .address_space:  global
        .offset:         8
        .size:           8
        .value_kind:     global_buffer
      - .offset:         16
        .size:           8
        .value_kind:     by_value
      - .offset:         24
        .size:           4
        .value_kind:     by_value
      - .offset:         32
        .size:           8
        .value_kind:     by_value
      - .actual_access:  read_only
        .address_space:  global
        .offset:         40
        .size:           8
        .value_kind:     global_buffer
      - .offset:         48
        .size:           8
        .value_kind:     by_value
      - .offset:         56
        .size:           4
        .value_kind:     by_value
      - .offset:         64
        .size:           8
        .value_kind:     by_value
      - .offset:         72
        .size:           4
        .value_kind:     by_value
      - .actual_access:  write_only
        .address_space:  global
        .offset:         80
        .size:           8
        .value_kind:     global_buffer
    .group_segment_fixed_size: 0
    .kernarg_segment_align: 8
    .kernarg_segment_size: 88
    .language:       OpenCL C
    .language_version:
      - 2
      - 0
    .max_flat_workgroup_size: 128
    .name:           _ZL28rocblas_dot_batched_4_kernelIiLi32ELi4ELb1Ef16rocblas_bfloat16PKS0_EviT5_lT_lS3_lS4_liPT4_
    .private_segment_fixed_size: 0
    .sgpr_count:     21
    .sgpr_spill_count: 0
    .symbol:         _ZL28rocblas_dot_batched_4_kernelIiLi32ELi4ELb1Ef16rocblas_bfloat16PKS0_EviT5_lT_lS3_lS4_liPT4_.kd
    .uniform_work_group_size: 1
    .uses_dynamic_stack: false
    .vgpr_count:     12
    .vgpr_spill_count: 0
    .wavefront_size: 32
  - .args:
      - .offset:         0
        .size:           4
        .value_kind:     by_value
      - .actual_access:  read_only
        .address_space:  global
        .offset:         8
        .size:           8
        .value_kind:     global_buffer
      - .offset:         16
        .size:           8
        .value_kind:     by_value
      - .offset:         24
        .size:           4
        .value_kind:     by_value
      - .offset:         32
        .size:           8
        .value_kind:     by_value
      - .actual_access:  read_only
        .address_space:  global
        .offset:         40
        .size:           8
        .value_kind:     global_buffer
      - .offset:         48
        .size:           8
        .value_kind:     by_value
      - .offset:         56
        .size:           4
        .value_kind:     by_value
      - .offset:         64
        .size:           8
        .value_kind:     by_value
      - .offset:         72
        .size:           4
        .value_kind:     by_value
      - .actual_access:  write_only
        .address_space:  global
        .offset:         80
        .size:           8
        .value_kind:     global_buffer
    .group_segment_fixed_size: 0
    .kernarg_segment_align: 8
    .kernarg_segment_size: 88
    .language:       OpenCL C
    .language_version:
      - 2
      - 0
    .max_flat_workgroup_size: 256
    .name:           _ZL28rocblas_dot_batched_4_kernelIiLi64ELi4ELb1Ef16rocblas_bfloat16PKS0_EviT5_lT_lS3_lS4_liPT4_
    .private_segment_fixed_size: 0
    .sgpr_count:     21
    .sgpr_spill_count: 0
    .symbol:         _ZL28rocblas_dot_batched_4_kernelIiLi64ELi4ELb1Ef16rocblas_bfloat16PKS0_EviT5_lT_lS3_lS4_liPT4_.kd
    .uniform_work_group_size: 1
    .uses_dynamic_stack: false
    .vgpr_count:     12
    .vgpr_spill_count: 0
    .wavefront_size: 32
  - .args:
      - .offset:         0
        .size:           4
        .value_kind:     by_value
      - .actual_access:  read_only
        .address_space:  global
        .offset:         8
        .size:           8
        .value_kind:     global_buffer
      - .offset:         16
        .size:           8
        .value_kind:     by_value
      - .offset:         24
        .size:           8
        .value_kind:     by_value
      - .actual_access:  read_only
        .address_space:  global
        .offset:         32
        .size:           8
        .value_kind:     global_buffer
      - .offset:         40
        .size:           8
        .value_kind:     by_value
      - .offset:         48
        .size:           8
        .value_kind:     by_value
      - .offset:         56
        .size:           4
        .value_kind:     by_value
      - .actual_access:  read_only
        .address_space:  global
        .offset:         64
        .size:           8
        .value_kind:     global_buffer
      - .actual_access:  write_only
        .address_space:  global
        .offset:         72
        .size:           8
        .value_kind:     global_buffer
    .group_segment_fixed_size: 128
    .kernarg_segment_align: 8
    .kernarg_segment_size: 80
    .language:       OpenCL C
    .language_version:
      - 2
      - 0
    .max_flat_workgroup_size: 1024
    .name:           _ZL26rocblas_dot_kernel_inc1by2ILb1ELi1024ELi32ELb1E16rocblas_bfloat16PKS0_fEviT4_llS3_lliPT5_PT3_
    .private_segment_fixed_size: 0
    .sgpr_count:     32
    .sgpr_spill_count: 0
    .symbol:         _ZL26rocblas_dot_kernel_inc1by2ILb1ELi1024ELi32ELb1E16rocblas_bfloat16PKS0_fEviT4_llS3_lliPT5_PT3_.kd
    .uniform_work_group_size: 1
    .uses_dynamic_stack: false
    .vgpr_count:     18
    .vgpr_spill_count: 0
    .wavefront_size: 32
  - .args:
      - .offset:         0
        .size:           4
        .value_kind:     by_value
      - .actual_access:  read_only
        .address_space:  global
        .offset:         8
        .size:           8
        .value_kind:     global_buffer
      - .offset:         16
        .size:           8
        .value_kind:     by_value
      - .offset:         24
        .size:           4
        .value_kind:     by_value
      - .offset:         32
        .size:           8
        .value_kind:     by_value
      - .actual_access:  read_only
        .address_space:  global
        .offset:         40
        .size:           8
        .value_kind:     global_buffer
      - .offset:         48
        .size:           8
        .value_kind:     by_value
      - .offset:         56
        .size:           4
        .value_kind:     by_value
      - .offset:         64
        .size:           8
        .value_kind:     by_value
      - .offset:         72
        .size:           4
        .value_kind:     by_value
      - .actual_access:  read_only
        .address_space:  global
        .offset:         80
        .size:           8
        .value_kind:     global_buffer
      - .actual_access:  write_only
        .address_space:  global
        .offset:         88
        .size:           8
        .value_kind:     global_buffer
      - .offset:         96
        .size:           4
        .value_kind:     hidden_block_count_x
      - .offset:         100
        .size:           4
        .value_kind:     hidden_block_count_y
      - .offset:         104
        .size:           4
        .value_kind:     hidden_block_count_z
      - .offset:         108
        .size:           2
        .value_kind:     hidden_group_size_x
      - .offset:         110
        .size:           2
        .value_kind:     hidden_group_size_y
      - .offset:         112
        .size:           2
        .value_kind:     hidden_group_size_z
      - .offset:         114
        .size:           2
        .value_kind:     hidden_remainder_x
      - .offset:         116
        .size:           2
        .value_kind:     hidden_remainder_y
      - .offset:         118
        .size:           2
        .value_kind:     hidden_remainder_z
      - .offset:         136
        .size:           8
        .value_kind:     hidden_global_offset_x
      - .offset:         144
        .size:           8
        .value_kind:     hidden_global_offset_y
      - .offset:         152
        .size:           8
        .value_kind:     hidden_global_offset_z
      - .offset:         160
        .size:           2
        .value_kind:     hidden_grid_dims
    .group_segment_fixed_size: 128
    .kernarg_segment_align: 8
    .kernarg_segment_size: 352
    .language:       OpenCL C
    .language_version:
      - 2
      - 0
    .max_flat_workgroup_size: 1024
    .name:           _ZL18rocblas_dot_kernelIiLb1ELi1024ELi32ELb1E16rocblas_bfloat16PKS0_fEviT5_lT_lS3_lS4_liPT6_PT4_
    .private_segment_fixed_size: 0
    .sgpr_count:     34
    .sgpr_spill_count: 0
    .symbol:         _ZL18rocblas_dot_kernelIiLb1ELi1024ELi32ELb1E16rocblas_bfloat16PKS0_fEviT5_lT_lS3_lS4_liPT6_PT4_.kd
    .uniform_work_group_size: 1
    .uses_dynamic_stack: false
    .vgpr_count:     16
    .vgpr_spill_count: 0
    .wavefront_size: 32
  - .args:
      - .offset:         0
        .size:           4
        .value_kind:     by_value
      - .actual_access:  read_only
        .address_space:  global
        .offset:         8
        .size:           8
        .value_kind:     global_buffer
      - .offset:         16
        .size:           8
        .value_kind:     by_value
      - .offset:         24
        .size:           4
        .value_kind:     by_value
      - .offset:         32
        .size:           8
        .value_kind:     by_value
      - .offset:         40
        .size:           4
        .value_kind:     by_value
      - .actual_access:  read_only
        .address_space:  global
        .offset:         48
        .size:           8
        .value_kind:     global_buffer
      - .actual_access:  write_only
        .address_space:  global
        .offset:         56
        .size:           8
        .value_kind:     global_buffer
      - .offset:         64
        .size:           4
        .value_kind:     hidden_block_count_x
      - .offset:         68
        .size:           4
        .value_kind:     hidden_block_count_y
      - .offset:         72
        .size:           4
        .value_kind:     hidden_block_count_z
      - .offset:         76
        .size:           2
        .value_kind:     hidden_group_size_x
      - .offset:         78
        .size:           2
        .value_kind:     hidden_group_size_y
      - .offset:         80
        .size:           2
        .value_kind:     hidden_group_size_z
      - .offset:         82
        .size:           2
        .value_kind:     hidden_remainder_x
      - .offset:         84
        .size:           2
        .value_kind:     hidden_remainder_y
      - .offset:         86
        .size:           2
        .value_kind:     hidden_remainder_z
      - .offset:         104
        .size:           8
        .value_kind:     hidden_global_offset_x
      - .offset:         112
        .size:           8
        .value_kind:     hidden_global_offset_y
      - .offset:         120
        .size:           8
        .value_kind:     hidden_global_offset_z
      - .offset:         128
        .size:           2
        .value_kind:     hidden_grid_dims
    .group_segment_fixed_size: 128
    .kernarg_segment_align: 8
    .kernarg_segment_size: 320
    .language:       OpenCL C
    .language_version:
      - 2
      - 0
    .max_flat_workgroup_size: 1024
    .name:           _ZL24rocblas_dot_kernel_magsqIiLb1ELi1024ELi32ELb1E16rocblas_bfloat16PKS0_fEviT5_lT_liPT6_PT4_
    .private_segment_fixed_size: 0
    .sgpr_count:     24
    .sgpr_spill_count: 0
    .symbol:         _ZL24rocblas_dot_kernel_magsqIiLb1ELi1024ELi32ELb1E16rocblas_bfloat16PKS0_fEviT5_lT_liPT6_PT4_.kd
    .uniform_work_group_size: 1
    .uses_dynamic_stack: false
    .vgpr_count:     13
    .vgpr_spill_count: 0
    .wavefront_size: 32
  - .args:
      - .offset:         0
        .size:           4
        .value_kind:     by_value
      - .actual_access:  read_only
        .address_space:  global
        .offset:         8
        .size:           8
        .value_kind:     global_buffer
      - .offset:         16
        .size:           8
        .value_kind:     by_value
      - .offset:         24
        .size:           4
        .value_kind:     by_value
      - .offset:         32
        .size:           8
        .value_kind:     by_value
      - .actual_access:  read_only
        .address_space:  global
        .offset:         40
        .size:           8
        .value_kind:     global_buffer
      - .offset:         48
        .size:           8
        .value_kind:     by_value
      - .offset:         56
        .size:           4
        .value_kind:     by_value
      - .offset:         64
        .size:           8
        .value_kind:     by_value
      - .actual_access:  read_only
        .address_space:  global
        .offset:         72
        .size:           8
        .value_kind:     global_buffer
      - .actual_access:  read_only
        .address_space:  global
        .offset:         80
        .size:           8
        .value_kind:     global_buffer
    .group_segment_fixed_size: 0
    .kernarg_segment_align: 8
    .kernarg_segment_size: 88
    .language:       OpenCL C
    .language_version:
      - 2
      - 0
    .max_flat_workgroup_size: 1024
    .name:           _ZL38rocblas_dot_kernel_gfx942_float_doubleIiLi1024E16rocblas_bfloat16PKS0_fEviT2_lT_lS3_lS4_lPT3_PT1_
    .private_segment_fixed_size: 0
    .sgpr_count:     0
    .sgpr_spill_count: 0
    .symbol:         _ZL38rocblas_dot_kernel_gfx942_float_doubleIiLi1024E16rocblas_bfloat16PKS0_fEviT2_lT_lS3_lS4_lPT3_PT1_.kd
    .uniform_work_group_size: 1
    .uses_dynamic_stack: false
    .vgpr_count:     0
    .vgpr_spill_count: 0
    .wavefront_size: 32
  - .args:
      - .offset:         0
        .size:           4
        .value_kind:     by_value
      - .actual_access:  read_only
        .address_space:  global
        .offset:         8
        .size:           8
        .value_kind:     global_buffer
      - .actual_access:  write_only
        .address_space:  global
        .offset:         16
        .size:           8
        .value_kind:     global_buffer
    .group_segment_fixed_size: 128
    .kernarg_segment_align: 8
    .kernarg_segment_size: 24
    .language:       OpenCL C
    .language_version:
      - 2
      - 0
    .max_flat_workgroup_size: 1024
    .name:           _ZL30rocblas_reduction_kernel_part2ILi1024ELi4E25rocblas_finalize_identityf16rocblas_bfloat16EviPT2_PT3_
    .private_segment_fixed_size: 0
    .sgpr_count:     18
    .sgpr_spill_count: 0
    .symbol:         _ZL30rocblas_reduction_kernel_part2ILi1024ELi4E25rocblas_finalize_identityf16rocblas_bfloat16EviPT2_PT3_.kd
    .uniform_work_group_size: 1
    .uses_dynamic_stack: false
    .vgpr_count:     10
    .vgpr_spill_count: 0
    .wavefront_size: 32
  - .args:
      - .offset:         0
        .size:           4
        .value_kind:     by_value
      - .actual_access:  read_only
        .address_space:  global
        .offset:         8
        .size:           8
        .value_kind:     global_buffer
      - .offset:         16
        .size:           8
        .value_kind:     by_value
      - .offset:         24
        .size:           8
        .value_kind:     by_value
      - .actual_access:  read_only
        .address_space:  global
        .offset:         32
        .size:           8
        .value_kind:     global_buffer
      - .offset:         40
        .size:           8
        .value_kind:     by_value
      - .offset:         48
        .size:           8
        .value_kind:     by_value
      - .offset:         56
        .size:           4
        .value_kind:     by_value
      - .actual_access:  write_only
        .address_space:  global
        .offset:         64
        .size:           8
        .value_kind:     global_buffer
      - .actual_access:  write_only
        .address_space:  global
        .offset:         72
        .size:           8
        .value_kind:     global_buffer
      - .offset:         80
        .size:           4
        .value_kind:     hidden_block_count_x
      - .offset:         84
        .size:           4
        .value_kind:     hidden_block_count_y
      - .offset:         88
        .size:           4
        .value_kind:     hidden_block_count_z
      - .offset:         92
        .size:           2
        .value_kind:     hidden_group_size_x
      - .offset:         94
        .size:           2
        .value_kind:     hidden_group_size_y
      - .offset:         96
        .size:           2
        .value_kind:     hidden_group_size_z
      - .offset:         98
        .size:           2
        .value_kind:     hidden_remainder_x
      - .offset:         100
        .size:           2
        .value_kind:     hidden_remainder_y
      - .offset:         102
        .size:           2
        .value_kind:     hidden_remainder_z
      - .offset:         120
        .size:           8
        .value_kind:     hidden_global_offset_x
      - .offset:         128
        .size:           8
        .value_kind:     hidden_global_offset_y
      - .offset:         136
        .size:           8
        .value_kind:     hidden_global_offset_z
      - .offset:         144
        .size:           2
        .value_kind:     hidden_grid_dims
    .group_segment_fixed_size: 128
    .kernarg_segment_align: 8
    .kernarg_segment_size: 336
    .language:       OpenCL C
    .language_version:
      - 2
      - 0
    .max_flat_workgroup_size: 512
    .name:           _ZL23rocblas_dot_kernel_inc1ILb0ELi512ELi8ELb1E16rocblas_bfloat16PKS0_fEviT4_llS3_lliPT5_PT3_
    .private_segment_fixed_size: 0
    .sgpr_count:     37
    .sgpr_spill_count: 0
    .symbol:         _ZL23rocblas_dot_kernel_inc1ILb0ELi512ELi8ELb1E16rocblas_bfloat16PKS0_fEviT4_llS3_lliPT5_PT3_.kd
    .uniform_work_group_size: 1
    .uses_dynamic_stack: false
    .vgpr_count:     18
    .vgpr_spill_count: 0
    .wavefront_size: 32
  - .args:
      - .offset:         0
        .size:           4
        .value_kind:     by_value
      - .actual_access:  read_only
        .address_space:  global
        .offset:         8
        .size:           8
        .value_kind:     global_buffer
      - .offset:         16
        .size:           8
        .value_kind:     by_value
      - .offset:         24
        .size:           4
        .value_kind:     by_value
      - .offset:         32
        .size:           8
        .value_kind:     by_value
      - .actual_access:  read_only
        .address_space:  global
        .offset:         40
        .size:           8
        .value_kind:     global_buffer
      - .offset:         48
        .size:           8
        .value_kind:     by_value
      - .offset:         56
        .size:           4
        .value_kind:     by_value
      - .offset:         64
        .size:           8
        .value_kind:     by_value
      - .offset:         72
        .size:           4
        .value_kind:     by_value
      - .actual_access:  write_only
        .address_space:  global
        .offset:         80
        .size:           8
        .value_kind:     global_buffer
      - .actual_access:  write_only
        .address_space:  global
        .offset:         88
        .size:           8
        .value_kind:     global_buffer
      - .offset:         96
        .size:           4
        .value_kind:     hidden_block_count_x
      - .offset:         100
        .size:           4
        .value_kind:     hidden_block_count_y
      - .offset:         104
        .size:           4
        .value_kind:     hidden_block_count_z
      - .offset:         108
        .size:           2
        .value_kind:     hidden_group_size_x
      - .offset:         110
        .size:           2
        .value_kind:     hidden_group_size_y
      - .offset:         112
        .size:           2
        .value_kind:     hidden_group_size_z
      - .offset:         114
        .size:           2
        .value_kind:     hidden_remainder_x
      - .offset:         116
        .size:           2
        .value_kind:     hidden_remainder_y
      - .offset:         118
        .size:           2
        .value_kind:     hidden_remainder_z
      - .offset:         136
        .size:           8
        .value_kind:     hidden_global_offset_x
      - .offset:         144
        .size:           8
        .value_kind:     hidden_global_offset_y
      - .offset:         152
        .size:           8
        .value_kind:     hidden_global_offset_z
      - .offset:         160
        .size:           2
        .value_kind:     hidden_grid_dims
    .group_segment_fixed_size: 128
    .kernarg_segment_align: 8
    .kernarg_segment_size: 352
    .language:       OpenCL C
    .language_version:
      - 2
      - 0
    .max_flat_workgroup_size: 512
    .name:           _ZL18rocblas_dot_kernelIiLb0ELi512ELi8ELb1E16rocblas_bfloat16PKS0_fEviT5_lT_lS3_lS4_liPT6_PT4_
    .private_segment_fixed_size: 0
    .sgpr_count:     40
    .sgpr_spill_count: 0
    .symbol:         _ZL18rocblas_dot_kernelIiLb0ELi512ELi8ELb1E16rocblas_bfloat16PKS0_fEviT5_lT_lS3_lS4_liPT6_PT4_.kd
    .uniform_work_group_size: 1
    .uses_dynamic_stack: false
    .vgpr_count:     16
    .vgpr_spill_count: 0
    .wavefront_size: 32
  - .args:
      - .offset:         0
        .size:           4
        .value_kind:     by_value
      - .actual_access:  read_only
        .address_space:  global
        .offset:         8
        .size:           8
        .value_kind:     global_buffer
      - .offset:         16
        .size:           8
        .value_kind:     by_value
      - .offset:         24
        .size:           4
        .value_kind:     by_value
      - .offset:         32
        .size:           8
        .value_kind:     by_value
      - .offset:         40
        .size:           4
        .value_kind:     by_value
      - .actual_access:  write_only
        .address_space:  global
        .offset:         48
        .size:           8
        .value_kind:     global_buffer
      - .actual_access:  write_only
        .address_space:  global
        .offset:         56
        .size:           8
        .value_kind:     global_buffer
      - .offset:         64
        .size:           4
        .value_kind:     hidden_block_count_x
      - .offset:         68
        .size:           4
        .value_kind:     hidden_block_count_y
      - .offset:         72
        .size:           4
        .value_kind:     hidden_block_count_z
      - .offset:         76
        .size:           2
        .value_kind:     hidden_group_size_x
      - .offset:         78
        .size:           2
        .value_kind:     hidden_group_size_y
      - .offset:         80
        .size:           2
        .value_kind:     hidden_group_size_z
      - .offset:         82
        .size:           2
        .value_kind:     hidden_remainder_x
      - .offset:         84
        .size:           2
        .value_kind:     hidden_remainder_y
      - .offset:         86
        .size:           2
        .value_kind:     hidden_remainder_z
      - .offset:         104
        .size:           8
        .value_kind:     hidden_global_offset_x
      - .offset:         112
        .size:           8
        .value_kind:     hidden_global_offset_y
      - .offset:         120
        .size:           8
        .value_kind:     hidden_global_offset_z
      - .offset:         128
        .size:           2
        .value_kind:     hidden_grid_dims
    .group_segment_fixed_size: 128
    .kernarg_segment_align: 8
    .kernarg_segment_size: 320
    .language:       OpenCL C
    .language_version:
      - 2
      - 0
    .max_flat_workgroup_size: 512
    .name:           _ZL24rocblas_dot_kernel_magsqIiLb0ELi512ELi8ELb1E16rocblas_bfloat16PKS0_fEviT5_lT_liPT6_PT4_
    .private_segment_fixed_size: 0
    .sgpr_count:     30
    .sgpr_spill_count: 0
    .symbol:         _ZL24rocblas_dot_kernel_magsqIiLb0ELi512ELi8ELb1E16rocblas_bfloat16PKS0_fEviT5_lT_liPT6_PT4_.kd
    .uniform_work_group_size: 1
    .uses_dynamic_stack: false
    .vgpr_count:     13
    .vgpr_spill_count: 0
    .wavefront_size: 32
  - .args:
      - .offset:         0
        .size:           4
        .value_kind:     by_value
      - .actual_access:  read_only
        .address_space:  global
        .offset:         8
        .size:           8
        .value_kind:     global_buffer
      - .actual_access:  write_only
        .address_space:  global
        .offset:         16
        .size:           8
        .value_kind:     global_buffer
    .group_segment_fixed_size: 128
    .kernarg_segment_align: 8
    .kernarg_segment_size: 24
    .language:       OpenCL C
    .language_version:
      - 2
      - 0
    .max_flat_workgroup_size: 512
    .name:           _ZL30rocblas_reduction_kernel_part2ILi512ELi8E25rocblas_finalize_identityf16rocblas_bfloat16EviPT2_PT3_
    .private_segment_fixed_size: 0
    .sgpr_count:     18
    .sgpr_spill_count: 0
    .symbol:         _ZL30rocblas_reduction_kernel_part2ILi512ELi8E25rocblas_finalize_identityf16rocblas_bfloat16EviPT2_PT3_.kd
    .uniform_work_group_size: 1
    .uses_dynamic_stack: false
    .vgpr_count:     14
    .vgpr_spill_count: 0
    .wavefront_size: 32
  - .args:
      - .offset:         0
        .size:           4
        .value_kind:     by_value
      - .actual_access:  read_only
        .address_space:  global
        .offset:         8
        .size:           8
        .value_kind:     global_buffer
      - .offset:         16
        .size:           8
        .value_kind:     by_value
      - .offset:         24
        .size:           4
        .value_kind:     by_value
      - .offset:         32
        .size:           8
        .value_kind:     by_value
      - .actual_access:  read_only
        .address_space:  global
        .offset:         40
        .size:           8
        .value_kind:     global_buffer
      - .offset:         48
        .size:           8
        .value_kind:     by_value
      - .offset:         56
        .size:           4
        .value_kind:     by_value
      - .offset:         64
        .size:           8
        .value_kind:     by_value
      - .offset:         72
        .size:           4
        .value_kind:     by_value
      - .actual_access:  write_only
        .address_space:  global
        .offset:         80
        .size:           8
        .value_kind:     global_buffer
    .group_segment_fixed_size: 0
    .kernarg_segment_align: 8
    .kernarg_segment_size: 88
    .language:       OpenCL C
    .language_version:
      - 2
      - 0
    .max_flat_workgroup_size: 128
    .name:           _ZL28rocblas_dot_batched_4_kernelIiLi32ELi4ELb1Ef16rocblas_bfloat16PKPKS0_EviT5_lT_lS5_lS6_liPT4_
    .private_segment_fixed_size: 0
    .sgpr_count:     18
    .sgpr_spill_count: 0
    .symbol:         _ZL28rocblas_dot_batched_4_kernelIiLi32ELi4ELb1Ef16rocblas_bfloat16PKPKS0_EviT5_lT_lS5_lS6_liPT4_.kd
    .uniform_work_group_size: 1
    .uses_dynamic_stack: false
    .vgpr_count:     12
    .vgpr_spill_count: 0
    .wavefront_size: 32
  - .args:
      - .offset:         0
        .size:           4
        .value_kind:     by_value
      - .actual_access:  read_only
        .address_space:  global
        .offset:         8
        .size:           8
        .value_kind:     global_buffer
      - .offset:         16
        .size:           8
        .value_kind:     by_value
      - .offset:         24
        .size:           4
        .value_kind:     by_value
      - .offset:         32
        .size:           8
        .value_kind:     by_value
      - .actual_access:  read_only
        .address_space:  global
        .offset:         40
        .size:           8
        .value_kind:     global_buffer
      - .offset:         48
        .size:           8
        .value_kind:     by_value
      - .offset:         56
        .size:           4
        .value_kind:     by_value
      - .offset:         64
        .size:           8
        .value_kind:     by_value
      - .offset:         72
        .size:           4
        .value_kind:     by_value
      - .actual_access:  write_only
        .address_space:  global
        .offset:         80
        .size:           8
        .value_kind:     global_buffer
    .group_segment_fixed_size: 0
    .kernarg_segment_align: 8
    .kernarg_segment_size: 88
    .language:       OpenCL C
    .language_version:
      - 2
      - 0
    .max_flat_workgroup_size: 256
    .name:           _ZL28rocblas_dot_batched_4_kernelIiLi64ELi4ELb1Ef16rocblas_bfloat16PKPKS0_EviT5_lT_lS5_lS6_liPT4_
    .private_segment_fixed_size: 0
    .sgpr_count:     18
    .sgpr_spill_count: 0
    .symbol:         _ZL28rocblas_dot_batched_4_kernelIiLi64ELi4ELb1Ef16rocblas_bfloat16PKPKS0_EviT5_lT_lS5_lS6_liPT4_.kd
    .uniform_work_group_size: 1
    .uses_dynamic_stack: false
    .vgpr_count:     12
    .vgpr_spill_count: 0
    .wavefront_size: 32
  - .args:
      - .offset:         0
        .size:           4
        .value_kind:     by_value
      - .actual_access:  read_only
        .address_space:  global
        .offset:         8
        .size:           8
        .value_kind:     global_buffer
      - .offset:         16
        .size:           8
        .value_kind:     by_value
      - .offset:         24
        .size:           8
        .value_kind:     by_value
      - .actual_access:  read_only
        .address_space:  global
        .offset:         32
        .size:           8
        .value_kind:     global_buffer
      - .offset:         40
        .size:           8
        .value_kind:     by_value
      - .offset:         48
        .size:           8
        .value_kind:     by_value
      - .offset:         56
        .size:           4
        .value_kind:     by_value
      - .actual_access:  read_only
        .address_space:  global
        .offset:         64
        .size:           8
        .value_kind:     global_buffer
      - .actual_access:  write_only
        .address_space:  global
        .offset:         72
        .size:           8
        .value_kind:     global_buffer
    .group_segment_fixed_size: 128
    .kernarg_segment_align: 8
    .kernarg_segment_size: 80
    .language:       OpenCL C
    .language_version:
      - 2
      - 0
    .max_flat_workgroup_size: 1024
    .name:           _ZL26rocblas_dot_kernel_inc1by2ILb1ELi1024ELi32ELb1E16rocblas_bfloat16PKPKS0_fEviT4_llS5_lliPT5_PT3_
    .private_segment_fixed_size: 0
    .sgpr_count:     30
    .sgpr_spill_count: 0
    .symbol:         _ZL26rocblas_dot_kernel_inc1by2ILb1ELi1024ELi32ELb1E16rocblas_bfloat16PKPKS0_fEviT4_llS5_lliPT5_PT3_.kd
    .uniform_work_group_size: 1
    .uses_dynamic_stack: false
    .vgpr_count:     18
    .vgpr_spill_count: 0
    .wavefront_size: 32
  - .args:
      - .offset:         0
        .size:           4
        .value_kind:     by_value
      - .actual_access:  read_only
        .address_space:  global
        .offset:         8
        .size:           8
        .value_kind:     global_buffer
      - .offset:         16
        .size:           8
        .value_kind:     by_value
      - .offset:         24
        .size:           4
        .value_kind:     by_value
      - .offset:         32
        .size:           8
        .value_kind:     by_value
      - .actual_access:  read_only
        .address_space:  global
        .offset:         40
        .size:           8
        .value_kind:     global_buffer
      - .offset:         48
        .size:           8
        .value_kind:     by_value
      - .offset:         56
        .size:           4
        .value_kind:     by_value
      - .offset:         64
        .size:           8
        .value_kind:     by_value
      - .offset:         72
        .size:           4
        .value_kind:     by_value
      - .actual_access:  read_only
        .address_space:  global
        .offset:         80
        .size:           8
        .value_kind:     global_buffer
      - .actual_access:  write_only
        .address_space:  global
        .offset:         88
        .size:           8
        .value_kind:     global_buffer
      - .offset:         96
        .size:           4
        .value_kind:     hidden_block_count_x
      - .offset:         100
        .size:           4
        .value_kind:     hidden_block_count_y
      - .offset:         104
        .size:           4
        .value_kind:     hidden_block_count_z
      - .offset:         108
        .size:           2
        .value_kind:     hidden_group_size_x
      - .offset:         110
        .size:           2
        .value_kind:     hidden_group_size_y
      - .offset:         112
        .size:           2
        .value_kind:     hidden_group_size_z
      - .offset:         114
        .size:           2
        .value_kind:     hidden_remainder_x
      - .offset:         116
        .size:           2
        .value_kind:     hidden_remainder_y
      - .offset:         118
        .size:           2
        .value_kind:     hidden_remainder_z
      - .offset:         136
        .size:           8
        .value_kind:     hidden_global_offset_x
      - .offset:         144
        .size:           8
        .value_kind:     hidden_global_offset_y
      - .offset:         152
        .size:           8
        .value_kind:     hidden_global_offset_z
      - .offset:         160
        .size:           2
        .value_kind:     hidden_grid_dims
    .group_segment_fixed_size: 128
    .kernarg_segment_align: 8
    .kernarg_segment_size: 352
    .language:       OpenCL C
    .language_version:
      - 2
      - 0
    .max_flat_workgroup_size: 1024
    .name:           _ZL18rocblas_dot_kernelIiLb1ELi1024ELi32ELb1E16rocblas_bfloat16PKPKS0_fEviT5_lT_lS5_lS6_liPT6_PT4_
    .private_segment_fixed_size: 0
    .sgpr_count:     40
    .sgpr_spill_count: 0
    .symbol:         _ZL18rocblas_dot_kernelIiLb1ELi1024ELi32ELb1E16rocblas_bfloat16PKPKS0_fEviT5_lT_lS5_lS6_liPT6_PT4_.kd
    .uniform_work_group_size: 1
    .uses_dynamic_stack: false
    .vgpr_count:     16
    .vgpr_spill_count: 0
    .wavefront_size: 32
  - .args:
      - .offset:         0
        .size:           4
        .value_kind:     by_value
      - .actual_access:  read_only
        .address_space:  global
        .offset:         8
        .size:           8
        .value_kind:     global_buffer
      - .offset:         16
        .size:           8
        .value_kind:     by_value
      - .offset:         24
        .size:           4
        .value_kind:     by_value
      - .offset:         32
        .size:           8
        .value_kind:     by_value
      - .offset:         40
        .size:           4
        .value_kind:     by_value
      - .actual_access:  read_only
        .address_space:  global
        .offset:         48
        .size:           8
        .value_kind:     global_buffer
      - .actual_access:  write_only
        .address_space:  global
        .offset:         56
        .size:           8
        .value_kind:     global_buffer
      - .offset:         64
        .size:           4
        .value_kind:     hidden_block_count_x
      - .offset:         68
        .size:           4
        .value_kind:     hidden_block_count_y
      - .offset:         72
        .size:           4
        .value_kind:     hidden_block_count_z
      - .offset:         76
        .size:           2
        .value_kind:     hidden_group_size_x
      - .offset:         78
        .size:           2
        .value_kind:     hidden_group_size_y
      - .offset:         80
        .size:           2
        .value_kind:     hidden_group_size_z
      - .offset:         82
        .size:           2
        .value_kind:     hidden_remainder_x
      - .offset:         84
        .size:           2
        .value_kind:     hidden_remainder_y
      - .offset:         86
        .size:           2
        .value_kind:     hidden_remainder_z
      - .offset:         104
        .size:           8
        .value_kind:     hidden_global_offset_x
      - .offset:         112
        .size:           8
        .value_kind:     hidden_global_offset_y
      - .offset:         120
        .size:           8
        .value_kind:     hidden_global_offset_z
      - .offset:         128
        .size:           2
        .value_kind:     hidden_grid_dims
    .group_segment_fixed_size: 128
    .kernarg_segment_align: 8
    .kernarg_segment_size: 320
    .language:       OpenCL C
    .language_version:
      - 2
      - 0
    .max_flat_workgroup_size: 1024
    .name:           _ZL24rocblas_dot_kernel_magsqIiLb1ELi1024ELi32ELb1E16rocblas_bfloat16PKPKS0_fEviT5_lT_liPT6_PT4_
    .private_segment_fixed_size: 0
    .sgpr_count:     24
    .sgpr_spill_count: 0
    .symbol:         _ZL24rocblas_dot_kernel_magsqIiLb1ELi1024ELi32ELb1E16rocblas_bfloat16PKPKS0_fEviT5_lT_liPT6_PT4_.kd
    .uniform_work_group_size: 1
    .uses_dynamic_stack: false
    .vgpr_count:     13
    .vgpr_spill_count: 0
    .wavefront_size: 32
  - .args:
      - .offset:         0
        .size:           4
        .value_kind:     by_value
      - .actual_access:  read_only
        .address_space:  global
        .offset:         8
        .size:           8
        .value_kind:     global_buffer
      - .offset:         16
        .size:           8
        .value_kind:     by_value
      - .offset:         24
        .size:           4
        .value_kind:     by_value
      - .offset:         32
        .size:           8
        .value_kind:     by_value
      - .actual_access:  read_only
        .address_space:  global
        .offset:         40
        .size:           8
        .value_kind:     global_buffer
      - .offset:         48
        .size:           8
        .value_kind:     by_value
      - .offset:         56
        .size:           4
        .value_kind:     by_value
      - .offset:         64
        .size:           8
        .value_kind:     by_value
      - .actual_access:  read_only
        .address_space:  global
        .offset:         72
        .size:           8
        .value_kind:     global_buffer
      - .actual_access:  read_only
        .address_space:  global
        .offset:         80
        .size:           8
        .value_kind:     global_buffer
    .group_segment_fixed_size: 0
    .kernarg_segment_align: 8
    .kernarg_segment_size: 88
    .language:       OpenCL C
    .language_version:
      - 2
      - 0
    .max_flat_workgroup_size: 1024
    .name:           _ZL38rocblas_dot_kernel_gfx942_float_doubleIiLi1024E16rocblas_bfloat16PKPKS0_fEviT2_lT_lS5_lS6_lPT3_PT1_
    .private_segment_fixed_size: 0
    .sgpr_count:     0
    .sgpr_spill_count: 0
    .symbol:         _ZL38rocblas_dot_kernel_gfx942_float_doubleIiLi1024E16rocblas_bfloat16PKPKS0_fEviT2_lT_lS5_lS6_lPT3_PT1_.kd
    .uniform_work_group_size: 1
    .uses_dynamic_stack: false
    .vgpr_count:     0
    .vgpr_spill_count: 0
    .wavefront_size: 32
  - .args:
      - .offset:         0
        .size:           4
        .value_kind:     by_value
      - .actual_access:  read_only
        .address_space:  global
        .offset:         8
        .size:           8
        .value_kind:     global_buffer
      - .offset:         16
        .size:           8
        .value_kind:     by_value
      - .offset:         24
        .size:           8
        .value_kind:     by_value
      - .actual_access:  read_only
        .address_space:  global
        .offset:         32
        .size:           8
        .value_kind:     global_buffer
      - .offset:         40
        .size:           8
        .value_kind:     by_value
      - .offset:         48
        .size:           8
        .value_kind:     by_value
      - .offset:         56
        .size:           4
        .value_kind:     by_value
      - .actual_access:  write_only
        .address_space:  global
        .offset:         64
        .size:           8
        .value_kind:     global_buffer
      - .actual_access:  write_only
        .address_space:  global
        .offset:         72
        .size:           8
        .value_kind:     global_buffer
      - .offset:         80
        .size:           4
        .value_kind:     hidden_block_count_x
      - .offset:         84
        .size:           4
        .value_kind:     hidden_block_count_y
      - .offset:         88
        .size:           4
        .value_kind:     hidden_block_count_z
      - .offset:         92
        .size:           2
        .value_kind:     hidden_group_size_x
      - .offset:         94
        .size:           2
        .value_kind:     hidden_group_size_y
      - .offset:         96
        .size:           2
        .value_kind:     hidden_group_size_z
      - .offset:         98
        .size:           2
        .value_kind:     hidden_remainder_x
      - .offset:         100
        .size:           2
        .value_kind:     hidden_remainder_y
      - .offset:         102
        .size:           2
        .value_kind:     hidden_remainder_z
      - .offset:         120
        .size:           8
        .value_kind:     hidden_global_offset_x
      - .offset:         128
        .size:           8
        .value_kind:     hidden_global_offset_y
      - .offset:         136
        .size:           8
        .value_kind:     hidden_global_offset_z
      - .offset:         144
        .size:           2
        .value_kind:     hidden_grid_dims
    .group_segment_fixed_size: 128
    .kernarg_segment_align: 8
    .kernarg_segment_size: 336
    .language:       OpenCL C
    .language_version:
      - 2
      - 0
    .max_flat_workgroup_size: 512
    .name:           _ZL23rocblas_dot_kernel_inc1ILb0ELi512ELi8ELb1E16rocblas_bfloat16PKPKS0_fEviT4_llS5_lliPT5_PT3_
    .private_segment_fixed_size: 0
    .sgpr_count:     40
    .sgpr_spill_count: 0
    .symbol:         _ZL23rocblas_dot_kernel_inc1ILb0ELi512ELi8ELb1E16rocblas_bfloat16PKPKS0_fEviT4_llS5_lliPT5_PT3_.kd
    .uniform_work_group_size: 1
    .uses_dynamic_stack: false
    .vgpr_count:     18
    .vgpr_spill_count: 0
    .wavefront_size: 32
  - .args:
      - .offset:         0
        .size:           4
        .value_kind:     by_value
      - .actual_access:  read_only
        .address_space:  global
        .offset:         8
        .size:           8
        .value_kind:     global_buffer
      - .offset:         16
        .size:           8
        .value_kind:     by_value
      - .offset:         24
        .size:           4
        .value_kind:     by_value
      - .offset:         32
        .size:           8
        .value_kind:     by_value
      - .actual_access:  read_only
        .address_space:  global
        .offset:         40
        .size:           8
        .value_kind:     global_buffer
      - .offset:         48
        .size:           8
        .value_kind:     by_value
      - .offset:         56
        .size:           4
        .value_kind:     by_value
      - .offset:         64
        .size:           8
        .value_kind:     by_value
      - .offset:         72
        .size:           4
        .value_kind:     by_value
      - .actual_access:  write_only
        .address_space:  global
        .offset:         80
        .size:           8
        .value_kind:     global_buffer
      - .actual_access:  write_only
        .address_space:  global
        .offset:         88
        .size:           8
        .value_kind:     global_buffer
      - .offset:         96
        .size:           4
        .value_kind:     hidden_block_count_x
      - .offset:         100
        .size:           4
        .value_kind:     hidden_block_count_y
      - .offset:         104
        .size:           4
        .value_kind:     hidden_block_count_z
      - .offset:         108
        .size:           2
        .value_kind:     hidden_group_size_x
      - .offset:         110
        .size:           2
        .value_kind:     hidden_group_size_y
      - .offset:         112
        .size:           2
        .value_kind:     hidden_group_size_z
      - .offset:         114
        .size:           2
        .value_kind:     hidden_remainder_x
      - .offset:         116
        .size:           2
        .value_kind:     hidden_remainder_y
      - .offset:         118
        .size:           2
        .value_kind:     hidden_remainder_z
      - .offset:         136
        .size:           8
        .value_kind:     hidden_global_offset_x
      - .offset:         144
        .size:           8
        .value_kind:     hidden_global_offset_y
      - .offset:         152
        .size:           8
        .value_kind:     hidden_global_offset_z
      - .offset:         160
        .size:           2
        .value_kind:     hidden_grid_dims
    .group_segment_fixed_size: 128
    .kernarg_segment_align: 8
    .kernarg_segment_size: 352
    .language:       OpenCL C
    .language_version:
      - 2
      - 0
    .max_flat_workgroup_size: 512
    .name:           _ZL18rocblas_dot_kernelIiLb0ELi512ELi8ELb1E16rocblas_bfloat16PKPKS0_fEviT5_lT_lS5_lS6_liPT6_PT4_
    .private_segment_fixed_size: 0
    .sgpr_count:     44
    .sgpr_spill_count: 0
    .symbol:         _ZL18rocblas_dot_kernelIiLb0ELi512ELi8ELb1E16rocblas_bfloat16PKPKS0_fEviT5_lT_lS5_lS6_liPT6_PT4_.kd
    .uniform_work_group_size: 1
    .uses_dynamic_stack: false
    .vgpr_count:     16
    .vgpr_spill_count: 0
    .wavefront_size: 32
  - .args:
      - .offset:         0
        .size:           4
        .value_kind:     by_value
      - .actual_access:  read_only
        .address_space:  global
        .offset:         8
        .size:           8
        .value_kind:     global_buffer
      - .offset:         16
        .size:           8
        .value_kind:     by_value
      - .offset:         24
        .size:           4
        .value_kind:     by_value
      - .offset:         32
        .size:           8
        .value_kind:     by_value
      - .offset:         40
        .size:           4
        .value_kind:     by_value
      - .actual_access:  write_only
        .address_space:  global
        .offset:         48
        .size:           8
        .value_kind:     global_buffer
      - .actual_access:  write_only
        .address_space:  global
        .offset:         56
        .size:           8
        .value_kind:     global_buffer
      - .offset:         64
        .size:           4
        .value_kind:     hidden_block_count_x
      - .offset:         68
        .size:           4
        .value_kind:     hidden_block_count_y
      - .offset:         72
        .size:           4
        .value_kind:     hidden_block_count_z
      - .offset:         76
        .size:           2
        .value_kind:     hidden_group_size_x
      - .offset:         78
        .size:           2
        .value_kind:     hidden_group_size_y
      - .offset:         80
        .size:           2
        .value_kind:     hidden_group_size_z
      - .offset:         82
        .size:           2
        .value_kind:     hidden_remainder_x
      - .offset:         84
        .size:           2
        .value_kind:     hidden_remainder_y
      - .offset:         86
        .size:           2
        .value_kind:     hidden_remainder_z
      - .offset:         104
        .size:           8
        .value_kind:     hidden_global_offset_x
      - .offset:         112
        .size:           8
        .value_kind:     hidden_global_offset_y
      - .offset:         120
        .size:           8
        .value_kind:     hidden_global_offset_z
      - .offset:         128
        .size:           2
        .value_kind:     hidden_grid_dims
    .group_segment_fixed_size: 128
    .kernarg_segment_align: 8
    .kernarg_segment_size: 320
    .language:       OpenCL C
    .language_version:
      - 2
      - 0
    .max_flat_workgroup_size: 512
    .name:           _ZL24rocblas_dot_kernel_magsqIiLb0ELi512ELi8ELb1E16rocblas_bfloat16PKPKS0_fEviT5_lT_liPT6_PT4_
    .private_segment_fixed_size: 0
    .sgpr_count:     30
    .sgpr_spill_count: 0
    .symbol:         _ZL24rocblas_dot_kernel_magsqIiLb0ELi512ELi8ELb1E16rocblas_bfloat16PKPKS0_fEviT5_lT_liPT6_PT4_.kd
    .uniform_work_group_size: 1
    .uses_dynamic_stack: false
    .vgpr_count:     13
    .vgpr_spill_count: 0
    .wavefront_size: 32
  - .args:
      - .offset:         0
        .size:           4
        .value_kind:     by_value
      - .actual_access:  read_only
        .address_space:  global
        .offset:         8
        .size:           8
        .value_kind:     global_buffer
      - .offset:         16
        .size:           8
        .value_kind:     by_value
      - .offset:         24
        .size:           4
        .value_kind:     by_value
      - .offset:         32
        .size:           8
        .value_kind:     by_value
      - .actual_access:  read_only
        .address_space:  global
        .offset:         40
        .size:           8
        .value_kind:     global_buffer
      - .offset:         48
        .size:           8
        .value_kind:     by_value
      - .offset:         56
        .size:           4
        .value_kind:     by_value
      - .offset:         64
        .size:           8
        .value_kind:     by_value
      - .offset:         72
        .size:           4
        .value_kind:     by_value
      - .actual_access:  write_only
        .address_space:  global
        .offset:         80
        .size:           8
        .value_kind:     global_buffer
    .group_segment_fixed_size: 0
    .kernarg_segment_align: 8
    .kernarg_segment_size: 88
    .language:       OpenCL C
    .language_version:
      - 2
      - 0
    .max_flat_workgroup_size: 128
    .name:           _ZL28rocblas_dot_batched_4_kernelIiLi32ELi4ELb1EffPKfEviT5_lT_lS2_lS3_liPT4_
    .private_segment_fixed_size: 0
    .sgpr_count:     21
    .sgpr_spill_count: 0
    .symbol:         _ZL28rocblas_dot_batched_4_kernelIiLi32ELi4ELb1EffPKfEviT5_lT_lS2_lS3_liPT4_.kd
    .uniform_work_group_size: 1
    .uses_dynamic_stack: false
    .vgpr_count:     12
    .vgpr_spill_count: 0
    .wavefront_size: 32
  - .args:
      - .offset:         0
        .size:           4
        .value_kind:     by_value
      - .actual_access:  read_only
        .address_space:  global
        .offset:         8
        .size:           8
        .value_kind:     global_buffer
      - .offset:         16
        .size:           8
        .value_kind:     by_value
      - .offset:         24
        .size:           4
        .value_kind:     by_value
      - .offset:         32
        .size:           8
        .value_kind:     by_value
      - .actual_access:  read_only
        .address_space:  global
        .offset:         40
        .size:           8
        .value_kind:     global_buffer
      - .offset:         48
        .size:           8
        .value_kind:     by_value
      - .offset:         56
        .size:           4
        .value_kind:     by_value
      - .offset:         64
        .size:           8
        .value_kind:     by_value
      - .offset:         72
        .size:           4
        .value_kind:     by_value
      - .actual_access:  write_only
        .address_space:  global
        .offset:         80
        .size:           8
        .value_kind:     global_buffer
    .group_segment_fixed_size: 0
    .kernarg_segment_align: 8
    .kernarg_segment_size: 88
    .language:       OpenCL C
    .language_version:
      - 2
      - 0
    .max_flat_workgroup_size: 256
    .name:           _ZL28rocblas_dot_batched_4_kernelIiLi64ELi4ELb1EffPKfEviT5_lT_lS2_lS3_liPT4_
    .private_segment_fixed_size: 0
    .sgpr_count:     21
    .sgpr_spill_count: 0
    .symbol:         _ZL28rocblas_dot_batched_4_kernelIiLi64ELi4ELb1EffPKfEviT5_lT_lS2_lS3_liPT4_.kd
    .uniform_work_group_size: 1
    .uses_dynamic_stack: false
    .vgpr_count:     12
    .vgpr_spill_count: 0
    .wavefront_size: 32
  - .args:
      - .offset:         0
        .size:           4
        .value_kind:     by_value
      - .actual_access:  read_only
        .address_space:  global
        .offset:         8
        .size:           8
        .value_kind:     global_buffer
      - .offset:         16
        .size:           8
        .value_kind:     by_value
      - .offset:         24
        .size:           8
        .value_kind:     by_value
      - .actual_access:  read_only
        .address_space:  global
        .offset:         32
        .size:           8
        .value_kind:     global_buffer
      - .offset:         40
        .size:           8
        .value_kind:     by_value
      - .offset:         48
        .size:           8
        .value_kind:     by_value
      - .offset:         56
        .size:           4
        .value_kind:     by_value
      - .actual_access:  read_only
        .address_space:  global
        .offset:         64
        .size:           8
        .value_kind:     global_buffer
      - .actual_access:  write_only
        .address_space:  global
        .offset:         72
        .size:           8
        .value_kind:     global_buffer
    .group_segment_fixed_size: 128
    .kernarg_segment_align: 8
    .kernarg_segment_size: 80
    .language:       OpenCL C
    .language_version:
      - 2
      - 0
    .max_flat_workgroup_size: 1024
    .name:           _ZL26rocblas_dot_kernel_inc1by2ILb1ELi1024ELi32ELb1EfPKffEviT4_llS2_lliPT5_PT3_
    .private_segment_fixed_size: 0
    .sgpr_count:     32
    .sgpr_spill_count: 0
    .symbol:         _ZL26rocblas_dot_kernel_inc1by2ILb1ELi1024ELi32ELb1EfPKffEviT4_llS2_lliPT5_PT3_.kd
    .uniform_work_group_size: 1
    .uses_dynamic_stack: false
    .vgpr_count:     18
    .vgpr_spill_count: 0
    .wavefront_size: 32
  - .args:
      - .offset:         0
        .size:           4
        .value_kind:     by_value
      - .actual_access:  read_only
        .address_space:  global
        .offset:         8
        .size:           8
        .value_kind:     global_buffer
      - .offset:         16
        .size:           8
        .value_kind:     by_value
      - .offset:         24
        .size:           4
        .value_kind:     by_value
      - .offset:         32
        .size:           8
        .value_kind:     by_value
      - .actual_access:  read_only
        .address_space:  global
        .offset:         40
        .size:           8
        .value_kind:     global_buffer
      - .offset:         48
        .size:           8
        .value_kind:     by_value
      - .offset:         56
        .size:           4
        .value_kind:     by_value
      - .offset:         64
        .size:           8
        .value_kind:     by_value
      - .offset:         72
        .size:           4
        .value_kind:     by_value
      - .actual_access:  read_only
        .address_space:  global
        .offset:         80
        .size:           8
        .value_kind:     global_buffer
      - .actual_access:  write_only
        .address_space:  global
        .offset:         88
        .size:           8
        .value_kind:     global_buffer
      - .offset:         96
        .size:           4
        .value_kind:     hidden_block_count_x
      - .offset:         100
        .size:           4
        .value_kind:     hidden_block_count_y
      - .offset:         104
        .size:           4
        .value_kind:     hidden_block_count_z
      - .offset:         108
        .size:           2
        .value_kind:     hidden_group_size_x
      - .offset:         110
        .size:           2
        .value_kind:     hidden_group_size_y
      - .offset:         112
        .size:           2
        .value_kind:     hidden_group_size_z
      - .offset:         114
        .size:           2
        .value_kind:     hidden_remainder_x
      - .offset:         116
        .size:           2
        .value_kind:     hidden_remainder_y
      - .offset:         118
        .size:           2
        .value_kind:     hidden_remainder_z
      - .offset:         136
        .size:           8
        .value_kind:     hidden_global_offset_x
      - .offset:         144
        .size:           8
        .value_kind:     hidden_global_offset_y
      - .offset:         152
        .size:           8
        .value_kind:     hidden_global_offset_z
      - .offset:         160
        .size:           2
        .value_kind:     hidden_grid_dims
    .group_segment_fixed_size: 128
    .kernarg_segment_align: 8
    .kernarg_segment_size: 352
    .language:       OpenCL C
    .language_version:
      - 2
      - 0
    .max_flat_workgroup_size: 1024
    .name:           _ZL18rocblas_dot_kernelIiLb1ELi1024ELi32ELb1EfPKffEviT5_lT_lS2_lS3_liPT6_PT4_
    .private_segment_fixed_size: 0
    .sgpr_count:     34
    .sgpr_spill_count: 0
    .symbol:         _ZL18rocblas_dot_kernelIiLb1ELi1024ELi32ELb1EfPKffEviT5_lT_lS2_lS3_liPT6_PT4_.kd
    .uniform_work_group_size: 1
    .uses_dynamic_stack: false
    .vgpr_count:     16
    .vgpr_spill_count: 0
    .wavefront_size: 32
  - .args:
      - .offset:         0
        .size:           4
        .value_kind:     by_value
      - .actual_access:  read_only
        .address_space:  global
        .offset:         8
        .size:           8
        .value_kind:     global_buffer
      - .offset:         16
        .size:           8
        .value_kind:     by_value
      - .offset:         24
        .size:           4
        .value_kind:     by_value
      - .offset:         32
        .size:           8
        .value_kind:     by_value
      - .offset:         40
        .size:           4
        .value_kind:     by_value
      - .actual_access:  read_only
        .address_space:  global
        .offset:         48
        .size:           8
        .value_kind:     global_buffer
      - .actual_access:  write_only
        .address_space:  global
        .offset:         56
        .size:           8
        .value_kind:     global_buffer
      - .offset:         64
        .size:           4
        .value_kind:     hidden_block_count_x
      - .offset:         68
        .size:           4
        .value_kind:     hidden_block_count_y
      - .offset:         72
        .size:           4
        .value_kind:     hidden_block_count_z
      - .offset:         76
        .size:           2
        .value_kind:     hidden_group_size_x
      - .offset:         78
        .size:           2
        .value_kind:     hidden_group_size_y
      - .offset:         80
        .size:           2
        .value_kind:     hidden_group_size_z
      - .offset:         82
        .size:           2
        .value_kind:     hidden_remainder_x
      - .offset:         84
        .size:           2
        .value_kind:     hidden_remainder_y
      - .offset:         86
        .size:           2
        .value_kind:     hidden_remainder_z
      - .offset:         104
        .size:           8
        .value_kind:     hidden_global_offset_x
      - .offset:         112
        .size:           8
        .value_kind:     hidden_global_offset_y
      - .offset:         120
        .size:           8
        .value_kind:     hidden_global_offset_z
      - .offset:         128
        .size:           2
        .value_kind:     hidden_grid_dims
    .group_segment_fixed_size: 128
    .kernarg_segment_align: 8
    .kernarg_segment_size: 320
    .language:       OpenCL C
    .language_version:
      - 2
      - 0
    .max_flat_workgroup_size: 1024
    .name:           _ZL24rocblas_dot_kernel_magsqIiLb1ELi1024ELi32ELb1EfPKffEviT5_lT_liPT6_PT4_
    .private_segment_fixed_size: 0
    .sgpr_count:     24
    .sgpr_spill_count: 0
    .symbol:         _ZL24rocblas_dot_kernel_magsqIiLb1ELi1024ELi32ELb1EfPKffEviT5_lT_liPT6_PT4_.kd
    .uniform_work_group_size: 1
    .uses_dynamic_stack: false
    .vgpr_count:     13
    .vgpr_spill_count: 0
    .wavefront_size: 32
  - .args:
      - .offset:         0
        .size:           4
        .value_kind:     by_value
      - .actual_access:  read_only
        .address_space:  global
        .offset:         8
        .size:           8
        .value_kind:     global_buffer
      - .offset:         16
        .size:           8
        .value_kind:     by_value
      - .offset:         24
        .size:           4
        .value_kind:     by_value
      - .offset:         32
        .size:           8
        .value_kind:     by_value
      - .actual_access:  read_only
        .address_space:  global
        .offset:         40
        .size:           8
        .value_kind:     global_buffer
      - .offset:         48
        .size:           8
        .value_kind:     by_value
      - .offset:         56
        .size:           4
        .value_kind:     by_value
      - .offset:         64
        .size:           8
        .value_kind:     by_value
      - .actual_access:  read_only
        .address_space:  global
        .offset:         72
        .size:           8
        .value_kind:     global_buffer
      - .actual_access:  read_only
        .address_space:  global
        .offset:         80
        .size:           8
        .value_kind:     global_buffer
    .group_segment_fixed_size: 0
    .kernarg_segment_align: 8
    .kernarg_segment_size: 88
    .language:       OpenCL C
    .language_version:
      - 2
      - 0
    .max_flat_workgroup_size: 1024
    .name:           _ZL38rocblas_dot_kernel_gfx942_float_doubleIiLi1024EfPKffEviT2_lT_lS2_lS3_lPT3_PT1_
    .private_segment_fixed_size: 0
    .sgpr_count:     0
    .sgpr_spill_count: 0
    .symbol:         _ZL38rocblas_dot_kernel_gfx942_float_doubleIiLi1024EfPKffEviT2_lT_lS2_lS3_lPT3_PT1_.kd
    .uniform_work_group_size: 1
    .uses_dynamic_stack: false
    .vgpr_count:     0
    .vgpr_spill_count: 0
    .wavefront_size: 32
  - .args:
      - .offset:         0
        .size:           4
        .value_kind:     by_value
      - .actual_access:  read_only
        .address_space:  global
        .offset:         8
        .size:           8
        .value_kind:     global_buffer
      - .actual_access:  write_only
        .address_space:  global
        .offset:         16
        .size:           8
        .value_kind:     global_buffer
    .group_segment_fixed_size: 128
    .kernarg_segment_align: 8
    .kernarg_segment_size: 24
    .language:       OpenCL C
    .language_version:
      - 2
      - 0
    .max_flat_workgroup_size: 1024
    .name:           _ZL30rocblas_reduction_kernel_part2ILi1024ELi4E25rocblas_finalize_identityffEviPT2_PT3_
    .private_segment_fixed_size: 0
    .sgpr_count:     18
    .sgpr_spill_count: 0
    .symbol:         _ZL30rocblas_reduction_kernel_part2ILi1024ELi4E25rocblas_finalize_identityffEviPT2_PT3_.kd
    .uniform_work_group_size: 1
    .uses_dynamic_stack: false
    .vgpr_count:     10
    .vgpr_spill_count: 0
    .wavefront_size: 32
  - .args:
      - .offset:         0
        .size:           4
        .value_kind:     by_value
      - .actual_access:  read_only
        .address_space:  global
        .offset:         8
        .size:           8
        .value_kind:     global_buffer
      - .offset:         16
        .size:           8
        .value_kind:     by_value
      - .offset:         24
        .size:           8
        .value_kind:     by_value
      - .actual_access:  read_only
        .address_space:  global
        .offset:         32
        .size:           8
        .value_kind:     global_buffer
      - .offset:         40
        .size:           8
        .value_kind:     by_value
      - .offset:         48
        .size:           8
        .value_kind:     by_value
      - .offset:         56
        .size:           4
        .value_kind:     by_value
      - .actual_access:  write_only
        .address_space:  global
        .offset:         64
        .size:           8
        .value_kind:     global_buffer
      - .actual_access:  write_only
        .address_space:  global
        .offset:         72
        .size:           8
        .value_kind:     global_buffer
      - .offset:         80
        .size:           4
        .value_kind:     hidden_block_count_x
      - .offset:         84
        .size:           4
        .value_kind:     hidden_block_count_y
      - .offset:         88
        .size:           4
        .value_kind:     hidden_block_count_z
      - .offset:         92
        .size:           2
        .value_kind:     hidden_group_size_x
      - .offset:         94
        .size:           2
        .value_kind:     hidden_group_size_y
      - .offset:         96
        .size:           2
        .value_kind:     hidden_group_size_z
      - .offset:         98
        .size:           2
        .value_kind:     hidden_remainder_x
      - .offset:         100
        .size:           2
        .value_kind:     hidden_remainder_y
      - .offset:         102
        .size:           2
        .value_kind:     hidden_remainder_z
      - .offset:         120
        .size:           8
        .value_kind:     hidden_global_offset_x
      - .offset:         128
        .size:           8
        .value_kind:     hidden_global_offset_y
      - .offset:         136
        .size:           8
        .value_kind:     hidden_global_offset_z
      - .offset:         144
        .size:           2
        .value_kind:     hidden_grid_dims
    .group_segment_fixed_size: 128
    .kernarg_segment_align: 8
    .kernarg_segment_size: 336
    .language:       OpenCL C
    .language_version:
      - 2
      - 0
    .max_flat_workgroup_size: 512
    .name:           _ZL23rocblas_dot_kernel_inc1ILb0ELi512ELi4ELb1EfPKffEviT4_llS2_lliPT5_PT3_
    .private_segment_fixed_size: 0
    .sgpr_count:     37
    .sgpr_spill_count: 0
    .symbol:         _ZL23rocblas_dot_kernel_inc1ILb0ELi512ELi4ELb1EfPKffEviT4_llS2_lliPT5_PT3_.kd
    .uniform_work_group_size: 1
    .uses_dynamic_stack: false
    .vgpr_count:     18
    .vgpr_spill_count: 0
    .wavefront_size: 32
  - .args:
      - .offset:         0
        .size:           4
        .value_kind:     by_value
      - .actual_access:  read_only
        .address_space:  global
        .offset:         8
        .size:           8
        .value_kind:     global_buffer
      - .offset:         16
        .size:           8
        .value_kind:     by_value
      - .offset:         24
        .size:           4
        .value_kind:     by_value
      - .offset:         32
        .size:           8
        .value_kind:     by_value
      - .actual_access:  read_only
        .address_space:  global
        .offset:         40
        .size:           8
        .value_kind:     global_buffer
      - .offset:         48
        .size:           8
        .value_kind:     by_value
      - .offset:         56
        .size:           4
        .value_kind:     by_value
      - .offset:         64
        .size:           8
        .value_kind:     by_value
      - .offset:         72
        .size:           4
        .value_kind:     by_value
      - .actual_access:  write_only
        .address_space:  global
        .offset:         80
        .size:           8
        .value_kind:     global_buffer
      - .actual_access:  write_only
        .address_space:  global
        .offset:         88
        .size:           8
        .value_kind:     global_buffer
      - .offset:         96
        .size:           4
        .value_kind:     hidden_block_count_x
      - .offset:         100
        .size:           4
        .value_kind:     hidden_block_count_y
      - .offset:         104
        .size:           4
        .value_kind:     hidden_block_count_z
      - .offset:         108
        .size:           2
        .value_kind:     hidden_group_size_x
      - .offset:         110
        .size:           2
        .value_kind:     hidden_group_size_y
      - .offset:         112
        .size:           2
        .value_kind:     hidden_group_size_z
      - .offset:         114
        .size:           2
        .value_kind:     hidden_remainder_x
      - .offset:         116
        .size:           2
        .value_kind:     hidden_remainder_y
      - .offset:         118
        .size:           2
        .value_kind:     hidden_remainder_z
      - .offset:         136
        .size:           8
        .value_kind:     hidden_global_offset_x
      - .offset:         144
        .size:           8
        .value_kind:     hidden_global_offset_y
      - .offset:         152
        .size:           8
        .value_kind:     hidden_global_offset_z
      - .offset:         160
        .size:           2
        .value_kind:     hidden_grid_dims
    .group_segment_fixed_size: 128
    .kernarg_segment_align: 8
    .kernarg_segment_size: 352
    .language:       OpenCL C
    .language_version:
      - 2
      - 0
    .max_flat_workgroup_size: 512
    .name:           _ZL18rocblas_dot_kernelIiLb0ELi512ELi4ELb1EfPKffEviT5_lT_lS2_lS3_liPT6_PT4_
    .private_segment_fixed_size: 0
    .sgpr_count:     40
    .sgpr_spill_count: 0
    .symbol:         _ZL18rocblas_dot_kernelIiLb0ELi512ELi4ELb1EfPKffEviT5_lT_lS2_lS3_liPT6_PT4_.kd
    .uniform_work_group_size: 1
    .uses_dynamic_stack: false
    .vgpr_count:     16
    .vgpr_spill_count: 0
    .wavefront_size: 32
  - .args:
      - .offset:         0
        .size:           4
        .value_kind:     by_value
      - .actual_access:  read_only
        .address_space:  global
        .offset:         8
        .size:           8
        .value_kind:     global_buffer
      - .offset:         16
        .size:           8
        .value_kind:     by_value
      - .offset:         24
        .size:           4
        .value_kind:     by_value
      - .offset:         32
        .size:           8
        .value_kind:     by_value
      - .offset:         40
        .size:           4
        .value_kind:     by_value
      - .actual_access:  write_only
        .address_space:  global
        .offset:         48
        .size:           8
        .value_kind:     global_buffer
      - .actual_access:  write_only
        .address_space:  global
        .offset:         56
        .size:           8
        .value_kind:     global_buffer
      - .offset:         64
        .size:           4
        .value_kind:     hidden_block_count_x
      - .offset:         68
        .size:           4
        .value_kind:     hidden_block_count_y
      - .offset:         72
        .size:           4
        .value_kind:     hidden_block_count_z
      - .offset:         76
        .size:           2
        .value_kind:     hidden_group_size_x
      - .offset:         78
        .size:           2
        .value_kind:     hidden_group_size_y
      - .offset:         80
        .size:           2
        .value_kind:     hidden_group_size_z
      - .offset:         82
        .size:           2
        .value_kind:     hidden_remainder_x
      - .offset:         84
        .size:           2
        .value_kind:     hidden_remainder_y
      - .offset:         86
        .size:           2
        .value_kind:     hidden_remainder_z
      - .offset:         104
        .size:           8
        .value_kind:     hidden_global_offset_x
      - .offset:         112
        .size:           8
        .value_kind:     hidden_global_offset_y
      - .offset:         120
        .size:           8
        .value_kind:     hidden_global_offset_z
      - .offset:         128
        .size:           2
        .value_kind:     hidden_grid_dims
    .group_segment_fixed_size: 128
    .kernarg_segment_align: 8
    .kernarg_segment_size: 320
    .language:       OpenCL C
    .language_version:
      - 2
      - 0
    .max_flat_workgroup_size: 512
    .name:           _ZL24rocblas_dot_kernel_magsqIiLb0ELi512ELi4ELb1EfPKffEviT5_lT_liPT6_PT4_
    .private_segment_fixed_size: 0
    .sgpr_count:     30
    .sgpr_spill_count: 0
    .symbol:         _ZL24rocblas_dot_kernel_magsqIiLb0ELi512ELi4ELb1EfPKffEviT5_lT_liPT6_PT4_.kd
    .uniform_work_group_size: 1
    .uses_dynamic_stack: false
    .vgpr_count:     13
    .vgpr_spill_count: 0
    .wavefront_size: 32
  - .args:
      - .offset:         0
        .size:           4
        .value_kind:     by_value
      - .actual_access:  read_only
        .address_space:  global
        .offset:         8
        .size:           8
        .value_kind:     global_buffer
      - .actual_access:  write_only
        .address_space:  global
        .offset:         16
        .size:           8
        .value_kind:     global_buffer
    .group_segment_fixed_size: 128
    .kernarg_segment_align: 8
    .kernarg_segment_size: 24
    .language:       OpenCL C
    .language_version:
      - 2
      - 0
    .max_flat_workgroup_size: 512
    .name:           _ZL30rocblas_reduction_kernel_part2ILi512ELi4E25rocblas_finalize_identityffEviPT2_PT3_
    .private_segment_fixed_size: 0
    .sgpr_count:     18
    .sgpr_spill_count: 0
    .symbol:         _ZL30rocblas_reduction_kernel_part2ILi512ELi4E25rocblas_finalize_identityffEviPT2_PT3_.kd
    .uniform_work_group_size: 1
    .uses_dynamic_stack: false
    .vgpr_count:     10
    .vgpr_spill_count: 0
    .wavefront_size: 32
  - .args:
      - .offset:         0
        .size:           4
        .value_kind:     by_value
      - .actual_access:  read_only
        .address_space:  global
        .offset:         8
        .size:           8
        .value_kind:     global_buffer
      - .offset:         16
        .size:           8
        .value_kind:     by_value
      - .offset:         24
        .size:           4
        .value_kind:     by_value
      - .offset:         32
        .size:           8
        .value_kind:     by_value
      - .actual_access:  read_only
        .address_space:  global
        .offset:         40
        .size:           8
        .value_kind:     global_buffer
      - .offset:         48
        .size:           8
        .value_kind:     by_value
      - .offset:         56
        .size:           4
        .value_kind:     by_value
      - .offset:         64
        .size:           8
        .value_kind:     by_value
      - .offset:         72
        .size:           4
        .value_kind:     by_value
      - .actual_access:  write_only
        .address_space:  global
        .offset:         80
        .size:           8
        .value_kind:     global_buffer
    .group_segment_fixed_size: 0
    .kernarg_segment_align: 8
    .kernarg_segment_size: 88
    .language:       OpenCL C
    .language_version:
      - 2
      - 0
    .max_flat_workgroup_size: 128
    .name:           _ZL28rocblas_dot_batched_4_kernelIiLi32ELi4ELb1EffPKPKfEviT5_lT_lS4_lS5_liPT4_
    .private_segment_fixed_size: 0
    .sgpr_count:     18
    .sgpr_spill_count: 0
    .symbol:         _ZL28rocblas_dot_batched_4_kernelIiLi32ELi4ELb1EffPKPKfEviT5_lT_lS4_lS5_liPT4_.kd
    .uniform_work_group_size: 1
    .uses_dynamic_stack: false
    .vgpr_count:     12
    .vgpr_spill_count: 0
    .wavefront_size: 32
  - .args:
      - .offset:         0
        .size:           4
        .value_kind:     by_value
      - .actual_access:  read_only
        .address_space:  global
        .offset:         8
        .size:           8
        .value_kind:     global_buffer
      - .offset:         16
        .size:           8
        .value_kind:     by_value
      - .offset:         24
        .size:           4
        .value_kind:     by_value
      - .offset:         32
        .size:           8
        .value_kind:     by_value
      - .actual_access:  read_only
        .address_space:  global
        .offset:         40
        .size:           8
        .value_kind:     global_buffer
      - .offset:         48
        .size:           8
        .value_kind:     by_value
      - .offset:         56
        .size:           4
        .value_kind:     by_value
      - .offset:         64
        .size:           8
        .value_kind:     by_value
      - .offset:         72
        .size:           4
        .value_kind:     by_value
      - .actual_access:  write_only
        .address_space:  global
        .offset:         80
        .size:           8
        .value_kind:     global_buffer
    .group_segment_fixed_size: 0
    .kernarg_segment_align: 8
    .kernarg_segment_size: 88
    .language:       OpenCL C
    .language_version:
      - 2
      - 0
    .max_flat_workgroup_size: 256
    .name:           _ZL28rocblas_dot_batched_4_kernelIiLi64ELi4ELb1EffPKPKfEviT5_lT_lS4_lS5_liPT4_
    .private_segment_fixed_size: 0
    .sgpr_count:     18
    .sgpr_spill_count: 0
    .symbol:         _ZL28rocblas_dot_batched_4_kernelIiLi64ELi4ELb1EffPKPKfEviT5_lT_lS4_lS5_liPT4_.kd
    .uniform_work_group_size: 1
    .uses_dynamic_stack: false
    .vgpr_count:     12
    .vgpr_spill_count: 0
    .wavefront_size: 32
  - .args:
      - .offset:         0
        .size:           4
        .value_kind:     by_value
      - .actual_access:  read_only
        .address_space:  global
        .offset:         8
        .size:           8
        .value_kind:     global_buffer
      - .offset:         16
        .size:           8
        .value_kind:     by_value
      - .offset:         24
        .size:           8
        .value_kind:     by_value
      - .actual_access:  read_only
        .address_space:  global
        .offset:         32
        .size:           8
        .value_kind:     global_buffer
      - .offset:         40
        .size:           8
        .value_kind:     by_value
      - .offset:         48
        .size:           8
        .value_kind:     by_value
      - .offset:         56
        .size:           4
        .value_kind:     by_value
      - .actual_access:  read_only
        .address_space:  global
        .offset:         64
        .size:           8
        .value_kind:     global_buffer
      - .actual_access:  write_only
        .address_space:  global
        .offset:         72
        .size:           8
        .value_kind:     global_buffer
    .group_segment_fixed_size: 128
    .kernarg_segment_align: 8
    .kernarg_segment_size: 80
    .language:       OpenCL C
    .language_version:
      - 2
      - 0
    .max_flat_workgroup_size: 1024
    .name:           _ZL26rocblas_dot_kernel_inc1by2ILb1ELi1024ELi32ELb1EfPKPKffEviT4_llS4_lliPT5_PT3_
    .private_segment_fixed_size: 0
    .sgpr_count:     30
    .sgpr_spill_count: 0
    .symbol:         _ZL26rocblas_dot_kernel_inc1by2ILb1ELi1024ELi32ELb1EfPKPKffEviT4_llS4_lliPT5_PT3_.kd
    .uniform_work_group_size: 1
    .uses_dynamic_stack: false
    .vgpr_count:     18
    .vgpr_spill_count: 0
    .wavefront_size: 32
  - .args:
      - .offset:         0
        .size:           4
        .value_kind:     by_value
      - .actual_access:  read_only
        .address_space:  global
        .offset:         8
        .size:           8
        .value_kind:     global_buffer
      - .offset:         16
        .size:           8
        .value_kind:     by_value
      - .offset:         24
        .size:           4
        .value_kind:     by_value
      - .offset:         32
        .size:           8
        .value_kind:     by_value
      - .actual_access:  read_only
        .address_space:  global
        .offset:         40
        .size:           8
        .value_kind:     global_buffer
      - .offset:         48
        .size:           8
        .value_kind:     by_value
      - .offset:         56
        .size:           4
        .value_kind:     by_value
      - .offset:         64
        .size:           8
        .value_kind:     by_value
      - .offset:         72
        .size:           4
        .value_kind:     by_value
      - .actual_access:  read_only
        .address_space:  global
        .offset:         80
        .size:           8
        .value_kind:     global_buffer
      - .actual_access:  write_only
        .address_space:  global
        .offset:         88
        .size:           8
        .value_kind:     global_buffer
      - .offset:         96
        .size:           4
        .value_kind:     hidden_block_count_x
      - .offset:         100
        .size:           4
        .value_kind:     hidden_block_count_y
      - .offset:         104
        .size:           4
        .value_kind:     hidden_block_count_z
      - .offset:         108
        .size:           2
        .value_kind:     hidden_group_size_x
      - .offset:         110
        .size:           2
        .value_kind:     hidden_group_size_y
      - .offset:         112
        .size:           2
        .value_kind:     hidden_group_size_z
      - .offset:         114
        .size:           2
        .value_kind:     hidden_remainder_x
      - .offset:         116
        .size:           2
        .value_kind:     hidden_remainder_y
      - .offset:         118
        .size:           2
        .value_kind:     hidden_remainder_z
      - .offset:         136
        .size:           8
        .value_kind:     hidden_global_offset_x
      - .offset:         144
        .size:           8
        .value_kind:     hidden_global_offset_y
      - .offset:         152
        .size:           8
        .value_kind:     hidden_global_offset_z
      - .offset:         160
        .size:           2
        .value_kind:     hidden_grid_dims
    .group_segment_fixed_size: 128
    .kernarg_segment_align: 8
    .kernarg_segment_size: 352
    .language:       OpenCL C
    .language_version:
      - 2
      - 0
    .max_flat_workgroup_size: 1024
    .name:           _ZL18rocblas_dot_kernelIiLb1ELi1024ELi32ELb1EfPKPKffEviT5_lT_lS4_lS5_liPT6_PT4_
    .private_segment_fixed_size: 0
    .sgpr_count:     40
    .sgpr_spill_count: 0
    .symbol:         _ZL18rocblas_dot_kernelIiLb1ELi1024ELi32ELb1EfPKPKffEviT5_lT_lS4_lS5_liPT6_PT4_.kd
    .uniform_work_group_size: 1
    .uses_dynamic_stack: false
    .vgpr_count:     16
    .vgpr_spill_count: 0
    .wavefront_size: 32
  - .args:
      - .offset:         0
        .size:           4
        .value_kind:     by_value
      - .actual_access:  read_only
        .address_space:  global
        .offset:         8
        .size:           8
        .value_kind:     global_buffer
      - .offset:         16
        .size:           8
        .value_kind:     by_value
      - .offset:         24
        .size:           4
        .value_kind:     by_value
      - .offset:         32
        .size:           8
        .value_kind:     by_value
      - .offset:         40
        .size:           4
        .value_kind:     by_value
      - .actual_access:  read_only
        .address_space:  global
        .offset:         48
        .size:           8
        .value_kind:     global_buffer
      - .actual_access:  write_only
        .address_space:  global
        .offset:         56
        .size:           8
        .value_kind:     global_buffer
      - .offset:         64
        .size:           4
        .value_kind:     hidden_block_count_x
      - .offset:         68
        .size:           4
        .value_kind:     hidden_block_count_y
      - .offset:         72
        .size:           4
        .value_kind:     hidden_block_count_z
      - .offset:         76
        .size:           2
        .value_kind:     hidden_group_size_x
      - .offset:         78
        .size:           2
        .value_kind:     hidden_group_size_y
      - .offset:         80
        .size:           2
        .value_kind:     hidden_group_size_z
      - .offset:         82
        .size:           2
        .value_kind:     hidden_remainder_x
      - .offset:         84
        .size:           2
        .value_kind:     hidden_remainder_y
      - .offset:         86
        .size:           2
        .value_kind:     hidden_remainder_z
      - .offset:         104
        .size:           8
        .value_kind:     hidden_global_offset_x
      - .offset:         112
        .size:           8
        .value_kind:     hidden_global_offset_y
      - .offset:         120
        .size:           8
        .value_kind:     hidden_global_offset_z
      - .offset:         128
        .size:           2
        .value_kind:     hidden_grid_dims
    .group_segment_fixed_size: 128
    .kernarg_segment_align: 8
    .kernarg_segment_size: 320
    .language:       OpenCL C
    .language_version:
      - 2
      - 0
    .max_flat_workgroup_size: 1024
    .name:           _ZL24rocblas_dot_kernel_magsqIiLb1ELi1024ELi32ELb1EfPKPKffEviT5_lT_liPT6_PT4_
    .private_segment_fixed_size: 0
    .sgpr_count:     24
    .sgpr_spill_count: 0
    .symbol:         _ZL24rocblas_dot_kernel_magsqIiLb1ELi1024ELi32ELb1EfPKPKffEviT5_lT_liPT6_PT4_.kd
    .uniform_work_group_size: 1
    .uses_dynamic_stack: false
    .vgpr_count:     13
    .vgpr_spill_count: 0
    .wavefront_size: 32
  - .args:
      - .offset:         0
        .size:           4
        .value_kind:     by_value
      - .actual_access:  read_only
        .address_space:  global
        .offset:         8
        .size:           8
        .value_kind:     global_buffer
      - .offset:         16
        .size:           8
        .value_kind:     by_value
      - .offset:         24
        .size:           4
        .value_kind:     by_value
      - .offset:         32
        .size:           8
        .value_kind:     by_value
      - .actual_access:  read_only
        .address_space:  global
        .offset:         40
        .size:           8
        .value_kind:     global_buffer
      - .offset:         48
        .size:           8
        .value_kind:     by_value
      - .offset:         56
        .size:           4
        .value_kind:     by_value
      - .offset:         64
        .size:           8
        .value_kind:     by_value
      - .actual_access:  read_only
        .address_space:  global
        .offset:         72
        .size:           8
        .value_kind:     global_buffer
      - .actual_access:  read_only
        .address_space:  global
        .offset:         80
        .size:           8
        .value_kind:     global_buffer
    .group_segment_fixed_size: 0
    .kernarg_segment_align: 8
    .kernarg_segment_size: 88
    .language:       OpenCL C
    .language_version:
      - 2
      - 0
    .max_flat_workgroup_size: 1024
    .name:           _ZL38rocblas_dot_kernel_gfx942_float_doubleIiLi1024EfPKPKffEviT2_lT_lS4_lS5_lPT3_PT1_
    .private_segment_fixed_size: 0
    .sgpr_count:     0
    .sgpr_spill_count: 0
    .symbol:         _ZL38rocblas_dot_kernel_gfx942_float_doubleIiLi1024EfPKPKffEviT2_lT_lS4_lS5_lPT3_PT1_.kd
    .uniform_work_group_size: 1
    .uses_dynamic_stack: false
    .vgpr_count:     0
    .vgpr_spill_count: 0
    .wavefront_size: 32
  - .args:
      - .offset:         0
        .size:           4
        .value_kind:     by_value
      - .actual_access:  read_only
        .address_space:  global
        .offset:         8
        .size:           8
        .value_kind:     global_buffer
      - .offset:         16
        .size:           8
        .value_kind:     by_value
      - .offset:         24
        .size:           8
        .value_kind:     by_value
      - .actual_access:  read_only
        .address_space:  global
        .offset:         32
        .size:           8
        .value_kind:     global_buffer
      - .offset:         40
        .size:           8
        .value_kind:     by_value
      - .offset:         48
        .size:           8
        .value_kind:     by_value
      - .offset:         56
        .size:           4
        .value_kind:     by_value
      - .actual_access:  write_only
        .address_space:  global
        .offset:         64
        .size:           8
        .value_kind:     global_buffer
      - .actual_access:  write_only
        .address_space:  global
        .offset:         72
        .size:           8
        .value_kind:     global_buffer
      - .offset:         80
        .size:           4
        .value_kind:     hidden_block_count_x
      - .offset:         84
        .size:           4
        .value_kind:     hidden_block_count_y
      - .offset:         88
        .size:           4
        .value_kind:     hidden_block_count_z
      - .offset:         92
        .size:           2
        .value_kind:     hidden_group_size_x
      - .offset:         94
        .size:           2
        .value_kind:     hidden_group_size_y
      - .offset:         96
        .size:           2
        .value_kind:     hidden_group_size_z
      - .offset:         98
        .size:           2
        .value_kind:     hidden_remainder_x
      - .offset:         100
        .size:           2
        .value_kind:     hidden_remainder_y
      - .offset:         102
        .size:           2
        .value_kind:     hidden_remainder_z
      - .offset:         120
        .size:           8
        .value_kind:     hidden_global_offset_x
      - .offset:         128
        .size:           8
        .value_kind:     hidden_global_offset_y
      - .offset:         136
        .size:           8
        .value_kind:     hidden_global_offset_z
      - .offset:         144
        .size:           2
        .value_kind:     hidden_grid_dims
    .group_segment_fixed_size: 128
    .kernarg_segment_align: 8
    .kernarg_segment_size: 336
    .language:       OpenCL C
    .language_version:
      - 2
      - 0
    .max_flat_workgroup_size: 512
    .name:           _ZL23rocblas_dot_kernel_inc1ILb0ELi512ELi4ELb1EfPKPKffEviT4_llS4_lliPT5_PT3_
    .private_segment_fixed_size: 0
    .sgpr_count:     40
    .sgpr_spill_count: 0
    .symbol:         _ZL23rocblas_dot_kernel_inc1ILb0ELi512ELi4ELb1EfPKPKffEviT4_llS4_lliPT5_PT3_.kd
    .uniform_work_group_size: 1
    .uses_dynamic_stack: false
    .vgpr_count:     18
    .vgpr_spill_count: 0
    .wavefront_size: 32
  - .args:
      - .offset:         0
        .size:           4
        .value_kind:     by_value
      - .actual_access:  read_only
        .address_space:  global
        .offset:         8
        .size:           8
        .value_kind:     global_buffer
      - .offset:         16
        .size:           8
        .value_kind:     by_value
      - .offset:         24
        .size:           4
        .value_kind:     by_value
      - .offset:         32
        .size:           8
        .value_kind:     by_value
      - .actual_access:  read_only
        .address_space:  global
        .offset:         40
        .size:           8
        .value_kind:     global_buffer
      - .offset:         48
        .size:           8
        .value_kind:     by_value
      - .offset:         56
        .size:           4
        .value_kind:     by_value
      - .offset:         64
        .size:           8
        .value_kind:     by_value
      - .offset:         72
        .size:           4
        .value_kind:     by_value
      - .actual_access:  write_only
        .address_space:  global
        .offset:         80
        .size:           8
        .value_kind:     global_buffer
      - .actual_access:  write_only
        .address_space:  global
        .offset:         88
        .size:           8
        .value_kind:     global_buffer
      - .offset:         96
        .size:           4
        .value_kind:     hidden_block_count_x
      - .offset:         100
        .size:           4
        .value_kind:     hidden_block_count_y
      - .offset:         104
        .size:           4
        .value_kind:     hidden_block_count_z
      - .offset:         108
        .size:           2
        .value_kind:     hidden_group_size_x
      - .offset:         110
        .size:           2
        .value_kind:     hidden_group_size_y
      - .offset:         112
        .size:           2
        .value_kind:     hidden_group_size_z
      - .offset:         114
        .size:           2
        .value_kind:     hidden_remainder_x
      - .offset:         116
        .size:           2
        .value_kind:     hidden_remainder_y
      - .offset:         118
        .size:           2
        .value_kind:     hidden_remainder_z
      - .offset:         136
        .size:           8
        .value_kind:     hidden_global_offset_x
      - .offset:         144
        .size:           8
        .value_kind:     hidden_global_offset_y
      - .offset:         152
        .size:           8
        .value_kind:     hidden_global_offset_z
      - .offset:         160
        .size:           2
        .value_kind:     hidden_grid_dims
    .group_segment_fixed_size: 128
    .kernarg_segment_align: 8
    .kernarg_segment_size: 352
    .language:       OpenCL C
    .language_version:
      - 2
      - 0
    .max_flat_workgroup_size: 512
    .name:           _ZL18rocblas_dot_kernelIiLb0ELi512ELi4ELb1EfPKPKffEviT5_lT_lS4_lS5_liPT6_PT4_
    .private_segment_fixed_size: 0
    .sgpr_count:     44
    .sgpr_spill_count: 0
    .symbol:         _ZL18rocblas_dot_kernelIiLb0ELi512ELi4ELb1EfPKPKffEviT5_lT_lS4_lS5_liPT6_PT4_.kd
    .uniform_work_group_size: 1
    .uses_dynamic_stack: false
    .vgpr_count:     16
    .vgpr_spill_count: 0
    .wavefront_size: 32
  - .args:
      - .offset:         0
        .size:           4
        .value_kind:     by_value
      - .actual_access:  read_only
        .address_space:  global
        .offset:         8
        .size:           8
        .value_kind:     global_buffer
      - .offset:         16
        .size:           8
        .value_kind:     by_value
      - .offset:         24
        .size:           4
        .value_kind:     by_value
      - .offset:         32
        .size:           8
        .value_kind:     by_value
      - .offset:         40
        .size:           4
        .value_kind:     by_value
      - .actual_access:  write_only
        .address_space:  global
        .offset:         48
        .size:           8
        .value_kind:     global_buffer
      - .actual_access:  write_only
        .address_space:  global
        .offset:         56
        .size:           8
        .value_kind:     global_buffer
      - .offset:         64
        .size:           4
        .value_kind:     hidden_block_count_x
      - .offset:         68
        .size:           4
        .value_kind:     hidden_block_count_y
      - .offset:         72
        .size:           4
        .value_kind:     hidden_block_count_z
      - .offset:         76
        .size:           2
        .value_kind:     hidden_group_size_x
      - .offset:         78
        .size:           2
        .value_kind:     hidden_group_size_y
      - .offset:         80
        .size:           2
        .value_kind:     hidden_group_size_z
      - .offset:         82
        .size:           2
        .value_kind:     hidden_remainder_x
      - .offset:         84
        .size:           2
        .value_kind:     hidden_remainder_y
      - .offset:         86
        .size:           2
        .value_kind:     hidden_remainder_z
      - .offset:         104
        .size:           8
        .value_kind:     hidden_global_offset_x
      - .offset:         112
        .size:           8
        .value_kind:     hidden_global_offset_y
      - .offset:         120
        .size:           8
        .value_kind:     hidden_global_offset_z
      - .offset:         128
        .size:           2
        .value_kind:     hidden_grid_dims
    .group_segment_fixed_size: 128
    .kernarg_segment_align: 8
    .kernarg_segment_size: 320
    .language:       OpenCL C
    .language_version:
      - 2
      - 0
    .max_flat_workgroup_size: 512
    .name:           _ZL24rocblas_dot_kernel_magsqIiLb0ELi512ELi4ELb1EfPKPKffEviT5_lT_liPT6_PT4_
    .private_segment_fixed_size: 0
    .sgpr_count:     30
    .sgpr_spill_count: 0
    .symbol:         _ZL24rocblas_dot_kernel_magsqIiLb0ELi512ELi4ELb1EfPKPKffEviT5_lT_liPT6_PT4_.kd
    .uniform_work_group_size: 1
    .uses_dynamic_stack: false
    .vgpr_count:     13
    .vgpr_spill_count: 0
    .wavefront_size: 32
  - .args:
      - .offset:         0
        .size:           4
        .value_kind:     by_value
      - .actual_access:  read_only
        .address_space:  global
        .offset:         8
        .size:           8
        .value_kind:     global_buffer
      - .offset:         16
        .size:           8
        .value_kind:     by_value
      - .offset:         24
        .size:           4
        .value_kind:     by_value
      - .offset:         32
        .size:           8
        .value_kind:     by_value
      - .actual_access:  read_only
        .address_space:  global
        .offset:         40
        .size:           8
        .value_kind:     global_buffer
      - .offset:         48
        .size:           8
        .value_kind:     by_value
      - .offset:         56
        .size:           4
        .value_kind:     by_value
      - .offset:         64
        .size:           8
        .value_kind:     by_value
      - .offset:         72
        .size:           4
        .value_kind:     by_value
      - .actual_access:  write_only
        .address_space:  global
        .offset:         80
        .size:           8
        .value_kind:     global_buffer
    .group_segment_fixed_size: 0
    .kernarg_segment_align: 8
    .kernarg_segment_size: 88
    .language:       OpenCL C
    .language_version:
      - 2
      - 0
    .max_flat_workgroup_size: 128
    .name:           _ZL28rocblas_dot_batched_4_kernelIiLi32ELi4ELb1EdfPKdEviT5_lT_lS2_lS3_liPT4_
    .private_segment_fixed_size: 0
    .sgpr_count:     21
    .sgpr_spill_count: 0
    .symbol:         _ZL28rocblas_dot_batched_4_kernelIiLi32ELi4ELb1EdfPKdEviT5_lT_lS2_lS3_liPT4_.kd
    .uniform_work_group_size: 1
    .uses_dynamic_stack: false
    .vgpr_count:     14
    .vgpr_spill_count: 0
    .wavefront_size: 32
  - .args:
      - .offset:         0
        .size:           4
        .value_kind:     by_value
      - .actual_access:  read_only
        .address_space:  global
        .offset:         8
        .size:           8
        .value_kind:     global_buffer
      - .offset:         16
        .size:           8
        .value_kind:     by_value
      - .offset:         24
        .size:           4
        .value_kind:     by_value
      - .offset:         32
        .size:           8
        .value_kind:     by_value
      - .actual_access:  read_only
        .address_space:  global
        .offset:         40
        .size:           8
        .value_kind:     global_buffer
      - .offset:         48
        .size:           8
        .value_kind:     by_value
      - .offset:         56
        .size:           4
        .value_kind:     by_value
      - .offset:         64
        .size:           8
        .value_kind:     by_value
      - .offset:         72
        .size:           4
        .value_kind:     by_value
      - .actual_access:  write_only
        .address_space:  global
        .offset:         80
        .size:           8
        .value_kind:     global_buffer
    .group_segment_fixed_size: 0
    .kernarg_segment_align: 8
    .kernarg_segment_size: 88
    .language:       OpenCL C
    .language_version:
      - 2
      - 0
    .max_flat_workgroup_size: 256
    .name:           _ZL28rocblas_dot_batched_4_kernelIiLi64ELi4ELb1EdfPKdEviT5_lT_lS2_lS3_liPT4_
    .private_segment_fixed_size: 0
    .sgpr_count:     21
    .sgpr_spill_count: 0
    .symbol:         _ZL28rocblas_dot_batched_4_kernelIiLi64ELi4ELb1EdfPKdEviT5_lT_lS2_lS3_liPT4_.kd
    .uniform_work_group_size: 1
    .uses_dynamic_stack: false
    .vgpr_count:     14
    .vgpr_spill_count: 0
    .wavefront_size: 32
  - .args:
      - .offset:         0
        .size:           4
        .value_kind:     by_value
      - .actual_access:  read_only
        .address_space:  global
        .offset:         8
        .size:           8
        .value_kind:     global_buffer
      - .offset:         16
        .size:           8
        .value_kind:     by_value
      - .offset:         24
        .size:           8
        .value_kind:     by_value
      - .actual_access:  read_only
        .address_space:  global
        .offset:         32
        .size:           8
        .value_kind:     global_buffer
      - .offset:         40
        .size:           8
        .value_kind:     by_value
      - .offset:         48
        .size:           8
        .value_kind:     by_value
      - .offset:         56
        .size:           4
        .value_kind:     by_value
      - .actual_access:  read_only
        .address_space:  global
        .offset:         64
        .size:           8
        .value_kind:     global_buffer
      - .actual_access:  write_only
        .address_space:  global
        .offset:         72
        .size:           8
        .value_kind:     global_buffer
    .group_segment_fixed_size: 256
    .kernarg_segment_align: 8
    .kernarg_segment_size: 80
    .language:       OpenCL C
    .language_version:
      - 2
      - 0
    .max_flat_workgroup_size: 1024
    .name:           _ZL26rocblas_dot_kernel_inc1by2ILb1ELi1024ELi32ELb1EfPKddEviT4_llS2_lliPT5_PT3_
    .private_segment_fixed_size: 0
    .sgpr_count:     40
    .sgpr_spill_count: 0
    .symbol:         _ZL26rocblas_dot_kernel_inc1by2ILb1ELi1024ELi32ELb1EfPKddEviT4_llS2_lliPT5_PT3_.kd
    .uniform_work_group_size: 1
    .uses_dynamic_stack: false
    .vgpr_count:     26
    .vgpr_spill_count: 0
    .wavefront_size: 32
  - .args:
      - .offset:         0
        .size:           4
        .value_kind:     by_value
      - .actual_access:  read_only
        .address_space:  global
        .offset:         8
        .size:           8
        .value_kind:     global_buffer
      - .offset:         16
        .size:           8
        .value_kind:     by_value
      - .offset:         24
        .size:           4
        .value_kind:     by_value
      - .offset:         32
        .size:           8
        .value_kind:     by_value
      - .actual_access:  read_only
        .address_space:  global
        .offset:         40
        .size:           8
        .value_kind:     global_buffer
      - .offset:         48
        .size:           8
        .value_kind:     by_value
      - .offset:         56
        .size:           4
        .value_kind:     by_value
      - .offset:         64
        .size:           8
        .value_kind:     by_value
      - .offset:         72
        .size:           4
        .value_kind:     by_value
      - .actual_access:  read_only
        .address_space:  global
        .offset:         80
        .size:           8
        .value_kind:     global_buffer
      - .actual_access:  write_only
        .address_space:  global
        .offset:         88
        .size:           8
        .value_kind:     global_buffer
      - .offset:         96
        .size:           4
        .value_kind:     hidden_block_count_x
      - .offset:         100
        .size:           4
        .value_kind:     hidden_block_count_y
      - .offset:         104
        .size:           4
        .value_kind:     hidden_block_count_z
      - .offset:         108
        .size:           2
        .value_kind:     hidden_group_size_x
      - .offset:         110
        .size:           2
        .value_kind:     hidden_group_size_y
      - .offset:         112
        .size:           2
        .value_kind:     hidden_group_size_z
      - .offset:         114
        .size:           2
        .value_kind:     hidden_remainder_x
      - .offset:         116
        .size:           2
        .value_kind:     hidden_remainder_y
      - .offset:         118
        .size:           2
        .value_kind:     hidden_remainder_z
      - .offset:         136
        .size:           8
        .value_kind:     hidden_global_offset_x
      - .offset:         144
        .size:           8
        .value_kind:     hidden_global_offset_y
      - .offset:         152
        .size:           8
        .value_kind:     hidden_global_offset_z
      - .offset:         160
        .size:           2
        .value_kind:     hidden_grid_dims
    .group_segment_fixed_size: 256
    .kernarg_segment_align: 8
    .kernarg_segment_size: 352
    .language:       OpenCL C
    .language_version:
      - 2
      - 0
    .max_flat_workgroup_size: 1024
    .name:           _ZL18rocblas_dot_kernelIiLb1ELi1024ELi32ELb1EfPKddEviT5_lT_lS2_lS3_liPT6_PT4_
    .private_segment_fixed_size: 0
    .sgpr_count:     34
    .sgpr_spill_count: 0
    .symbol:         _ZL18rocblas_dot_kernelIiLb1ELi1024ELi32ELb1EfPKddEviT5_lT_lS2_lS3_liPT6_PT4_.kd
    .uniform_work_group_size: 1
    .uses_dynamic_stack: false
    .vgpr_count:     22
    .vgpr_spill_count: 0
    .wavefront_size: 32
  - .args:
      - .offset:         0
        .size:           4
        .value_kind:     by_value
      - .actual_access:  read_only
        .address_space:  global
        .offset:         8
        .size:           8
        .value_kind:     global_buffer
      - .offset:         16
        .size:           8
        .value_kind:     by_value
      - .offset:         24
        .size:           4
        .value_kind:     by_value
      - .offset:         32
        .size:           8
        .value_kind:     by_value
      - .offset:         40
        .size:           4
        .value_kind:     by_value
      - .actual_access:  read_only
        .address_space:  global
        .offset:         48
        .size:           8
        .value_kind:     global_buffer
      - .actual_access:  write_only
        .address_space:  global
        .offset:         56
        .size:           8
        .value_kind:     global_buffer
      - .offset:         64
        .size:           4
        .value_kind:     hidden_block_count_x
      - .offset:         68
        .size:           4
        .value_kind:     hidden_block_count_y
      - .offset:         72
        .size:           4
        .value_kind:     hidden_block_count_z
      - .offset:         76
        .size:           2
        .value_kind:     hidden_group_size_x
      - .offset:         78
        .size:           2
        .value_kind:     hidden_group_size_y
      - .offset:         80
        .size:           2
        .value_kind:     hidden_group_size_z
      - .offset:         82
        .size:           2
        .value_kind:     hidden_remainder_x
      - .offset:         84
        .size:           2
        .value_kind:     hidden_remainder_y
      - .offset:         86
        .size:           2
        .value_kind:     hidden_remainder_z
      - .offset:         104
        .size:           8
        .value_kind:     hidden_global_offset_x
      - .offset:         112
        .size:           8
        .value_kind:     hidden_global_offset_y
      - .offset:         120
        .size:           8
        .value_kind:     hidden_global_offset_z
      - .offset:         128
        .size:           2
        .value_kind:     hidden_grid_dims
    .group_segment_fixed_size: 256
    .kernarg_segment_align: 8
    .kernarg_segment_size: 320
    .language:       OpenCL C
    .language_version:
      - 2
      - 0
    .max_flat_workgroup_size: 1024
    .name:           _ZL24rocblas_dot_kernel_magsqIiLb1ELi1024ELi32ELb1EfPKddEviT5_lT_liPT6_PT4_
    .private_segment_fixed_size: 0
    .sgpr_count:     24
    .sgpr_spill_count: 0
    .symbol:         _ZL24rocblas_dot_kernel_magsqIiLb1ELi1024ELi32ELb1EfPKddEviT5_lT_liPT6_PT4_.kd
    .uniform_work_group_size: 1
    .uses_dynamic_stack: false
    .vgpr_count:     18
    .vgpr_spill_count: 0
    .wavefront_size: 32
  - .args:
      - .offset:         0
        .size:           4
        .value_kind:     by_value
      - .actual_access:  read_only
        .address_space:  global
        .offset:         8
        .size:           8
        .value_kind:     global_buffer
      - .offset:         16
        .size:           8
        .value_kind:     by_value
      - .offset:         24
        .size:           4
        .value_kind:     by_value
      - .offset:         32
        .size:           8
        .value_kind:     by_value
      - .actual_access:  read_only
        .address_space:  global
        .offset:         40
        .size:           8
        .value_kind:     global_buffer
      - .offset:         48
        .size:           8
        .value_kind:     by_value
      - .offset:         56
        .size:           4
        .value_kind:     by_value
      - .offset:         64
        .size:           8
        .value_kind:     by_value
      - .actual_access:  read_only
        .address_space:  global
        .offset:         72
        .size:           8
        .value_kind:     global_buffer
      - .actual_access:  read_only
        .address_space:  global
        .offset:         80
        .size:           8
        .value_kind:     global_buffer
    .group_segment_fixed_size: 0
    .kernarg_segment_align: 8
    .kernarg_segment_size: 88
    .language:       OpenCL C
    .language_version:
      - 2
      - 0
    .max_flat_workgroup_size: 1024
    .name:           _ZL38rocblas_dot_kernel_gfx942_float_doubleIiLi1024EfPKddEviT2_lT_lS2_lS3_lPT3_PT1_
    .private_segment_fixed_size: 0
    .sgpr_count:     0
    .sgpr_spill_count: 0
    .symbol:         _ZL38rocblas_dot_kernel_gfx942_float_doubleIiLi1024EfPKddEviT2_lT_lS2_lS3_lPT3_PT1_.kd
    .uniform_work_group_size: 1
    .uses_dynamic_stack: false
    .vgpr_count:     0
    .vgpr_spill_count: 0
    .wavefront_size: 32
  - .args:
      - .offset:         0
        .size:           4
        .value_kind:     by_value
      - .actual_access:  read_only
        .address_space:  global
        .offset:         8
        .size:           8
        .value_kind:     global_buffer
      - .actual_access:  write_only
        .address_space:  global
        .offset:         16
        .size:           8
        .value_kind:     global_buffer
    .group_segment_fixed_size: 256
    .kernarg_segment_align: 8
    .kernarg_segment_size: 24
    .language:       OpenCL C
    .language_version:
      - 2
      - 0
    .max_flat_workgroup_size: 1024
    .name:           _ZL30rocblas_reduction_kernel_part2ILi1024ELi4E25rocblas_finalize_identitydfEviPT2_PT3_
    .private_segment_fixed_size: 0
    .sgpr_count:     18
    .sgpr_spill_count: 0
    .symbol:         _ZL30rocblas_reduction_kernel_part2ILi1024ELi4E25rocblas_finalize_identitydfEviPT2_PT3_.kd
    .uniform_work_group_size: 1
    .uses_dynamic_stack: false
    .vgpr_count:     14
    .vgpr_spill_count: 0
    .wavefront_size: 32
  - .args:
      - .offset:         0
        .size:           4
        .value_kind:     by_value
      - .actual_access:  read_only
        .address_space:  global
        .offset:         8
        .size:           8
        .value_kind:     global_buffer
      - .offset:         16
        .size:           8
        .value_kind:     by_value
      - .offset:         24
        .size:           8
        .value_kind:     by_value
      - .actual_access:  read_only
        .address_space:  global
        .offset:         32
        .size:           8
        .value_kind:     global_buffer
      - .offset:         40
        .size:           8
        .value_kind:     by_value
      - .offset:         48
        .size:           8
        .value_kind:     by_value
      - .offset:         56
        .size:           4
        .value_kind:     by_value
      - .actual_access:  write_only
        .address_space:  global
        .offset:         64
        .size:           8
        .value_kind:     global_buffer
      - .actual_access:  write_only
        .address_space:  global
        .offset:         72
        .size:           8
        .value_kind:     global_buffer
      - .offset:         80
        .size:           4
        .value_kind:     hidden_block_count_x
      - .offset:         84
        .size:           4
        .value_kind:     hidden_block_count_y
      - .offset:         88
        .size:           4
        .value_kind:     hidden_block_count_z
      - .offset:         92
        .size:           2
        .value_kind:     hidden_group_size_x
      - .offset:         94
        .size:           2
        .value_kind:     hidden_group_size_y
      - .offset:         96
        .size:           2
        .value_kind:     hidden_group_size_z
      - .offset:         98
        .size:           2
        .value_kind:     hidden_remainder_x
      - .offset:         100
        .size:           2
        .value_kind:     hidden_remainder_y
      - .offset:         102
        .size:           2
        .value_kind:     hidden_remainder_z
      - .offset:         120
        .size:           8
        .value_kind:     hidden_global_offset_x
      - .offset:         128
        .size:           8
        .value_kind:     hidden_global_offset_y
      - .offset:         136
        .size:           8
        .value_kind:     hidden_global_offset_z
      - .offset:         144
        .size:           2
        .value_kind:     hidden_grid_dims
    .group_segment_fixed_size: 256
    .kernarg_segment_align: 8
    .kernarg_segment_size: 336
    .language:       OpenCL C
    .language_version:
      - 2
      - 0
    .max_flat_workgroup_size: 512
    .name:           _ZL23rocblas_dot_kernel_inc1ILb0ELi512ELi4ELb1EfPKddEviT4_llS2_lliPT5_PT3_
    .private_segment_fixed_size: 0
    .sgpr_count:     37
    .sgpr_spill_count: 0
    .symbol:         _ZL23rocblas_dot_kernel_inc1ILb0ELi512ELi4ELb1EfPKddEviT4_llS2_lliPT5_PT3_.kd
    .uniform_work_group_size: 1
    .uses_dynamic_stack: false
    .vgpr_count:     24
    .vgpr_spill_count: 0
    .wavefront_size: 32
  - .args:
      - .offset:         0
        .size:           4
        .value_kind:     by_value
      - .actual_access:  read_only
        .address_space:  global
        .offset:         8
        .size:           8
        .value_kind:     global_buffer
      - .offset:         16
        .size:           8
        .value_kind:     by_value
      - .offset:         24
        .size:           4
        .value_kind:     by_value
      - .offset:         32
        .size:           8
        .value_kind:     by_value
      - .actual_access:  read_only
        .address_space:  global
        .offset:         40
        .size:           8
        .value_kind:     global_buffer
      - .offset:         48
        .size:           8
        .value_kind:     by_value
      - .offset:         56
        .size:           4
        .value_kind:     by_value
      - .offset:         64
        .size:           8
        .value_kind:     by_value
      - .offset:         72
        .size:           4
        .value_kind:     by_value
      - .actual_access:  write_only
        .address_space:  global
        .offset:         80
        .size:           8
        .value_kind:     global_buffer
      - .actual_access:  write_only
        .address_space:  global
        .offset:         88
        .size:           8
        .value_kind:     global_buffer
      - .offset:         96
        .size:           4
        .value_kind:     hidden_block_count_x
      - .offset:         100
        .size:           4
        .value_kind:     hidden_block_count_y
      - .offset:         104
        .size:           4
        .value_kind:     hidden_block_count_z
      - .offset:         108
        .size:           2
        .value_kind:     hidden_group_size_x
      - .offset:         110
        .size:           2
        .value_kind:     hidden_group_size_y
      - .offset:         112
        .size:           2
        .value_kind:     hidden_group_size_z
      - .offset:         114
        .size:           2
        .value_kind:     hidden_remainder_x
      - .offset:         116
        .size:           2
        .value_kind:     hidden_remainder_y
      - .offset:         118
        .size:           2
        .value_kind:     hidden_remainder_z
      - .offset:         136
        .size:           8
        .value_kind:     hidden_global_offset_x
      - .offset:         144
        .size:           8
        .value_kind:     hidden_global_offset_y
      - .offset:         152
        .size:           8
        .value_kind:     hidden_global_offset_z
      - .offset:         160
        .size:           2
        .value_kind:     hidden_grid_dims
    .group_segment_fixed_size: 256
    .kernarg_segment_align: 8
    .kernarg_segment_size: 352
    .language:       OpenCL C
    .language_version:
      - 2
      - 0
    .max_flat_workgroup_size: 512
    .name:           _ZL18rocblas_dot_kernelIiLb0ELi512ELi4ELb1EfPKddEviT5_lT_lS2_lS3_liPT6_PT4_
    .private_segment_fixed_size: 0
    .sgpr_count:     40
    .sgpr_spill_count: 0
    .symbol:         _ZL18rocblas_dot_kernelIiLb0ELi512ELi4ELb1EfPKddEviT5_lT_lS2_lS3_liPT6_PT4_.kd
    .uniform_work_group_size: 1
    .uses_dynamic_stack: false
    .vgpr_count:     22
    .vgpr_spill_count: 0
    .wavefront_size: 32
  - .args:
      - .offset:         0
        .size:           4
        .value_kind:     by_value
      - .actual_access:  read_only
        .address_space:  global
        .offset:         8
        .size:           8
        .value_kind:     global_buffer
      - .offset:         16
        .size:           8
        .value_kind:     by_value
      - .offset:         24
        .size:           4
        .value_kind:     by_value
      - .offset:         32
        .size:           8
        .value_kind:     by_value
      - .offset:         40
        .size:           4
        .value_kind:     by_value
      - .actual_access:  write_only
        .address_space:  global
        .offset:         48
        .size:           8
        .value_kind:     global_buffer
      - .actual_access:  write_only
        .address_space:  global
        .offset:         56
        .size:           8
        .value_kind:     global_buffer
      - .offset:         64
        .size:           4
        .value_kind:     hidden_block_count_x
      - .offset:         68
        .size:           4
        .value_kind:     hidden_block_count_y
      - .offset:         72
        .size:           4
        .value_kind:     hidden_block_count_z
      - .offset:         76
        .size:           2
        .value_kind:     hidden_group_size_x
      - .offset:         78
        .size:           2
        .value_kind:     hidden_group_size_y
      - .offset:         80
        .size:           2
        .value_kind:     hidden_group_size_z
      - .offset:         82
        .size:           2
        .value_kind:     hidden_remainder_x
      - .offset:         84
        .size:           2
        .value_kind:     hidden_remainder_y
      - .offset:         86
        .size:           2
        .value_kind:     hidden_remainder_z
      - .offset:         104
        .size:           8
        .value_kind:     hidden_global_offset_x
      - .offset:         112
        .size:           8
        .value_kind:     hidden_global_offset_y
      - .offset:         120
        .size:           8
        .value_kind:     hidden_global_offset_z
      - .offset:         128
        .size:           2
        .value_kind:     hidden_grid_dims
    .group_segment_fixed_size: 256
    .kernarg_segment_align: 8
    .kernarg_segment_size: 320
    .language:       OpenCL C
    .language_version:
      - 2
      - 0
    .max_flat_workgroup_size: 512
    .name:           _ZL24rocblas_dot_kernel_magsqIiLb0ELi512ELi4ELb1EfPKddEviT5_lT_liPT6_PT4_
    .private_segment_fixed_size: 0
    .sgpr_count:     30
    .sgpr_spill_count: 0
    .symbol:         _ZL24rocblas_dot_kernel_magsqIiLb0ELi512ELi4ELb1EfPKddEviT5_lT_liPT6_PT4_.kd
    .uniform_work_group_size: 1
    .uses_dynamic_stack: false
    .vgpr_count:     18
    .vgpr_spill_count: 0
    .wavefront_size: 32
  - .args:
      - .offset:         0
        .size:           4
        .value_kind:     by_value
      - .actual_access:  read_only
        .address_space:  global
        .offset:         8
        .size:           8
        .value_kind:     global_buffer
      - .actual_access:  write_only
        .address_space:  global
        .offset:         16
        .size:           8
        .value_kind:     global_buffer
    .group_segment_fixed_size: 256
    .kernarg_segment_align: 8
    .kernarg_segment_size: 24
    .language:       OpenCL C
    .language_version:
      - 2
      - 0
    .max_flat_workgroup_size: 512
    .name:           _ZL30rocblas_reduction_kernel_part2ILi512ELi4E25rocblas_finalize_identitydfEviPT2_PT3_
    .private_segment_fixed_size: 0
    .sgpr_count:     18
    .sgpr_spill_count: 0
    .symbol:         _ZL30rocblas_reduction_kernel_part2ILi512ELi4E25rocblas_finalize_identitydfEviPT2_PT3_.kd
    .uniform_work_group_size: 1
    .uses_dynamic_stack: false
    .vgpr_count:     14
    .vgpr_spill_count: 0
    .wavefront_size: 32
  - .args:
      - .offset:         0
        .size:           4
        .value_kind:     by_value
      - .actual_access:  read_only
        .address_space:  global
        .offset:         8
        .size:           8
        .value_kind:     global_buffer
      - .offset:         16
        .size:           8
        .value_kind:     by_value
      - .offset:         24
        .size:           4
        .value_kind:     by_value
      - .offset:         32
        .size:           8
        .value_kind:     by_value
      - .actual_access:  read_only
        .address_space:  global
        .offset:         40
        .size:           8
        .value_kind:     global_buffer
      - .offset:         48
        .size:           8
        .value_kind:     by_value
      - .offset:         56
        .size:           4
        .value_kind:     by_value
      - .offset:         64
        .size:           8
        .value_kind:     by_value
      - .offset:         72
        .size:           4
        .value_kind:     by_value
      - .actual_access:  write_only
        .address_space:  global
        .offset:         80
        .size:           8
        .value_kind:     global_buffer
    .group_segment_fixed_size: 0
    .kernarg_segment_align: 8
    .kernarg_segment_size: 88
    .language:       OpenCL C
    .language_version:
      - 2
      - 0
    .max_flat_workgroup_size: 128
    .name:           _ZL28rocblas_dot_batched_4_kernelIiLi32ELi4ELb1EdfPKPKdEviT5_lT_lS4_lS5_liPT4_
    .private_segment_fixed_size: 0
    .sgpr_count:     18
    .sgpr_spill_count: 0
    .symbol:         _ZL28rocblas_dot_batched_4_kernelIiLi32ELi4ELb1EdfPKPKdEviT5_lT_lS4_lS5_liPT4_.kd
    .uniform_work_group_size: 1
    .uses_dynamic_stack: false
    .vgpr_count:     14
    .vgpr_spill_count: 0
    .wavefront_size: 32
  - .args:
      - .offset:         0
        .size:           4
        .value_kind:     by_value
      - .actual_access:  read_only
        .address_space:  global
        .offset:         8
        .size:           8
        .value_kind:     global_buffer
      - .offset:         16
        .size:           8
        .value_kind:     by_value
      - .offset:         24
        .size:           4
        .value_kind:     by_value
      - .offset:         32
        .size:           8
        .value_kind:     by_value
      - .actual_access:  read_only
        .address_space:  global
        .offset:         40
        .size:           8
        .value_kind:     global_buffer
      - .offset:         48
        .size:           8
        .value_kind:     by_value
      - .offset:         56
        .size:           4
        .value_kind:     by_value
      - .offset:         64
        .size:           8
        .value_kind:     by_value
      - .offset:         72
        .size:           4
        .value_kind:     by_value
      - .actual_access:  write_only
        .address_space:  global
        .offset:         80
        .size:           8
        .value_kind:     global_buffer
    .group_segment_fixed_size: 0
    .kernarg_segment_align: 8
    .kernarg_segment_size: 88
    .language:       OpenCL C
    .language_version:
      - 2
      - 0
    .max_flat_workgroup_size: 256
    .name:           _ZL28rocblas_dot_batched_4_kernelIiLi64ELi4ELb1EdfPKPKdEviT5_lT_lS4_lS5_liPT4_
    .private_segment_fixed_size: 0
    .sgpr_count:     18
    .sgpr_spill_count: 0
    .symbol:         _ZL28rocblas_dot_batched_4_kernelIiLi64ELi4ELb1EdfPKPKdEviT5_lT_lS4_lS5_liPT4_.kd
    .uniform_work_group_size: 1
    .uses_dynamic_stack: false
    .vgpr_count:     14
    .vgpr_spill_count: 0
    .wavefront_size: 32
  - .args:
      - .offset:         0
        .size:           4
        .value_kind:     by_value
      - .actual_access:  read_only
        .address_space:  global
        .offset:         8
        .size:           8
        .value_kind:     global_buffer
      - .offset:         16
        .size:           8
        .value_kind:     by_value
      - .offset:         24
        .size:           8
        .value_kind:     by_value
      - .actual_access:  read_only
        .address_space:  global
        .offset:         32
        .size:           8
        .value_kind:     global_buffer
      - .offset:         40
        .size:           8
        .value_kind:     by_value
      - .offset:         48
        .size:           8
        .value_kind:     by_value
      - .offset:         56
        .size:           4
        .value_kind:     by_value
      - .actual_access:  read_only
        .address_space:  global
        .offset:         64
        .size:           8
        .value_kind:     global_buffer
      - .actual_access:  write_only
        .address_space:  global
        .offset:         72
        .size:           8
        .value_kind:     global_buffer
    .group_segment_fixed_size: 256
    .kernarg_segment_align: 8
    .kernarg_segment_size: 80
    .language:       OpenCL C
    .language_version:
      - 2
      - 0
    .max_flat_workgroup_size: 1024
    .name:           _ZL26rocblas_dot_kernel_inc1by2ILb1ELi1024ELi32ELb1EfPKPKddEviT4_llS4_lliPT5_PT3_
    .private_segment_fixed_size: 0
    .sgpr_count:     38
    .sgpr_spill_count: 0
    .symbol:         _ZL26rocblas_dot_kernel_inc1by2ILb1ELi1024ELi32ELb1EfPKPKddEviT4_llS4_lliPT5_PT3_.kd
    .uniform_work_group_size: 1
    .uses_dynamic_stack: false
    .vgpr_count:     26
    .vgpr_spill_count: 0
    .wavefront_size: 32
  - .args:
      - .offset:         0
        .size:           4
        .value_kind:     by_value
      - .actual_access:  read_only
        .address_space:  global
        .offset:         8
        .size:           8
        .value_kind:     global_buffer
      - .offset:         16
        .size:           8
        .value_kind:     by_value
      - .offset:         24
        .size:           4
        .value_kind:     by_value
      - .offset:         32
        .size:           8
        .value_kind:     by_value
      - .actual_access:  read_only
        .address_space:  global
        .offset:         40
        .size:           8
        .value_kind:     global_buffer
      - .offset:         48
        .size:           8
        .value_kind:     by_value
      - .offset:         56
        .size:           4
        .value_kind:     by_value
      - .offset:         64
        .size:           8
        .value_kind:     by_value
      - .offset:         72
        .size:           4
        .value_kind:     by_value
      - .actual_access:  read_only
        .address_space:  global
        .offset:         80
        .size:           8
        .value_kind:     global_buffer
      - .actual_access:  write_only
        .address_space:  global
        .offset:         88
        .size:           8
        .value_kind:     global_buffer
      - .offset:         96
        .size:           4
        .value_kind:     hidden_block_count_x
      - .offset:         100
        .size:           4
        .value_kind:     hidden_block_count_y
      - .offset:         104
        .size:           4
        .value_kind:     hidden_block_count_z
      - .offset:         108
        .size:           2
        .value_kind:     hidden_group_size_x
      - .offset:         110
        .size:           2
        .value_kind:     hidden_group_size_y
      - .offset:         112
        .size:           2
        .value_kind:     hidden_group_size_z
      - .offset:         114
        .size:           2
        .value_kind:     hidden_remainder_x
      - .offset:         116
        .size:           2
        .value_kind:     hidden_remainder_y
      - .offset:         118
        .size:           2
        .value_kind:     hidden_remainder_z
      - .offset:         136
        .size:           8
        .value_kind:     hidden_global_offset_x
      - .offset:         144
        .size:           8
        .value_kind:     hidden_global_offset_y
      - .offset:         152
        .size:           8
        .value_kind:     hidden_global_offset_z
      - .offset:         160
        .size:           2
        .value_kind:     hidden_grid_dims
    .group_segment_fixed_size: 256
    .kernarg_segment_align: 8
    .kernarg_segment_size: 352
    .language:       OpenCL C
    .language_version:
      - 2
      - 0
    .max_flat_workgroup_size: 1024
    .name:           _ZL18rocblas_dot_kernelIiLb1ELi1024ELi32ELb1EfPKPKddEviT5_lT_lS4_lS5_liPT6_PT4_
    .private_segment_fixed_size: 0
    .sgpr_count:     40
    .sgpr_spill_count: 0
    .symbol:         _ZL18rocblas_dot_kernelIiLb1ELi1024ELi32ELb1EfPKPKddEviT5_lT_lS4_lS5_liPT6_PT4_.kd
    .uniform_work_group_size: 1
    .uses_dynamic_stack: false
    .vgpr_count:     22
    .vgpr_spill_count: 0
    .wavefront_size: 32
  - .args:
      - .offset:         0
        .size:           4
        .value_kind:     by_value
      - .actual_access:  read_only
        .address_space:  global
        .offset:         8
        .size:           8
        .value_kind:     global_buffer
      - .offset:         16
        .size:           8
        .value_kind:     by_value
      - .offset:         24
        .size:           4
        .value_kind:     by_value
      - .offset:         32
        .size:           8
        .value_kind:     by_value
      - .offset:         40
        .size:           4
        .value_kind:     by_value
      - .actual_access:  read_only
        .address_space:  global
        .offset:         48
        .size:           8
        .value_kind:     global_buffer
      - .actual_access:  write_only
        .address_space:  global
        .offset:         56
        .size:           8
        .value_kind:     global_buffer
      - .offset:         64
        .size:           4
        .value_kind:     hidden_block_count_x
      - .offset:         68
        .size:           4
        .value_kind:     hidden_block_count_y
      - .offset:         72
        .size:           4
        .value_kind:     hidden_block_count_z
      - .offset:         76
        .size:           2
        .value_kind:     hidden_group_size_x
      - .offset:         78
        .size:           2
        .value_kind:     hidden_group_size_y
      - .offset:         80
        .size:           2
        .value_kind:     hidden_group_size_z
      - .offset:         82
        .size:           2
        .value_kind:     hidden_remainder_x
      - .offset:         84
        .size:           2
        .value_kind:     hidden_remainder_y
      - .offset:         86
        .size:           2
        .value_kind:     hidden_remainder_z
      - .offset:         104
        .size:           8
        .value_kind:     hidden_global_offset_x
      - .offset:         112
        .size:           8
        .value_kind:     hidden_global_offset_y
      - .offset:         120
        .size:           8
        .value_kind:     hidden_global_offset_z
      - .offset:         128
        .size:           2
        .value_kind:     hidden_grid_dims
    .group_segment_fixed_size: 256
    .kernarg_segment_align: 8
    .kernarg_segment_size: 320
    .language:       OpenCL C
    .language_version:
      - 2
      - 0
    .max_flat_workgroup_size: 1024
    .name:           _ZL24rocblas_dot_kernel_magsqIiLb1ELi1024ELi32ELb1EfPKPKddEviT5_lT_liPT6_PT4_
    .private_segment_fixed_size: 0
    .sgpr_count:     24
    .sgpr_spill_count: 0
    .symbol:         _ZL24rocblas_dot_kernel_magsqIiLb1ELi1024ELi32ELb1EfPKPKddEviT5_lT_liPT6_PT4_.kd
    .uniform_work_group_size: 1
    .uses_dynamic_stack: false
    .vgpr_count:     18
    .vgpr_spill_count: 0
    .wavefront_size: 32
  - .args:
      - .offset:         0
        .size:           4
        .value_kind:     by_value
      - .actual_access:  read_only
        .address_space:  global
        .offset:         8
        .size:           8
        .value_kind:     global_buffer
      - .offset:         16
        .size:           8
        .value_kind:     by_value
      - .offset:         24
        .size:           4
        .value_kind:     by_value
      - .offset:         32
        .size:           8
        .value_kind:     by_value
      - .actual_access:  read_only
        .address_space:  global
        .offset:         40
        .size:           8
        .value_kind:     global_buffer
      - .offset:         48
        .size:           8
        .value_kind:     by_value
      - .offset:         56
        .size:           4
        .value_kind:     by_value
      - .offset:         64
        .size:           8
        .value_kind:     by_value
      - .actual_access:  read_only
        .address_space:  global
        .offset:         72
        .size:           8
        .value_kind:     global_buffer
      - .actual_access:  read_only
        .address_space:  global
        .offset:         80
        .size:           8
        .value_kind:     global_buffer
    .group_segment_fixed_size: 0
    .kernarg_segment_align: 8
    .kernarg_segment_size: 88
    .language:       OpenCL C
    .language_version:
      - 2
      - 0
    .max_flat_workgroup_size: 1024
    .name:           _ZL38rocblas_dot_kernel_gfx942_float_doubleIiLi1024EfPKPKddEviT2_lT_lS4_lS5_lPT3_PT1_
    .private_segment_fixed_size: 0
    .sgpr_count:     0
    .sgpr_spill_count: 0
    .symbol:         _ZL38rocblas_dot_kernel_gfx942_float_doubleIiLi1024EfPKPKddEviT2_lT_lS4_lS5_lPT3_PT1_.kd
    .uniform_work_group_size: 1
    .uses_dynamic_stack: false
    .vgpr_count:     0
    .vgpr_spill_count: 0
    .wavefront_size: 32
  - .args:
      - .offset:         0
        .size:           4
        .value_kind:     by_value
      - .actual_access:  read_only
        .address_space:  global
        .offset:         8
        .size:           8
        .value_kind:     global_buffer
      - .offset:         16
        .size:           8
        .value_kind:     by_value
      - .offset:         24
        .size:           8
        .value_kind:     by_value
      - .actual_access:  read_only
        .address_space:  global
        .offset:         32
        .size:           8
        .value_kind:     global_buffer
      - .offset:         40
        .size:           8
        .value_kind:     by_value
      - .offset:         48
        .size:           8
        .value_kind:     by_value
      - .offset:         56
        .size:           4
        .value_kind:     by_value
      - .actual_access:  write_only
        .address_space:  global
        .offset:         64
        .size:           8
        .value_kind:     global_buffer
      - .actual_access:  write_only
        .address_space:  global
        .offset:         72
        .size:           8
        .value_kind:     global_buffer
      - .offset:         80
        .size:           4
        .value_kind:     hidden_block_count_x
      - .offset:         84
        .size:           4
        .value_kind:     hidden_block_count_y
      - .offset:         88
        .size:           4
        .value_kind:     hidden_block_count_z
      - .offset:         92
        .size:           2
        .value_kind:     hidden_group_size_x
      - .offset:         94
        .size:           2
        .value_kind:     hidden_group_size_y
      - .offset:         96
        .size:           2
        .value_kind:     hidden_group_size_z
      - .offset:         98
        .size:           2
        .value_kind:     hidden_remainder_x
      - .offset:         100
        .size:           2
        .value_kind:     hidden_remainder_y
      - .offset:         102
        .size:           2
        .value_kind:     hidden_remainder_z
      - .offset:         120
        .size:           8
        .value_kind:     hidden_global_offset_x
      - .offset:         128
        .size:           8
        .value_kind:     hidden_global_offset_y
      - .offset:         136
        .size:           8
        .value_kind:     hidden_global_offset_z
      - .offset:         144
        .size:           2
        .value_kind:     hidden_grid_dims
    .group_segment_fixed_size: 256
    .kernarg_segment_align: 8
    .kernarg_segment_size: 336
    .language:       OpenCL C
    .language_version:
      - 2
      - 0
    .max_flat_workgroup_size: 512
    .name:           _ZL23rocblas_dot_kernel_inc1ILb0ELi512ELi4ELb1EfPKPKddEviT4_llS4_lliPT5_PT3_
    .private_segment_fixed_size: 0
    .sgpr_count:     40
    .sgpr_spill_count: 0
    .symbol:         _ZL23rocblas_dot_kernel_inc1ILb0ELi512ELi4ELb1EfPKPKddEviT4_llS4_lliPT5_PT3_.kd
    .uniform_work_group_size: 1
    .uses_dynamic_stack: false
    .vgpr_count:     24
    .vgpr_spill_count: 0
    .wavefront_size: 32
  - .args:
      - .offset:         0
        .size:           4
        .value_kind:     by_value
      - .actual_access:  read_only
        .address_space:  global
        .offset:         8
        .size:           8
        .value_kind:     global_buffer
      - .offset:         16
        .size:           8
        .value_kind:     by_value
      - .offset:         24
        .size:           4
        .value_kind:     by_value
      - .offset:         32
        .size:           8
        .value_kind:     by_value
      - .actual_access:  read_only
        .address_space:  global
        .offset:         40
        .size:           8
        .value_kind:     global_buffer
      - .offset:         48
        .size:           8
        .value_kind:     by_value
      - .offset:         56
        .size:           4
        .value_kind:     by_value
      - .offset:         64
        .size:           8
        .value_kind:     by_value
      - .offset:         72
        .size:           4
        .value_kind:     by_value
      - .actual_access:  write_only
        .address_space:  global
        .offset:         80
        .size:           8
        .value_kind:     global_buffer
      - .actual_access:  write_only
        .address_space:  global
        .offset:         88
        .size:           8
        .value_kind:     global_buffer
      - .offset:         96
        .size:           4
        .value_kind:     hidden_block_count_x
      - .offset:         100
        .size:           4
        .value_kind:     hidden_block_count_y
      - .offset:         104
        .size:           4
        .value_kind:     hidden_block_count_z
      - .offset:         108
        .size:           2
        .value_kind:     hidden_group_size_x
      - .offset:         110
        .size:           2
        .value_kind:     hidden_group_size_y
      - .offset:         112
        .size:           2
        .value_kind:     hidden_group_size_z
      - .offset:         114
        .size:           2
        .value_kind:     hidden_remainder_x
      - .offset:         116
        .size:           2
        .value_kind:     hidden_remainder_y
      - .offset:         118
        .size:           2
        .value_kind:     hidden_remainder_z
      - .offset:         136
        .size:           8
        .value_kind:     hidden_global_offset_x
      - .offset:         144
        .size:           8
        .value_kind:     hidden_global_offset_y
      - .offset:         152
        .size:           8
        .value_kind:     hidden_global_offset_z
      - .offset:         160
        .size:           2
        .value_kind:     hidden_grid_dims
    .group_segment_fixed_size: 256
    .kernarg_segment_align: 8
    .kernarg_segment_size: 352
    .language:       OpenCL C
    .language_version:
      - 2
      - 0
    .max_flat_workgroup_size: 512
    .name:           _ZL18rocblas_dot_kernelIiLb0ELi512ELi4ELb1EfPKPKddEviT5_lT_lS4_lS5_liPT6_PT4_
    .private_segment_fixed_size: 0
    .sgpr_count:     44
    .sgpr_spill_count: 0
    .symbol:         _ZL18rocblas_dot_kernelIiLb0ELi512ELi4ELb1EfPKPKddEviT5_lT_lS4_lS5_liPT6_PT4_.kd
    .uniform_work_group_size: 1
    .uses_dynamic_stack: false
    .vgpr_count:     22
    .vgpr_spill_count: 0
    .wavefront_size: 32
  - .args:
      - .offset:         0
        .size:           4
        .value_kind:     by_value
      - .actual_access:  read_only
        .address_space:  global
        .offset:         8
        .size:           8
        .value_kind:     global_buffer
      - .offset:         16
        .size:           8
        .value_kind:     by_value
      - .offset:         24
        .size:           4
        .value_kind:     by_value
      - .offset:         32
        .size:           8
        .value_kind:     by_value
      - .offset:         40
        .size:           4
        .value_kind:     by_value
      - .actual_access:  write_only
        .address_space:  global
        .offset:         48
        .size:           8
        .value_kind:     global_buffer
      - .actual_access:  write_only
        .address_space:  global
        .offset:         56
        .size:           8
        .value_kind:     global_buffer
      - .offset:         64
        .size:           4
        .value_kind:     hidden_block_count_x
      - .offset:         68
        .size:           4
        .value_kind:     hidden_block_count_y
      - .offset:         72
        .size:           4
        .value_kind:     hidden_block_count_z
      - .offset:         76
        .size:           2
        .value_kind:     hidden_group_size_x
      - .offset:         78
        .size:           2
        .value_kind:     hidden_group_size_y
      - .offset:         80
        .size:           2
        .value_kind:     hidden_group_size_z
      - .offset:         82
        .size:           2
        .value_kind:     hidden_remainder_x
      - .offset:         84
        .size:           2
        .value_kind:     hidden_remainder_y
      - .offset:         86
        .size:           2
        .value_kind:     hidden_remainder_z
      - .offset:         104
        .size:           8
        .value_kind:     hidden_global_offset_x
      - .offset:         112
        .size:           8
        .value_kind:     hidden_global_offset_y
      - .offset:         120
        .size:           8
        .value_kind:     hidden_global_offset_z
      - .offset:         128
        .size:           2
        .value_kind:     hidden_grid_dims
    .group_segment_fixed_size: 256
    .kernarg_segment_align: 8
    .kernarg_segment_size: 320
    .language:       OpenCL C
    .language_version:
      - 2
      - 0
    .max_flat_workgroup_size: 512
    .name:           _ZL24rocblas_dot_kernel_magsqIiLb0ELi512ELi4ELb1EfPKPKddEviT5_lT_liPT6_PT4_
    .private_segment_fixed_size: 0
    .sgpr_count:     30
    .sgpr_spill_count: 0
    .symbol:         _ZL24rocblas_dot_kernel_magsqIiLb0ELi512ELi4ELb1EfPKPKddEviT5_lT_liPT6_PT4_.kd
    .uniform_work_group_size: 1
    .uses_dynamic_stack: false
    .vgpr_count:     18
    .vgpr_spill_count: 0
    .wavefront_size: 32
  - .args:
      - .offset:         0
        .size:           4
        .value_kind:     by_value
      - .actual_access:  read_only
        .address_space:  global
        .offset:         8
        .size:           8
        .value_kind:     global_buffer
      - .offset:         16
        .size:           8
        .value_kind:     by_value
      - .offset:         24
        .size:           4
        .value_kind:     by_value
      - .offset:         32
        .size:           8
        .value_kind:     by_value
      - .actual_access:  read_only
        .address_space:  global
        .offset:         40
        .size:           8
        .value_kind:     global_buffer
      - .offset:         48
        .size:           8
        .value_kind:     by_value
      - .offset:         56
        .size:           4
        .value_kind:     by_value
      - .offset:         64
        .size:           8
        .value_kind:     by_value
      - .offset:         72
        .size:           4
        .value_kind:     by_value
      - .actual_access:  write_only
        .address_space:  global
        .offset:         80
        .size:           8
        .value_kind:     global_buffer
    .group_segment_fixed_size: 0
    .kernarg_segment_align: 8
    .kernarg_segment_size: 88
    .language:       OpenCL C
    .language_version:
      - 2
      - 0
    .max_flat_workgroup_size: 128
    .name:           _ZL28rocblas_dot_batched_4_kernelIiLi32ELi4ELb1EddPKdEviT5_lT_lS2_lS3_liPT4_
    .private_segment_fixed_size: 0
    .sgpr_count:     21
    .sgpr_spill_count: 0
    .symbol:         _ZL28rocblas_dot_batched_4_kernelIiLi32ELi4ELb1EddPKdEviT5_lT_lS2_lS3_liPT4_.kd
    .uniform_work_group_size: 1
    .uses_dynamic_stack: false
    .vgpr_count:     14
    .vgpr_spill_count: 0
    .wavefront_size: 32
  - .args:
      - .offset:         0
        .size:           4
        .value_kind:     by_value
      - .actual_access:  read_only
        .address_space:  global
        .offset:         8
        .size:           8
        .value_kind:     global_buffer
      - .offset:         16
        .size:           8
        .value_kind:     by_value
      - .offset:         24
        .size:           4
        .value_kind:     by_value
      - .offset:         32
        .size:           8
        .value_kind:     by_value
      - .actual_access:  read_only
        .address_space:  global
        .offset:         40
        .size:           8
        .value_kind:     global_buffer
      - .offset:         48
        .size:           8
        .value_kind:     by_value
      - .offset:         56
        .size:           4
        .value_kind:     by_value
      - .offset:         64
        .size:           8
        .value_kind:     by_value
      - .offset:         72
        .size:           4
        .value_kind:     by_value
      - .actual_access:  write_only
        .address_space:  global
        .offset:         80
        .size:           8
        .value_kind:     global_buffer
    .group_segment_fixed_size: 0
    .kernarg_segment_align: 8
    .kernarg_segment_size: 88
    .language:       OpenCL C
    .language_version:
      - 2
      - 0
    .max_flat_workgroup_size: 256
    .name:           _ZL28rocblas_dot_batched_4_kernelIiLi64ELi4ELb1EddPKdEviT5_lT_lS2_lS3_liPT4_
    .private_segment_fixed_size: 0
    .sgpr_count:     21
    .sgpr_spill_count: 0
    .symbol:         _ZL28rocblas_dot_batched_4_kernelIiLi64ELi4ELb1EddPKdEviT5_lT_lS2_lS3_liPT4_.kd
    .uniform_work_group_size: 1
    .uses_dynamic_stack: false
    .vgpr_count:     14
    .vgpr_spill_count: 0
    .wavefront_size: 32
  - .args:
      - .offset:         0
        .size:           4
        .value_kind:     by_value
      - .actual_access:  read_only
        .address_space:  global
        .offset:         8
        .size:           8
        .value_kind:     global_buffer
      - .offset:         16
        .size:           8
        .value_kind:     by_value
      - .offset:         24
        .size:           8
        .value_kind:     by_value
      - .actual_access:  read_only
        .address_space:  global
        .offset:         32
        .size:           8
        .value_kind:     global_buffer
      - .offset:         40
        .size:           8
        .value_kind:     by_value
      - .offset:         48
        .size:           8
        .value_kind:     by_value
      - .offset:         56
        .size:           4
        .value_kind:     by_value
      - .actual_access:  read_only
        .address_space:  global
        .offset:         64
        .size:           8
        .value_kind:     global_buffer
      - .actual_access:  write_only
        .address_space:  global
        .offset:         72
        .size:           8
        .value_kind:     global_buffer
    .group_segment_fixed_size: 256
    .kernarg_segment_align: 8
    .kernarg_segment_size: 80
    .language:       OpenCL C
    .language_version:
      - 2
      - 0
    .max_flat_workgroup_size: 1024
    .name:           _ZL26rocblas_dot_kernel_inc1by2ILb1ELi1024ELi32ELb1EdPKddEviT4_llS2_lliPT5_PT3_
    .private_segment_fixed_size: 0
    .sgpr_count:     24
    .sgpr_spill_count: 0
    .symbol:         _ZL26rocblas_dot_kernel_inc1by2ILb1ELi1024ELi32ELb1EdPKddEviT4_llS2_lliPT5_PT3_.kd
    .uniform_work_group_size: 1
    .uses_dynamic_stack: false
    .vgpr_count:     22
    .vgpr_spill_count: 0
    .wavefront_size: 32
  - .args:
      - .offset:         0
        .size:           4
        .value_kind:     by_value
      - .actual_access:  read_only
        .address_space:  global
        .offset:         8
        .size:           8
        .value_kind:     global_buffer
      - .offset:         16
        .size:           8
        .value_kind:     by_value
      - .offset:         24
        .size:           4
        .value_kind:     by_value
      - .offset:         32
        .size:           8
        .value_kind:     by_value
      - .actual_access:  read_only
        .address_space:  global
        .offset:         40
        .size:           8
        .value_kind:     global_buffer
      - .offset:         48
        .size:           8
        .value_kind:     by_value
      - .offset:         56
        .size:           4
        .value_kind:     by_value
      - .offset:         64
        .size:           8
        .value_kind:     by_value
      - .offset:         72
        .size:           4
        .value_kind:     by_value
      - .actual_access:  read_only
        .address_space:  global
        .offset:         80
        .size:           8
        .value_kind:     global_buffer
      - .actual_access:  write_only
        .address_space:  global
        .offset:         88
        .size:           8
        .value_kind:     global_buffer
      - .offset:         96
        .size:           4
        .value_kind:     hidden_block_count_x
      - .offset:         100
        .size:           4
        .value_kind:     hidden_block_count_y
      - .offset:         104
        .size:           4
        .value_kind:     hidden_block_count_z
      - .offset:         108
        .size:           2
        .value_kind:     hidden_group_size_x
      - .offset:         110
        .size:           2
        .value_kind:     hidden_group_size_y
      - .offset:         112
        .size:           2
        .value_kind:     hidden_group_size_z
      - .offset:         114
        .size:           2
        .value_kind:     hidden_remainder_x
      - .offset:         116
        .size:           2
        .value_kind:     hidden_remainder_y
      - .offset:         118
        .size:           2
        .value_kind:     hidden_remainder_z
      - .offset:         136
        .size:           8
        .value_kind:     hidden_global_offset_x
      - .offset:         144
        .size:           8
        .value_kind:     hidden_global_offset_y
      - .offset:         152
        .size:           8
        .value_kind:     hidden_global_offset_z
      - .offset:         160
        .size:           2
        .value_kind:     hidden_grid_dims
    .group_segment_fixed_size: 256
    .kernarg_segment_align: 8
    .kernarg_segment_size: 352
    .language:       OpenCL C
    .language_version:
      - 2
      - 0
    .max_flat_workgroup_size: 1024
    .name:           _ZL18rocblas_dot_kernelIiLb1ELi1024ELi32ELb1EdPKddEviT5_lT_lS2_lS3_liPT6_PT4_
    .private_segment_fixed_size: 0
    .sgpr_count:     34
    .sgpr_spill_count: 0
    .symbol:         _ZL18rocblas_dot_kernelIiLb1ELi1024ELi32ELb1EdPKddEviT5_lT_lS2_lS3_liPT6_PT4_.kd
    .uniform_work_group_size: 1
    .uses_dynamic_stack: false
    .vgpr_count:     22
    .vgpr_spill_count: 0
    .wavefront_size: 32
  - .args:
      - .offset:         0
        .size:           4
        .value_kind:     by_value
      - .actual_access:  read_only
        .address_space:  global
        .offset:         8
        .size:           8
        .value_kind:     global_buffer
      - .offset:         16
        .size:           8
        .value_kind:     by_value
      - .offset:         24
        .size:           4
        .value_kind:     by_value
      - .offset:         32
        .size:           8
        .value_kind:     by_value
      - .offset:         40
        .size:           4
        .value_kind:     by_value
      - .actual_access:  read_only
        .address_space:  global
        .offset:         48
        .size:           8
        .value_kind:     global_buffer
      - .actual_access:  write_only
        .address_space:  global
        .offset:         56
        .size:           8
        .value_kind:     global_buffer
      - .offset:         64
        .size:           4
        .value_kind:     hidden_block_count_x
      - .offset:         68
        .size:           4
        .value_kind:     hidden_block_count_y
      - .offset:         72
        .size:           4
        .value_kind:     hidden_block_count_z
      - .offset:         76
        .size:           2
        .value_kind:     hidden_group_size_x
      - .offset:         78
        .size:           2
        .value_kind:     hidden_group_size_y
      - .offset:         80
        .size:           2
        .value_kind:     hidden_group_size_z
      - .offset:         82
        .size:           2
        .value_kind:     hidden_remainder_x
      - .offset:         84
        .size:           2
        .value_kind:     hidden_remainder_y
      - .offset:         86
        .size:           2
        .value_kind:     hidden_remainder_z
      - .offset:         104
        .size:           8
        .value_kind:     hidden_global_offset_x
      - .offset:         112
        .size:           8
        .value_kind:     hidden_global_offset_y
      - .offset:         120
        .size:           8
        .value_kind:     hidden_global_offset_z
      - .offset:         128
        .size:           2
        .value_kind:     hidden_grid_dims
    .group_segment_fixed_size: 256
    .kernarg_segment_align: 8
    .kernarg_segment_size: 320
    .language:       OpenCL C
    .language_version:
      - 2
      - 0
    .max_flat_workgroup_size: 1024
    .name:           _ZL24rocblas_dot_kernel_magsqIiLb1ELi1024ELi32ELb1EdPKddEviT5_lT_liPT6_PT4_
    .private_segment_fixed_size: 0
    .sgpr_count:     24
    .sgpr_spill_count: 0
    .symbol:         _ZL24rocblas_dot_kernel_magsqIiLb1ELi1024ELi32ELb1EdPKddEviT5_lT_liPT6_PT4_.kd
    .uniform_work_group_size: 1
    .uses_dynamic_stack: false
    .vgpr_count:     18
    .vgpr_spill_count: 0
    .wavefront_size: 32
  - .args:
      - .offset:         0
        .size:           4
        .value_kind:     by_value
      - .actual_access:  read_only
        .address_space:  global
        .offset:         8
        .size:           8
        .value_kind:     global_buffer
      - .offset:         16
        .size:           8
        .value_kind:     by_value
      - .offset:         24
        .size:           4
        .value_kind:     by_value
      - .offset:         32
        .size:           8
        .value_kind:     by_value
      - .actual_access:  read_only
        .address_space:  global
        .offset:         40
        .size:           8
        .value_kind:     global_buffer
      - .offset:         48
        .size:           8
        .value_kind:     by_value
      - .offset:         56
        .size:           4
        .value_kind:     by_value
      - .offset:         64
        .size:           8
        .value_kind:     by_value
      - .actual_access:  read_only
        .address_space:  global
        .offset:         72
        .size:           8
        .value_kind:     global_buffer
      - .actual_access:  read_only
        .address_space:  global
        .offset:         80
        .size:           8
        .value_kind:     global_buffer
    .group_segment_fixed_size: 0
    .kernarg_segment_align: 8
    .kernarg_segment_size: 88
    .language:       OpenCL C
    .language_version:
      - 2
      - 0
    .max_flat_workgroup_size: 1024
    .name:           _ZL38rocblas_dot_kernel_gfx942_float_doubleIiLi1024EdPKddEviT2_lT_lS2_lS3_lPT3_PT1_
    .private_segment_fixed_size: 0
    .sgpr_count:     0
    .sgpr_spill_count: 0
    .symbol:         _ZL38rocblas_dot_kernel_gfx942_float_doubleIiLi1024EdPKddEviT2_lT_lS2_lS3_lPT3_PT1_.kd
    .uniform_work_group_size: 1
    .uses_dynamic_stack: false
    .vgpr_count:     0
    .vgpr_spill_count: 0
    .wavefront_size: 32
  - .args:
      - .offset:         0
        .size:           4
        .value_kind:     by_value
      - .actual_access:  read_only
        .address_space:  global
        .offset:         8
        .size:           8
        .value_kind:     global_buffer
      - .actual_access:  write_only
        .address_space:  global
        .offset:         16
        .size:           8
        .value_kind:     global_buffer
    .group_segment_fixed_size: 256
    .kernarg_segment_align: 8
    .kernarg_segment_size: 24
    .language:       OpenCL C
    .language_version:
      - 2
      - 0
    .max_flat_workgroup_size: 1024
    .name:           _ZL30rocblas_reduction_kernel_part2ILi1024ELi4E25rocblas_finalize_identityddEviPT2_PT3_
    .private_segment_fixed_size: 0
    .sgpr_count:     18
    .sgpr_spill_count: 0
    .symbol:         _ZL30rocblas_reduction_kernel_part2ILi1024ELi4E25rocblas_finalize_identityddEviPT2_PT3_.kd
    .uniform_work_group_size: 1
    .uses_dynamic_stack: false
    .vgpr_count:     14
    .vgpr_spill_count: 0
    .wavefront_size: 32
  - .args:
      - .offset:         0
        .size:           4
        .value_kind:     by_value
      - .actual_access:  read_only
        .address_space:  global
        .offset:         8
        .size:           8
        .value_kind:     global_buffer
      - .offset:         16
        .size:           8
        .value_kind:     by_value
      - .offset:         24
        .size:           8
        .value_kind:     by_value
      - .actual_access:  read_only
        .address_space:  global
        .offset:         32
        .size:           8
        .value_kind:     global_buffer
      - .offset:         40
        .size:           8
        .value_kind:     by_value
      - .offset:         48
        .size:           8
        .value_kind:     by_value
      - .offset:         56
        .size:           4
        .value_kind:     by_value
      - .actual_access:  write_only
        .address_space:  global
        .offset:         64
        .size:           8
        .value_kind:     global_buffer
      - .actual_access:  write_only
        .address_space:  global
        .offset:         72
        .size:           8
        .value_kind:     global_buffer
      - .offset:         80
        .size:           4
        .value_kind:     hidden_block_count_x
      - .offset:         84
        .size:           4
        .value_kind:     hidden_block_count_y
      - .offset:         88
        .size:           4
        .value_kind:     hidden_block_count_z
      - .offset:         92
        .size:           2
        .value_kind:     hidden_group_size_x
      - .offset:         94
        .size:           2
        .value_kind:     hidden_group_size_y
      - .offset:         96
        .size:           2
        .value_kind:     hidden_group_size_z
      - .offset:         98
        .size:           2
        .value_kind:     hidden_remainder_x
      - .offset:         100
        .size:           2
        .value_kind:     hidden_remainder_y
      - .offset:         102
        .size:           2
        .value_kind:     hidden_remainder_z
      - .offset:         120
        .size:           8
        .value_kind:     hidden_global_offset_x
      - .offset:         128
        .size:           8
        .value_kind:     hidden_global_offset_y
      - .offset:         136
        .size:           8
        .value_kind:     hidden_global_offset_z
      - .offset:         144
        .size:           2
        .value_kind:     hidden_grid_dims
    .group_segment_fixed_size: 256
    .kernarg_segment_align: 8
    .kernarg_segment_size: 336
    .language:       OpenCL C
    .language_version:
      - 2
      - 0
    .max_flat_workgroup_size: 512
    .name:           _ZL23rocblas_dot_kernel_inc1ILb0ELi512ELi2ELb1EdPKddEviT4_llS2_lliPT5_PT3_
    .private_segment_fixed_size: 0
    .sgpr_count:     38
    .sgpr_spill_count: 0
    .symbol:         _ZL23rocblas_dot_kernel_inc1ILb0ELi512ELi2ELb1EdPKddEviT4_llS2_lliPT5_PT3_.kd
    .uniform_work_group_size: 1
    .uses_dynamic_stack: false
    .vgpr_count:     22
    .vgpr_spill_count: 0
    .wavefront_size: 32
  - .args:
      - .offset:         0
        .size:           4
        .value_kind:     by_value
      - .actual_access:  read_only
        .address_space:  global
        .offset:         8
        .size:           8
        .value_kind:     global_buffer
      - .offset:         16
        .size:           8
        .value_kind:     by_value
      - .offset:         24
        .size:           4
        .value_kind:     by_value
      - .offset:         32
        .size:           8
        .value_kind:     by_value
      - .actual_access:  read_only
        .address_space:  global
        .offset:         40
        .size:           8
        .value_kind:     global_buffer
      - .offset:         48
        .size:           8
        .value_kind:     by_value
      - .offset:         56
        .size:           4
        .value_kind:     by_value
      - .offset:         64
        .size:           8
        .value_kind:     by_value
      - .offset:         72
        .size:           4
        .value_kind:     by_value
      - .actual_access:  write_only
        .address_space:  global
        .offset:         80
        .size:           8
        .value_kind:     global_buffer
      - .actual_access:  write_only
        .address_space:  global
        .offset:         88
        .size:           8
        .value_kind:     global_buffer
      - .offset:         96
        .size:           4
        .value_kind:     hidden_block_count_x
      - .offset:         100
        .size:           4
        .value_kind:     hidden_block_count_y
      - .offset:         104
        .size:           4
        .value_kind:     hidden_block_count_z
      - .offset:         108
        .size:           2
        .value_kind:     hidden_group_size_x
      - .offset:         110
        .size:           2
        .value_kind:     hidden_group_size_y
      - .offset:         112
        .size:           2
        .value_kind:     hidden_group_size_z
      - .offset:         114
        .size:           2
        .value_kind:     hidden_remainder_x
      - .offset:         116
        .size:           2
        .value_kind:     hidden_remainder_y
      - .offset:         118
        .size:           2
        .value_kind:     hidden_remainder_z
      - .offset:         136
        .size:           8
        .value_kind:     hidden_global_offset_x
      - .offset:         144
        .size:           8
        .value_kind:     hidden_global_offset_y
      - .offset:         152
        .size:           8
        .value_kind:     hidden_global_offset_z
      - .offset:         160
        .size:           2
        .value_kind:     hidden_grid_dims
    .group_segment_fixed_size: 256
    .kernarg_segment_align: 8
    .kernarg_segment_size: 352
    .language:       OpenCL C
    .language_version:
      - 2
      - 0
    .max_flat_workgroup_size: 512
    .name:           _ZL18rocblas_dot_kernelIiLb0ELi512ELi2ELb1EdPKddEviT5_lT_lS2_lS3_liPT6_PT4_
    .private_segment_fixed_size: 0
    .sgpr_count:     41
    .sgpr_spill_count: 0
    .symbol:         _ZL18rocblas_dot_kernelIiLb0ELi512ELi2ELb1EdPKddEviT5_lT_lS2_lS3_liPT6_PT4_.kd
    .uniform_work_group_size: 1
    .uses_dynamic_stack: false
    .vgpr_count:     22
    .vgpr_spill_count: 0
    .wavefront_size: 32
  - .args:
      - .offset:         0
        .size:           4
        .value_kind:     by_value
      - .actual_access:  read_only
        .address_space:  global
        .offset:         8
        .size:           8
        .value_kind:     global_buffer
      - .offset:         16
        .size:           8
        .value_kind:     by_value
      - .offset:         24
        .size:           4
        .value_kind:     by_value
      - .offset:         32
        .size:           8
        .value_kind:     by_value
      - .offset:         40
        .size:           4
        .value_kind:     by_value
      - .actual_access:  write_only
        .address_space:  global
        .offset:         48
        .size:           8
        .value_kind:     global_buffer
      - .actual_access:  write_only
        .address_space:  global
        .offset:         56
        .size:           8
        .value_kind:     global_buffer
      - .offset:         64
        .size:           4
        .value_kind:     hidden_block_count_x
      - .offset:         68
        .size:           4
        .value_kind:     hidden_block_count_y
      - .offset:         72
        .size:           4
        .value_kind:     hidden_block_count_z
      - .offset:         76
        .size:           2
        .value_kind:     hidden_group_size_x
      - .offset:         78
        .size:           2
        .value_kind:     hidden_group_size_y
      - .offset:         80
        .size:           2
        .value_kind:     hidden_group_size_z
      - .offset:         82
        .size:           2
        .value_kind:     hidden_remainder_x
      - .offset:         84
        .size:           2
        .value_kind:     hidden_remainder_y
      - .offset:         86
        .size:           2
        .value_kind:     hidden_remainder_z
      - .offset:         104
        .size:           8
        .value_kind:     hidden_global_offset_x
      - .offset:         112
        .size:           8
        .value_kind:     hidden_global_offset_y
      - .offset:         120
        .size:           8
        .value_kind:     hidden_global_offset_z
      - .offset:         128
        .size:           2
        .value_kind:     hidden_grid_dims
    .group_segment_fixed_size: 256
    .kernarg_segment_align: 8
    .kernarg_segment_size: 320
    .language:       OpenCL C
    .language_version:
      - 2
      - 0
    .max_flat_workgroup_size: 512
    .name:           _ZL24rocblas_dot_kernel_magsqIiLb0ELi512ELi2ELb1EdPKddEviT5_lT_liPT6_PT4_
    .private_segment_fixed_size: 0
    .sgpr_count:     28
    .sgpr_spill_count: 0
    .symbol:         _ZL24rocblas_dot_kernel_magsqIiLb0ELi512ELi2ELb1EdPKddEviT5_lT_liPT6_PT4_.kd
    .uniform_work_group_size: 1
    .uses_dynamic_stack: false
    .vgpr_count:     16
    .vgpr_spill_count: 0
    .wavefront_size: 32
  - .args:
      - .offset:         0
        .size:           4
        .value_kind:     by_value
      - .actual_access:  read_only
        .address_space:  global
        .offset:         8
        .size:           8
        .value_kind:     global_buffer
      - .actual_access:  write_only
        .address_space:  global
        .offset:         16
        .size:           8
        .value_kind:     global_buffer
    .group_segment_fixed_size: 256
    .kernarg_segment_align: 8
    .kernarg_segment_size: 24
    .language:       OpenCL C
    .language_version:
      - 2
      - 0
    .max_flat_workgroup_size: 512
    .name:           _ZL30rocblas_reduction_kernel_part2ILi512ELi2E25rocblas_finalize_identityddEviPT2_PT3_
    .private_segment_fixed_size: 0
    .sgpr_count:     18
    .sgpr_spill_count: 0
    .symbol:         _ZL30rocblas_reduction_kernel_part2ILi512ELi2E25rocblas_finalize_identityddEviPT2_PT3_.kd
    .uniform_work_group_size: 1
    .uses_dynamic_stack: false
    .vgpr_count:     11
    .vgpr_spill_count: 0
    .wavefront_size: 32
  - .args:
      - .offset:         0
        .size:           4
        .value_kind:     by_value
      - .actual_access:  read_only
        .address_space:  global
        .offset:         8
        .size:           8
        .value_kind:     global_buffer
      - .offset:         16
        .size:           8
        .value_kind:     by_value
      - .offset:         24
        .size:           4
        .value_kind:     by_value
      - .offset:         32
        .size:           8
        .value_kind:     by_value
      - .actual_access:  read_only
        .address_space:  global
        .offset:         40
        .size:           8
        .value_kind:     global_buffer
      - .offset:         48
        .size:           8
        .value_kind:     by_value
      - .offset:         56
        .size:           4
        .value_kind:     by_value
      - .offset:         64
        .size:           8
        .value_kind:     by_value
      - .offset:         72
        .size:           4
        .value_kind:     by_value
      - .actual_access:  write_only
        .address_space:  global
        .offset:         80
        .size:           8
        .value_kind:     global_buffer
    .group_segment_fixed_size: 0
    .kernarg_segment_align: 8
    .kernarg_segment_size: 88
    .language:       OpenCL C
    .language_version:
      - 2
      - 0
    .max_flat_workgroup_size: 128
    .name:           _ZL28rocblas_dot_batched_4_kernelIiLi32ELi4ELb1EddPKPKdEviT5_lT_lS4_lS5_liPT4_
    .private_segment_fixed_size: 0
    .sgpr_count:     18
    .sgpr_spill_count: 0
    .symbol:         _ZL28rocblas_dot_batched_4_kernelIiLi32ELi4ELb1EddPKPKdEviT5_lT_lS4_lS5_liPT4_.kd
    .uniform_work_group_size: 1
    .uses_dynamic_stack: false
    .vgpr_count:     14
    .vgpr_spill_count: 0
    .wavefront_size: 32
  - .args:
      - .offset:         0
        .size:           4
        .value_kind:     by_value
      - .actual_access:  read_only
        .address_space:  global
        .offset:         8
        .size:           8
        .value_kind:     global_buffer
      - .offset:         16
        .size:           8
        .value_kind:     by_value
      - .offset:         24
        .size:           4
        .value_kind:     by_value
      - .offset:         32
        .size:           8
        .value_kind:     by_value
      - .actual_access:  read_only
        .address_space:  global
        .offset:         40
        .size:           8
        .value_kind:     global_buffer
      - .offset:         48
        .size:           8
        .value_kind:     by_value
      - .offset:         56
        .size:           4
        .value_kind:     by_value
      - .offset:         64
        .size:           8
        .value_kind:     by_value
      - .offset:         72
        .size:           4
        .value_kind:     by_value
      - .actual_access:  write_only
        .address_space:  global
        .offset:         80
        .size:           8
        .value_kind:     global_buffer
    .group_segment_fixed_size: 0
    .kernarg_segment_align: 8
    .kernarg_segment_size: 88
    .language:       OpenCL C
    .language_version:
      - 2
      - 0
    .max_flat_workgroup_size: 256
    .name:           _ZL28rocblas_dot_batched_4_kernelIiLi64ELi4ELb1EddPKPKdEviT5_lT_lS4_lS5_liPT4_
    .private_segment_fixed_size: 0
    .sgpr_count:     18
    .sgpr_spill_count: 0
    .symbol:         _ZL28rocblas_dot_batched_4_kernelIiLi64ELi4ELb1EddPKPKdEviT5_lT_lS4_lS5_liPT4_.kd
    .uniform_work_group_size: 1
    .uses_dynamic_stack: false
    .vgpr_count:     14
    .vgpr_spill_count: 0
    .wavefront_size: 32
  - .args:
      - .offset:         0
        .size:           4
        .value_kind:     by_value
      - .actual_access:  read_only
        .address_space:  global
        .offset:         8
        .size:           8
        .value_kind:     global_buffer
      - .offset:         16
        .size:           8
        .value_kind:     by_value
      - .offset:         24
        .size:           8
        .value_kind:     by_value
      - .actual_access:  read_only
        .address_space:  global
        .offset:         32
        .size:           8
        .value_kind:     global_buffer
      - .offset:         40
        .size:           8
        .value_kind:     by_value
      - .offset:         48
        .size:           8
        .value_kind:     by_value
      - .offset:         56
        .size:           4
        .value_kind:     by_value
      - .actual_access:  read_only
        .address_space:  global
        .offset:         64
        .size:           8
        .value_kind:     global_buffer
      - .actual_access:  write_only
        .address_space:  global
        .offset:         72
        .size:           8
        .value_kind:     global_buffer
    .group_segment_fixed_size: 256
    .kernarg_segment_align: 8
    .kernarg_segment_size: 80
    .language:       OpenCL C
    .language_version:
      - 2
      - 0
    .max_flat_workgroup_size: 1024
    .name:           _ZL26rocblas_dot_kernel_inc1by2ILb1ELi1024ELi32ELb1EdPKPKddEviT4_llS4_lliPT5_PT3_
    .private_segment_fixed_size: 0
    .sgpr_count:     28
    .sgpr_spill_count: 0
    .symbol:         _ZL26rocblas_dot_kernel_inc1by2ILb1ELi1024ELi32ELb1EdPKPKddEviT4_llS4_lliPT5_PT3_.kd
    .uniform_work_group_size: 1
    .uses_dynamic_stack: false
    .vgpr_count:     22
    .vgpr_spill_count: 0
    .wavefront_size: 32
  - .args:
      - .offset:         0
        .size:           4
        .value_kind:     by_value
      - .actual_access:  read_only
        .address_space:  global
        .offset:         8
        .size:           8
        .value_kind:     global_buffer
      - .offset:         16
        .size:           8
        .value_kind:     by_value
      - .offset:         24
        .size:           4
        .value_kind:     by_value
      - .offset:         32
        .size:           8
        .value_kind:     by_value
      - .actual_access:  read_only
        .address_space:  global
        .offset:         40
        .size:           8
        .value_kind:     global_buffer
      - .offset:         48
        .size:           8
        .value_kind:     by_value
      - .offset:         56
        .size:           4
        .value_kind:     by_value
      - .offset:         64
        .size:           8
        .value_kind:     by_value
      - .offset:         72
        .size:           4
        .value_kind:     by_value
      - .actual_access:  read_only
        .address_space:  global
        .offset:         80
        .size:           8
        .value_kind:     global_buffer
      - .actual_access:  write_only
        .address_space:  global
        .offset:         88
        .size:           8
        .value_kind:     global_buffer
      - .offset:         96
        .size:           4
        .value_kind:     hidden_block_count_x
      - .offset:         100
        .size:           4
        .value_kind:     hidden_block_count_y
      - .offset:         104
        .size:           4
        .value_kind:     hidden_block_count_z
      - .offset:         108
        .size:           2
        .value_kind:     hidden_group_size_x
      - .offset:         110
        .size:           2
        .value_kind:     hidden_group_size_y
      - .offset:         112
        .size:           2
        .value_kind:     hidden_group_size_z
      - .offset:         114
        .size:           2
        .value_kind:     hidden_remainder_x
      - .offset:         116
        .size:           2
        .value_kind:     hidden_remainder_y
      - .offset:         118
        .size:           2
        .value_kind:     hidden_remainder_z
      - .offset:         136
        .size:           8
        .value_kind:     hidden_global_offset_x
      - .offset:         144
        .size:           8
        .value_kind:     hidden_global_offset_y
      - .offset:         152
        .size:           8
        .value_kind:     hidden_global_offset_z
      - .offset:         160
        .size:           2
        .value_kind:     hidden_grid_dims
    .group_segment_fixed_size: 256
    .kernarg_segment_align: 8
    .kernarg_segment_size: 352
    .language:       OpenCL C
    .language_version:
      - 2
      - 0
    .max_flat_workgroup_size: 1024
    .name:           _ZL18rocblas_dot_kernelIiLb1ELi1024ELi32ELb1EdPKPKddEviT5_lT_lS4_lS5_liPT6_PT4_
    .private_segment_fixed_size: 0
    .sgpr_count:     40
    .sgpr_spill_count: 0
    .symbol:         _ZL18rocblas_dot_kernelIiLb1ELi1024ELi32ELb1EdPKPKddEviT5_lT_lS4_lS5_liPT6_PT4_.kd
    .uniform_work_group_size: 1
    .uses_dynamic_stack: false
    .vgpr_count:     22
    .vgpr_spill_count: 0
    .wavefront_size: 32
  - .args:
      - .offset:         0
        .size:           4
        .value_kind:     by_value
      - .actual_access:  read_only
        .address_space:  global
        .offset:         8
        .size:           8
        .value_kind:     global_buffer
      - .offset:         16
        .size:           8
        .value_kind:     by_value
      - .offset:         24
        .size:           4
        .value_kind:     by_value
      - .offset:         32
        .size:           8
        .value_kind:     by_value
      - .offset:         40
        .size:           4
        .value_kind:     by_value
      - .actual_access:  read_only
        .address_space:  global
        .offset:         48
        .size:           8
        .value_kind:     global_buffer
      - .actual_access:  write_only
        .address_space:  global
        .offset:         56
        .size:           8
        .value_kind:     global_buffer
      - .offset:         64
        .size:           4
        .value_kind:     hidden_block_count_x
      - .offset:         68
        .size:           4
        .value_kind:     hidden_block_count_y
      - .offset:         72
        .size:           4
        .value_kind:     hidden_block_count_z
      - .offset:         76
        .size:           2
        .value_kind:     hidden_group_size_x
      - .offset:         78
        .size:           2
        .value_kind:     hidden_group_size_y
      - .offset:         80
        .size:           2
        .value_kind:     hidden_group_size_z
      - .offset:         82
        .size:           2
        .value_kind:     hidden_remainder_x
      - .offset:         84
        .size:           2
        .value_kind:     hidden_remainder_y
      - .offset:         86
        .size:           2
        .value_kind:     hidden_remainder_z
      - .offset:         104
        .size:           8
        .value_kind:     hidden_global_offset_x
      - .offset:         112
        .size:           8
        .value_kind:     hidden_global_offset_y
      - .offset:         120
        .size:           8
        .value_kind:     hidden_global_offset_z
      - .offset:         128
        .size:           2
        .value_kind:     hidden_grid_dims
    .group_segment_fixed_size: 256
    .kernarg_segment_align: 8
    .kernarg_segment_size: 320
    .language:       OpenCL C
    .language_version:
      - 2
      - 0
    .max_flat_workgroup_size: 1024
    .name:           _ZL24rocblas_dot_kernel_magsqIiLb1ELi1024ELi32ELb1EdPKPKddEviT5_lT_liPT6_PT4_
    .private_segment_fixed_size: 0
    .sgpr_count:     24
    .sgpr_spill_count: 0
    .symbol:         _ZL24rocblas_dot_kernel_magsqIiLb1ELi1024ELi32ELb1EdPKPKddEviT5_lT_liPT6_PT4_.kd
    .uniform_work_group_size: 1
    .uses_dynamic_stack: false
    .vgpr_count:     18
    .vgpr_spill_count: 0
    .wavefront_size: 32
  - .args:
      - .offset:         0
        .size:           4
        .value_kind:     by_value
      - .actual_access:  read_only
        .address_space:  global
        .offset:         8
        .size:           8
        .value_kind:     global_buffer
      - .offset:         16
        .size:           8
        .value_kind:     by_value
      - .offset:         24
        .size:           4
        .value_kind:     by_value
      - .offset:         32
        .size:           8
        .value_kind:     by_value
      - .actual_access:  read_only
        .address_space:  global
        .offset:         40
        .size:           8
        .value_kind:     global_buffer
      - .offset:         48
        .size:           8
        .value_kind:     by_value
      - .offset:         56
        .size:           4
        .value_kind:     by_value
      - .offset:         64
        .size:           8
        .value_kind:     by_value
      - .actual_access:  read_only
        .address_space:  global
        .offset:         72
        .size:           8
        .value_kind:     global_buffer
      - .actual_access:  read_only
        .address_space:  global
        .offset:         80
        .size:           8
        .value_kind:     global_buffer
    .group_segment_fixed_size: 0
    .kernarg_segment_align: 8
    .kernarg_segment_size: 88
    .language:       OpenCL C
    .language_version:
      - 2
      - 0
    .max_flat_workgroup_size: 1024
    .name:           _ZL38rocblas_dot_kernel_gfx942_float_doubleIiLi1024EdPKPKddEviT2_lT_lS4_lS5_lPT3_PT1_
    .private_segment_fixed_size: 0
    .sgpr_count:     0
    .sgpr_spill_count: 0
    .symbol:         _ZL38rocblas_dot_kernel_gfx942_float_doubleIiLi1024EdPKPKddEviT2_lT_lS4_lS5_lPT3_PT1_.kd
    .uniform_work_group_size: 1
    .uses_dynamic_stack: false
    .vgpr_count:     0
    .vgpr_spill_count: 0
    .wavefront_size: 32
  - .args:
      - .offset:         0
        .size:           4
        .value_kind:     by_value
      - .actual_access:  read_only
        .address_space:  global
        .offset:         8
        .size:           8
        .value_kind:     global_buffer
      - .offset:         16
        .size:           8
        .value_kind:     by_value
      - .offset:         24
        .size:           8
        .value_kind:     by_value
      - .actual_access:  read_only
        .address_space:  global
        .offset:         32
        .size:           8
        .value_kind:     global_buffer
      - .offset:         40
        .size:           8
        .value_kind:     by_value
      - .offset:         48
        .size:           8
        .value_kind:     by_value
      - .offset:         56
        .size:           4
        .value_kind:     by_value
      - .actual_access:  write_only
        .address_space:  global
        .offset:         64
        .size:           8
        .value_kind:     global_buffer
      - .actual_access:  write_only
        .address_space:  global
        .offset:         72
        .size:           8
        .value_kind:     global_buffer
      - .offset:         80
        .size:           4
        .value_kind:     hidden_block_count_x
      - .offset:         84
        .size:           4
        .value_kind:     hidden_block_count_y
      - .offset:         88
        .size:           4
        .value_kind:     hidden_block_count_z
      - .offset:         92
        .size:           2
        .value_kind:     hidden_group_size_x
      - .offset:         94
        .size:           2
        .value_kind:     hidden_group_size_y
      - .offset:         96
        .size:           2
        .value_kind:     hidden_group_size_z
      - .offset:         98
        .size:           2
        .value_kind:     hidden_remainder_x
      - .offset:         100
        .size:           2
        .value_kind:     hidden_remainder_y
      - .offset:         102
        .size:           2
        .value_kind:     hidden_remainder_z
      - .offset:         120
        .size:           8
        .value_kind:     hidden_global_offset_x
      - .offset:         128
        .size:           8
        .value_kind:     hidden_global_offset_y
      - .offset:         136
        .size:           8
        .value_kind:     hidden_global_offset_z
      - .offset:         144
        .size:           2
        .value_kind:     hidden_grid_dims
    .group_segment_fixed_size: 256
    .kernarg_segment_align: 8
    .kernarg_segment_size: 336
    .language:       OpenCL C
    .language_version:
      - 2
      - 0
    .max_flat_workgroup_size: 512
    .name:           _ZL23rocblas_dot_kernel_inc1ILb0ELi512ELi2ELb1EdPKPKddEviT4_llS4_lliPT5_PT3_
    .private_segment_fixed_size: 0
    .sgpr_count:     40
    .sgpr_spill_count: 0
    .symbol:         _ZL23rocblas_dot_kernel_inc1ILb0ELi512ELi2ELb1EdPKPKddEviT4_llS4_lliPT5_PT3_.kd
    .uniform_work_group_size: 1
    .uses_dynamic_stack: false
    .vgpr_count:     22
    .vgpr_spill_count: 0
    .wavefront_size: 32
  - .args:
      - .offset:         0
        .size:           4
        .value_kind:     by_value
      - .actual_access:  read_only
        .address_space:  global
        .offset:         8
        .size:           8
        .value_kind:     global_buffer
      - .offset:         16
        .size:           8
        .value_kind:     by_value
      - .offset:         24
        .size:           4
        .value_kind:     by_value
      - .offset:         32
        .size:           8
        .value_kind:     by_value
      - .actual_access:  read_only
        .address_space:  global
        .offset:         40
        .size:           8
        .value_kind:     global_buffer
      - .offset:         48
        .size:           8
        .value_kind:     by_value
      - .offset:         56
        .size:           4
        .value_kind:     by_value
      - .offset:         64
        .size:           8
        .value_kind:     by_value
      - .offset:         72
        .size:           4
        .value_kind:     by_value
      - .actual_access:  write_only
        .address_space:  global
        .offset:         80
        .size:           8
        .value_kind:     global_buffer
      - .actual_access:  write_only
        .address_space:  global
        .offset:         88
        .size:           8
        .value_kind:     global_buffer
      - .offset:         96
        .size:           4
        .value_kind:     hidden_block_count_x
      - .offset:         100
        .size:           4
        .value_kind:     hidden_block_count_y
      - .offset:         104
        .size:           4
        .value_kind:     hidden_block_count_z
      - .offset:         108
        .size:           2
        .value_kind:     hidden_group_size_x
      - .offset:         110
        .size:           2
        .value_kind:     hidden_group_size_y
      - .offset:         112
        .size:           2
        .value_kind:     hidden_group_size_z
      - .offset:         114
        .size:           2
        .value_kind:     hidden_remainder_x
      - .offset:         116
        .size:           2
        .value_kind:     hidden_remainder_y
      - .offset:         118
        .size:           2
        .value_kind:     hidden_remainder_z
      - .offset:         136
        .size:           8
        .value_kind:     hidden_global_offset_x
      - .offset:         144
        .size:           8
        .value_kind:     hidden_global_offset_y
      - .offset:         152
        .size:           8
        .value_kind:     hidden_global_offset_z
      - .offset:         160
        .size:           2
        .value_kind:     hidden_grid_dims
    .group_segment_fixed_size: 256
    .kernarg_segment_align: 8
    .kernarg_segment_size: 352
    .language:       OpenCL C
    .language_version:
      - 2
      - 0
    .max_flat_workgroup_size: 512
    .name:           _ZL18rocblas_dot_kernelIiLb0ELi512ELi2ELb1EdPKPKddEviT5_lT_lS4_lS5_liPT6_PT4_
    .private_segment_fixed_size: 0
    .sgpr_count:     40
    .sgpr_spill_count: 0
    .symbol:         _ZL18rocblas_dot_kernelIiLb0ELi512ELi2ELb1EdPKPKddEviT5_lT_lS4_lS5_liPT6_PT4_.kd
    .uniform_work_group_size: 1
    .uses_dynamic_stack: false
    .vgpr_count:     22
    .vgpr_spill_count: 0
    .wavefront_size: 32
  - .args:
      - .offset:         0
        .size:           4
        .value_kind:     by_value
      - .actual_access:  read_only
        .address_space:  global
        .offset:         8
        .size:           8
        .value_kind:     global_buffer
      - .offset:         16
        .size:           8
        .value_kind:     by_value
      - .offset:         24
        .size:           4
        .value_kind:     by_value
      - .offset:         32
        .size:           8
        .value_kind:     by_value
      - .offset:         40
        .size:           4
        .value_kind:     by_value
      - .actual_access:  write_only
        .address_space:  global
        .offset:         48
        .size:           8
        .value_kind:     global_buffer
      - .actual_access:  write_only
        .address_space:  global
        .offset:         56
        .size:           8
        .value_kind:     global_buffer
      - .offset:         64
        .size:           4
        .value_kind:     hidden_block_count_x
      - .offset:         68
        .size:           4
        .value_kind:     hidden_block_count_y
      - .offset:         72
        .size:           4
        .value_kind:     hidden_block_count_z
      - .offset:         76
        .size:           2
        .value_kind:     hidden_group_size_x
      - .offset:         78
        .size:           2
        .value_kind:     hidden_group_size_y
      - .offset:         80
        .size:           2
        .value_kind:     hidden_group_size_z
      - .offset:         82
        .size:           2
        .value_kind:     hidden_remainder_x
      - .offset:         84
        .size:           2
        .value_kind:     hidden_remainder_y
      - .offset:         86
        .size:           2
        .value_kind:     hidden_remainder_z
      - .offset:         104
        .size:           8
        .value_kind:     hidden_global_offset_x
      - .offset:         112
        .size:           8
        .value_kind:     hidden_global_offset_y
      - .offset:         120
        .size:           8
        .value_kind:     hidden_global_offset_z
      - .offset:         128
        .size:           2
        .value_kind:     hidden_grid_dims
    .group_segment_fixed_size: 256
    .kernarg_segment_align: 8
    .kernarg_segment_size: 320
    .language:       OpenCL C
    .language_version:
      - 2
      - 0
    .max_flat_workgroup_size: 512
    .name:           _ZL24rocblas_dot_kernel_magsqIiLb0ELi512ELi2ELb1EdPKPKddEviT5_lT_liPT6_PT4_
    .private_segment_fixed_size: 0
    .sgpr_count:     28
    .sgpr_spill_count: 0
    .symbol:         _ZL24rocblas_dot_kernel_magsqIiLb0ELi512ELi2ELb1EdPKPKddEviT5_lT_liPT6_PT4_.kd
    .uniform_work_group_size: 1
    .uses_dynamic_stack: false
    .vgpr_count:     16
    .vgpr_spill_count: 0
    .wavefront_size: 32
amdhsa.target:   amdgcn-amd-amdhsa--gfx1250
amdhsa.version:
  - 1
  - 2
...

	.end_amdgpu_metadata
